;; amdgpu-corpus repo=ROCm/rocBLAS kind=compiled arch=gfx1201 opt=O3
	.amdgcn_target "amdgcn-amd-amdhsa--gfx1201"
	.amdhsa_code_object_version 6
	.section	.text._ZL30rocblas_trmm_outofplace_kernelIfLi32ELi2ELb1ELb0ELb0ELb0EPKfS0_fEv17rocblas_diagonal_iiT6_lPT7_lllS5_lllPT8_llli,"axG",@progbits,_ZL30rocblas_trmm_outofplace_kernelIfLi32ELi2ELb1ELb0ELb0ELb0EPKfS0_fEv17rocblas_diagonal_iiT6_lPT7_lllS5_lllPT8_llli,comdat
	.globl	_ZL30rocblas_trmm_outofplace_kernelIfLi32ELi2ELb1ELb0ELb0ELb0EPKfS0_fEv17rocblas_diagonal_iiT6_lPT7_lllS5_lllPT8_llli ; -- Begin function _ZL30rocblas_trmm_outofplace_kernelIfLi32ELi2ELb1ELb0ELb0ELb0EPKfS0_fEv17rocblas_diagonal_iiT6_lPT7_lllS5_lllPT8_llli
	.p2align	8
	.type	_ZL30rocblas_trmm_outofplace_kernelIfLi32ELi2ELb1ELb0ELb0ELb0EPKfS0_fEv17rocblas_diagonal_iiT6_lPT7_lllS5_lllPT8_llli,@function
_ZL30rocblas_trmm_outofplace_kernelIfLi32ELi2ELb1ELb0ELb0ELb0EPKfS0_fEv17rocblas_diagonal_iiT6_lPT7_lllS5_lllPT8_llli: ; @_ZL30rocblas_trmm_outofplace_kernelIfLi32ELi2ELb1ELb0ELb0ELb0EPKfS0_fEv17rocblas_diagonal_iiT6_lPT7_lllS5_lllPT8_llli
; %bb.0:
	s_load_b32 s11, s[0:1], 0x80
	s_lshr_b32 s34, ttmp7, 16
	s_wait_kmcnt 0x0
	s_cmp_ge_u32 s34, s11
	s_cbranch_scc1 .LBB0_55
; %bb.1:
	s_clause 0x2
	s_load_b512 s[12:27], s[0:1], 0x10
	s_load_b96 s[8:10], s[0:1], 0x0
	s_load_b256 s[36:43], s[0:1], 0x50
	v_bfe_u32 v40, v0, 10, 10
	v_dual_mov_b32 v42, 0 :: v_dual_and_b32 v41, 0x3ff, v0
	s_load_b128 s[28:31], s[0:1], 0x70
	s_add_nc_u64 s[44:45], s[0:1], 0x88
	s_and_b32 s33, ttmp7, 0xffff
	v_lshl_add_u32 v16, v40, 2, 64
	v_lshl_add_u32 v47, s33, 5, v40
	s_mov_b32 s35, 0
	v_mov_b32_e32 v48, 1.0
	s_wait_kmcnt 0x0
	v_mad_co_u64_u32 v[14:15], null, s20, v40, 0
	s_add_co_i32 s2, s10, -1
	v_lshlrev_b32_e32 v43, 2, v41
	s_ashr_i32 s0, s2, 31
	s_mov_b32 s51, s10
	s_lshr_b32 s0, s0, 27
	v_mov_b32_e32 v12, v15
	s_add_co_i32 s2, s2, s0
	s_lshl_b64 s[0:1], s[42:43], 2
	s_ashr_i32 s50, s2, 5
	s_mov_b32 s42, s9
	v_mad_co_u64_u32 v[12:13], null, s21, v40, v[12:13]
	v_lshlrev_b32_e32 v0, 7, v40
	s_cmp_le_i32 s33, s50
	s_add_nc_u64 s[40:41], s[40:41], s[0:1]
	s_cselect_b32 s52, -1, 0
	s_lshl_b32 s53, ttmp9, 5
	s_cmp_gt_i32 ttmp9, -1
	s_delay_alu instid0(VALU_DEP_2)
	v_dual_mov_b32 v15, v12 :: v_dual_add_nc_u32 v44, 0x1000, v0
	v_add_nc_u32_e32 v45, v43, v0
	v_add_nc_u32_e32 v0, s53, v41
	s_cselect_b32 s54, -1, 0
	s_cmp_eq_u32 s8, 0x84
	v_add_nc_u32_e32 v49, 0x400, v43
	s_cselect_b32 s55, -1, 0
	v_ashrrev_i32_e32 v1, 31, v0
	v_add_co_u32 v2, vcc_lo, v0, 16
	s_lshl_b64 s[4:5], s[18:19], 2
	s_lshl_b64 s[6:7], s[26:27], 2
	v_add_co_ci_u32_e64 v3, null, 0, v1, vcc_lo
	v_sub_co_u32 v4, vcc_lo, v0, v40
	s_wait_alu 0xfffd
	v_subrev_co_ci_u32_e64 v5, null, 0, v1, vcc_lo
	s_add_nc_u64 s[4:5], s[16:17], s[4:5]
	v_add_co_u32 v6, vcc_lo, v4, 16
	v_mad_co_u64_u32 v[8:9], null, s20, v16, s[4:5]
	s_add_nc_u64 s[6:7], s[24:25], s[6:7]
	s_wait_alu 0xfffd
	v_add_co_ci_u32_e64 v7, null, 0, v5, vcc_lo
	v_add_co_u32 v10, vcc_lo, v4, -16
	v_add_co_u32 v13, s6, s6, v43
	s_wait_alu 0xf1ff
	v_add_co_ci_u32_e64 v20, null, s7, 0, s6
	v_add_nc_u32_e32 v18, 16, v0
	s_wait_alu 0xfffd
	v_add_co_ci_u32_e64 v11, null, -1, v5, vcc_lo
	v_mad_co_u64_u32 v[16:17], null, s21, v16, v[9:10]
	v_add_co_u32 v12, vcc_lo, v13, 64
	s_wait_alu 0xfffd
	v_add_co_ci_u32_e64 v13, null, 0, v20, vcc_lo
	v_lshlrev_b64_e32 v[20:21], 2, v[14:15]
	v_ashrrev_i32_e32 v19, 31, v18
	s_ashr_i32 s43, s9, 31
	v_mov_b32_e32 v9, v16
	v_cmp_gt_i32_e64 s2, s9, v18
	v_cmp_le_i64_e64 s3, s[42:43], v[2:3]
	v_add_co_u32 v16, vcc_lo, s4, v20
	v_lshlrev_b64_e32 v[14:15], 2, v[0:1]
	v_lshlrev_b64_e32 v[18:19], 2, v[18:19]
	v_add_nc_u32_e32 v46, v44, v43
	v_cmp_le_i32_e64 s0, s9, v0
	v_cmp_gt_i32_e64 s1, s9, v0
	s_wait_alu 0xfffd
	v_add_co_ci_u32_e64 v17, null, s5, v21, vcc_lo
	v_add_nc_u32_e32 v50, 0x800, v43
	v_add_nc_u32_e32 v51, 0xc00, v43
	s_ashr_i32 s56, s10, 31
	s_lshl_b64 s[46:47], s[20:21], 7
	s_add_nc_u64 s[48:49], s[42:43], -16
	s_lshl_b64 s[16:17], s[38:39], 2
	s_lshl_b64 s[18:19], s[36:37], 2
	;; [unrolled: 1-line block ×3, first 2 shown]
	s_branch .LBB0_4
.LBB0_2:                                ;   in Loop: Header=BB0_4 Depth=1
	s_add_co_i32 s34, s34, 0x10000
	s_wait_alu 0xfffe
	s_cmp_ge_u32 s34, s11
	s_cselect_b32 s4, -1, 0
.LBB0_3:                                ;   in Loop: Header=BB0_4 Depth=1
	s_wait_alu 0xfffe
	s_and_b32 vcc_lo, exec_lo, s4
	s_wait_alu 0xfffe
	s_cbranch_vccnz .LBB0_55
.LBB0_4:                                ; =>This Loop Header: Depth=1
                                        ;     Child Loop BB0_8 Depth 2
                                        ;       Child Loop BB0_11 Depth 3
	s_mul_u64 s[4:5], s[14:15], s[34:35]
	s_wait_alu 0xfffe
	s_lshl_b64 s[4:5], s[4:5], 2
	s_wait_alu 0xfffe
	s_add_nc_u64 s[4:5], s[12:13], s[4:5]
	global_load_b32 v52, v42, s[4:5]
	s_mov_b32 s4, -1
	s_wait_loadcnt 0x0
	v_cmp_eq_f32_e32 vcc_lo, 0, v52
	s_cbranch_vccnz .LBB0_3
; %bb.5:                                ;   in Loop: Header=BB0_4 Depth=1
	s_and_not1_b32 vcc_lo, exec_lo, s52
	s_wait_alu 0xfffe
	s_cbranch_vccnz .LBB0_2
; %bb.6:                                ;   in Loop: Header=BB0_4 Depth=1
	s_load_b32 s9, s[44:45], 0x4
	v_mad_co_u64_u32 v[20:21], null, s16, s34, v[12:13]
	v_mad_co_u64_u32 v[22:23], null, s20, s34, v[8:9]
	v_mad_co_u64_u32 v[24:25], null, s20, s34, v[16:17]
	s_mul_i32 s6, s21, s34
	s_mul_u64 s[4:5], s[30:31], s[34:35]
	s_mov_b32 s27, s33
	s_wait_alu 0xfffe
	s_lshl_b64 s[4:5], s[4:5], 2
	v_mad_co_u64_u32 v[26:27], null, s17, s34, v[21:22]
	v_add_nc_u32_e32 v23, s6, v23
	v_add_nc_u32_e32 v25, s6, v25
	s_wait_alu 0xfffe
	s_add_nc_u64 s[22:23], s[40:41], s[4:5]
	s_delay_alu instid0(VALU_DEP_3)
	v_dual_mov_b32 v21, v26 :: v_dual_mov_b32 v26, v47
	s_wait_kmcnt 0x0
	s_lshl_b32 s26, s9, 5
	s_branch .LBB0_8
.LBB0_7:                                ;   in Loop: Header=BB0_8 Depth=2
	s_wait_alu 0xfffe
	s_or_b32 exec_lo, exec_lo, s4
	v_add_nc_u32_e32 v26, s26, v26
	s_add_co_i32 s27, s9, s27
	s_wait_alu 0xfffe
	s_cmp_gt_i32 s27, s50
	s_cbranch_scc1 .LBB0_2
.LBB0_8:                                ;   Parent Loop BB0_4 Depth=1
                                        ; =>  This Loop Header: Depth=2
                                        ;       Child Loop BB0_11 Depth 3
	v_lshl_add_u32 v53, s27, 5, v40
	v_dual_mov_b32 v57, 0 :: v_dual_mov_b32 v56, 0
	v_dual_mov_b32 v54, 0 :: v_dual_mov_b32 v27, 0
	s_delay_alu instid0(VALU_DEP_3)
	v_ashrrev_i32_e32 v55, 31, v53
	s_and_not1_b32 vcc_lo, exec_lo, s54
	s_wait_alu 0xfffe
	s_cbranch_vccnz .LBB0_47
; %bb.9:                                ;   in Loop: Header=BB0_8 Depth=2
	v_ashrrev_i32_e32 v27, 31, v26
	v_mad_co_u64_u32 v[28:29], null, s18, v26, v[20:21]
	v_mul_lo_u32 v38, s19, v26
	v_mov_b32_e32 v33, v25
	s_delay_alu instid0(VALU_DEP_4)
	v_lshlrev_b64_e32 v[30:31], 2, v[26:27]
	v_mul_lo_u32 v39, s18, v27
	v_mov_b32_e32 v35, v23
	v_dual_mov_b32 v27, 0 :: v_dual_mov_b32 v32, v24
	v_mov_b32_e32 v34, v22
	v_add_co_u32 v30, vcc_lo, v30, 64
	s_wait_alu 0xfffd
	v_add_co_ci_u32_e64 v31, null, 0, v31, vcc_lo
	v_sub_co_u32 v36, vcc_lo, s51, v53
	s_delay_alu instid0(VALU_DEP_3) | instskip(NEXT) | instid1(VALU_DEP_3)
	v_mul_lo_u32 v56, s37, v30
	v_mul_lo_u32 v54, s36, v31
	v_mad_co_u64_u32 v[30:31], null, s36, v30, v[20:21]
	s_wait_alu 0xfffd
	v_sub_co_ci_u32_e64 v37, null, s56, v55, vcc_lo
	v_add3_u32 v29, v38, v29, v39
	s_mov_b64 s[24:25], 0
	v_mov_b32_e32 v57, 0
	s_delay_alu instid0(VALU_DEP_3)
	v_cmp_lt_i64_e64 s4, 16, v[36:37]
	v_add3_u32 v31, v56, v31, v54
	v_mov_b32_e32 v54, 0
	v_mov_b32_e32 v56, 0
	v_cmp_lt_i64_e32 vcc_lo, 0, v[36:37]
	s_branch .LBB0_11
.LBB0_10:                               ;   in Loop: Header=BB0_11 Depth=3
	s_wait_alu 0xfffe
	s_or_b32 exec_lo, exec_lo, s5
	s_wait_dscnt 0x0
	s_barrier_signal -1
	s_barrier_wait -1
	global_inv scope:SCOPE_SE
	ds_load_b128 v[36:39], v44
	ds_load_b128 v[58:61], v44 offset:16
	ds_load_b128 v[62:65], v44 offset:32
	;; [unrolled: 1-line block ×3, first 2 shown]
	ds_load_2addr_b32 v[74:75], v43 offset1:16
	ds_load_b128 v[70:73], v44 offset:2048
	v_add_co_u32 v28, s5, 0x80, v28
	s_wait_alu 0xf1ff
	v_add_co_ci_u32_e64 v29, null, 0, v29, s5
	v_add_co_u32 v34, s5, v34, s46
	s_wait_alu 0xf1ff
	v_add_co_ci_u32_e64 v35, null, s47, v35, s5
	;; [unrolled: 3-line block ×3, first 2 shown]
	v_add_co_u32 v32, s5, v32, s46
	s_add_nc_u64 s[24:25], s[24:25], 32
	v_add_co_ci_u32_e64 v33, null, s47, v33, s5
	s_wait_alu 0xfffe
	s_sub_co_i32 s5, s24, 32
	s_wait_dscnt 0x1
	v_fmac_f32_e32 v56, v75, v36
	v_fmac_f32_e32 v57, v74, v36
	s_wait_dscnt 0x0
	v_fmac_f32_e32 v27, v75, v70
	v_fmac_f32_e32 v54, v74, v70
	ds_load_2addr_b32 v[74:75], v43 offset0:32 offset1:48
	s_wait_alu 0xfffe
	s_cmp_ge_i32 s5, s53
	s_wait_dscnt 0x0
	v_fmac_f32_e32 v56, v75, v37
	v_fmac_f32_e32 v57, v74, v37
	ds_load_2addr_b32 v[36:37], v43 offset0:64 offset1:80
	v_fmac_f32_e32 v27, v75, v71
	v_fmac_f32_e32 v54, v74, v71
	ds_load_2addr_b32 v[70:71], v43 offset0:128 offset1:144
	s_wait_dscnt 0x1
	v_fmac_f32_e32 v56, v37, v38
	v_fmac_f32_e32 v57, v36, v38
	;; [unrolled: 1-line block ×4, first 2 shown]
	ds_load_2addr_b32 v[36:37], v43 offset0:96 offset1:112
	s_wait_dscnt 0x0
	v_fmac_f32_e32 v56, v37, v39
	v_fmac_f32_e32 v57, v36, v39
	;; [unrolled: 1-line block ×4, first 2 shown]
	ds_load_b128 v[36:39], v44 offset:2064
	v_fmac_f32_e32 v56, v71, v58
	v_fmac_f32_e32 v57, v70, v58
	s_wait_dscnt 0x0
	v_fmac_f32_e32 v27, v71, v36
	v_fmac_f32_e32 v54, v70, v36
	ds_load_2addr_b32 v[70:71], v43 offset0:160 offset1:176
	s_wait_dscnt 0x0
	v_fmac_f32_e32 v27, v71, v37
	v_fmac_f32_e32 v54, v70, v37
	ds_load_2addr_b32 v[36:37], v43 offset0:192 offset1:208
	v_fmac_f32_e32 v56, v71, v59
	v_fmac_f32_e32 v57, v70, v59
	ds_load_2addr_b32 v[58:59], v49 offset1:16
	s_wait_dscnt 0x1
	v_fmac_f32_e32 v56, v37, v60
	v_fmac_f32_e32 v57, v36, v60
	;; [unrolled: 1-line block ×4, first 2 shown]
	ds_load_2addr_b32 v[36:37], v43 offset0:224 offset1:240
	s_wait_dscnt 0x0
	v_fmac_f32_e32 v56, v37, v61
	v_fmac_f32_e32 v57, v36, v61
	;; [unrolled: 1-line block ×4, first 2 shown]
	ds_load_b128 v[36:39], v44 offset:2080
	v_fmac_f32_e32 v56, v59, v62
	v_fmac_f32_e32 v57, v58, v62
	s_wait_dscnt 0x0
	v_fmac_f32_e32 v27, v59, v36
	v_fmac_f32_e32 v54, v58, v36
	ds_load_2addr_b32 v[58:59], v49 offset0:32 offset1:48
	s_wait_dscnt 0x0
	v_fmac_f32_e32 v27, v59, v37
	v_fmac_f32_e32 v54, v58, v37
	ds_load_2addr_b32 v[36:37], v49 offset0:64 offset1:80
	v_fmac_f32_e32 v56, v59, v63
	v_fmac_f32_e32 v57, v58, v63
	ds_load_2addr_b32 v[58:59], v49 offset0:128 offset1:144
	s_wait_dscnt 0x1
	v_fmac_f32_e32 v56, v37, v64
	v_fmac_f32_e32 v57, v36, v64
	;; [unrolled: 1-line block ×4, first 2 shown]
	ds_load_2addr_b32 v[36:37], v49 offset0:96 offset1:112
	s_wait_dscnt 0x0
	v_fmac_f32_e32 v56, v37, v65
	v_fmac_f32_e32 v57, v36, v65
	v_fmac_f32_e32 v27, v37, v39
	v_fmac_f32_e32 v54, v36, v39
	ds_load_b128 v[36:39], v44 offset:2096
	v_fmac_f32_e32 v56, v59, v66
	v_fmac_f32_e32 v57, v58, v66
	s_wait_dscnt 0x0
	v_fmac_f32_e32 v27, v59, v36
	v_fmac_f32_e32 v54, v58, v36
	ds_load_2addr_b32 v[58:59], v49 offset0:160 offset1:176
	s_wait_dscnt 0x0
	v_fmac_f32_e32 v27, v59, v37
	v_fmac_f32_e32 v54, v58, v37
	ds_load_2addr_b32 v[36:37], v49 offset0:192 offset1:208
	v_fmac_f32_e32 v56, v59, v67
	s_wait_dscnt 0x0
	s_delay_alu instid0(VALU_DEP_1) | instskip(NEXT) | instid1(VALU_DEP_1)
	v_dual_fmac_f32 v57, v58, v67 :: v_dual_fmac_f32 v56, v37, v68
	v_fmac_f32_e32 v57, v36, v68
	v_fmac_f32_e32 v27, v37, v38
	;; [unrolled: 1-line block ×3, first 2 shown]
	ds_load_2addr_b32 v[36:37], v49 offset0:224 offset1:240
	s_wait_dscnt 0x0
	v_fmac_f32_e32 v56, v37, v69
	v_fmac_f32_e32 v57, v36, v69
	;; [unrolled: 1-line block ×4, first 2 shown]
	ds_load_b128 v[36:39], v44 offset:64
	ds_load_2addr_b32 v[62:63], v50 offset1:16
	ds_load_b128 v[58:61], v44 offset:2112
	s_wait_dscnt 0x1
	v_fmac_f32_e32 v56, v63, v36
	v_fmac_f32_e32 v57, v62, v36
	s_wait_dscnt 0x0
	v_fmac_f32_e32 v27, v63, v58
	v_fmac_f32_e32 v54, v62, v58
	ds_load_2addr_b32 v[62:63], v50 offset0:32 offset1:48
	s_wait_dscnt 0x0
	v_fmac_f32_e32 v56, v63, v37
	v_fmac_f32_e32 v57, v62, v37
	ds_load_2addr_b32 v[36:37], v50 offset0:64 offset1:80
	v_fmac_f32_e32 v27, v63, v59
	v_fmac_f32_e32 v54, v62, v59
	s_wait_dscnt 0x0
	v_fmac_f32_e32 v56, v37, v38
	v_fmac_f32_e32 v57, v36, v38
	;; [unrolled: 1-line block ×4, first 2 shown]
	ds_load_2addr_b32 v[36:37], v50 offset0:96 offset1:112
	s_wait_dscnt 0x0
	v_fmac_f32_e32 v56, v37, v39
	v_fmac_f32_e32 v57, v36, v39
	;; [unrolled: 1-line block ×4, first 2 shown]
	ds_load_b128 v[36:39], v44 offset:80
	ds_load_2addr_b32 v[62:63], v50 offset0:128 offset1:144
	ds_load_b128 v[58:61], v44 offset:2128
	s_wait_dscnt 0x1
	v_fmac_f32_e32 v56, v63, v36
	v_fmac_f32_e32 v57, v62, v36
	s_wait_dscnt 0x0
	v_fmac_f32_e32 v27, v63, v58
	v_fmac_f32_e32 v54, v62, v58
	ds_load_2addr_b32 v[62:63], v50 offset0:160 offset1:176
	s_wait_dscnt 0x0
	v_fmac_f32_e32 v56, v63, v37
	v_fmac_f32_e32 v57, v62, v37
	ds_load_2addr_b32 v[36:37], v50 offset0:192 offset1:208
	v_fmac_f32_e32 v27, v63, v59
	v_fmac_f32_e32 v54, v62, v59
	s_wait_dscnt 0x0
	v_fmac_f32_e32 v56, v37, v38
	v_fmac_f32_e32 v57, v36, v38
	;; [unrolled: 1-line block ×4, first 2 shown]
	ds_load_2addr_b32 v[36:37], v50 offset0:224 offset1:240
	s_wait_dscnt 0x0
	v_fmac_f32_e32 v56, v37, v39
	v_fmac_f32_e32 v57, v36, v39
	;; [unrolled: 1-line block ×4, first 2 shown]
	ds_load_b128 v[36:39], v44 offset:96
	ds_load_2addr_b32 v[62:63], v51 offset1:16
	ds_load_b128 v[58:61], v44 offset:2144
	s_wait_dscnt 0x1
	v_fmac_f32_e32 v56, v63, v36
	v_fmac_f32_e32 v57, v62, v36
	s_wait_dscnt 0x0
	v_fmac_f32_e32 v27, v63, v58
	v_fmac_f32_e32 v54, v62, v58
	ds_load_2addr_b32 v[62:63], v51 offset0:32 offset1:48
	s_wait_dscnt 0x0
	v_fmac_f32_e32 v56, v63, v37
	v_fmac_f32_e32 v57, v62, v37
	ds_load_2addr_b32 v[36:37], v51 offset0:64 offset1:80
	v_fmac_f32_e32 v27, v63, v59
	v_fmac_f32_e32 v54, v62, v59
	s_wait_dscnt 0x0
	v_fmac_f32_e32 v56, v37, v38
	v_fmac_f32_e32 v57, v36, v38
	;; [unrolled: 1-line block ×4, first 2 shown]
	ds_load_2addr_b32 v[36:37], v51 offset0:96 offset1:112
	s_wait_dscnt 0x0
	v_fmac_f32_e32 v56, v37, v39
	v_fmac_f32_e32 v57, v36, v39
	;; [unrolled: 1-line block ×4, first 2 shown]
	ds_load_b128 v[36:39], v44 offset:112
	ds_load_2addr_b32 v[62:63], v51 offset0:128 offset1:144
	ds_load_b128 v[58:61], v44 offset:2160
	s_wait_dscnt 0x1
	v_fmac_f32_e32 v56, v63, v36
	v_fmac_f32_e32 v57, v62, v36
	s_wait_dscnt 0x0
	v_fmac_f32_e32 v27, v63, v58
	v_fmac_f32_e32 v54, v62, v58
	ds_load_2addr_b32 v[62:63], v51 offset0:160 offset1:176
	s_wait_dscnt 0x0
	v_fmac_f32_e32 v56, v63, v37
	v_fmac_f32_e32 v57, v62, v37
	ds_load_2addr_b32 v[36:37], v51 offset0:192 offset1:208
	v_fmac_f32_e32 v27, v63, v59
	v_fmac_f32_e32 v54, v62, v59
	s_wait_dscnt 0x0
	v_fmac_f32_e32 v56, v37, v38
	v_fmac_f32_e32 v57, v36, v38
	;; [unrolled: 1-line block ×4, first 2 shown]
	ds_load_2addr_b32 v[36:37], v51 offset0:224 offset1:240
	s_wait_loadcnt_dscnt 0x0
	s_barrier_signal -1
	s_barrier_wait -1
	global_inv scope:SCOPE_SE
	v_fmac_f32_e32 v56, v37, v39
	v_fmac_f32_e32 v57, v36, v39
	v_fmac_f32_e32 v27, v37, v61
	v_fmac_f32_e32 v54, v36, v61
	s_cbranch_scc1 .LBB0_47
.LBB0_11:                               ;   Parent Loop BB0_4 Depth=1
                                        ;     Parent Loop BB0_8 Depth=2
                                        ; =>    This Inner Loop Header: Depth=3
	s_wait_alu 0xfffe
	v_add_co_u32 v36, s5, v40, s24
	s_wait_alu 0xf1ff
	v_add_co_ci_u32_e64 v37, null, 0, s25, s5
	v_cmp_eq_u64_e64 s7, s[24:25], v[4:5]
                                        ; implicit-def: $vgpr58
	s_delay_alu instid0(VALU_DEP_2)
	v_cmp_le_i64_e64 s6, s[42:43], v[36:37]
	v_cmp_gt_i64_e64 s5, v[36:37], v[0:1]
	s_and_b32 s38, s55, s7
	v_add_co_u32 v38, s7, v32, v14
	s_wait_alu 0xf1ff
	v_add_co_ci_u32_e64 v39, null, v33, v15, s7
	s_or_b32 s8, s6, s5
	s_wait_alu 0xfffe
	s_or_b32 s7, s8, s38
	s_wait_alu 0xfffe
	s_nor_b32 s7, s0, s7
	s_wait_alu 0xfffe
	s_and_saveexec_b32 s8, s7
	s_wait_alu 0xfffe
	s_xor_b32 s7, exec_lo, s8
	s_cbranch_execz .LBB0_13
; %bb.12:                               ;   in Loop: Header=BB0_11 Depth=3
	global_load_b32 v58, v[38:39], off
.LBB0_13:                               ;   in Loop: Header=BB0_11 Depth=3
	s_wait_alu 0xfffe
	s_and_not1_saveexec_b32 s7, s7
	s_cbranch_execz .LBB0_15
; %bb.14:                               ;   in Loop: Header=BB0_11 Depth=3
	s_wait_loadcnt 0x0
	v_cndmask_b32_e64 v58, 0, 1.0, s38
.LBB0_15:                               ;   in Loop: Header=BB0_11 Depth=3
	s_wait_alu 0xfffe
	s_or_b32 exec_lo, exec_lo, s7
	v_cmp_eq_u64_e64 s7, s[24:25], v[6:7]
	v_cmp_lt_i64_e64 s8, v[2:3], v[36:37]
	s_wait_loadcnt 0x0
	ds_store_b32 v45, v58
	s_and_b32 s7, s55, s7
	s_or_b32 s6, s6, s8
	s_wait_alu 0xfffe
	s_or_b32 s6, s6, s7
	s_wait_alu 0xfffe
	s_nor_b32 s6, s3, s6
	s_wait_alu 0xfffe
	s_and_saveexec_b32 s8, s6
	s_wait_alu 0xfffe
	s_xor_b32 s6, exec_lo, s8
	s_cbranch_execz .LBB0_17
; %bb.16:                               ;   in Loop: Header=BB0_11 Depth=3
	global_load_b32 v38, v[38:39], off offset:64
	s_wait_loadcnt 0x0
	ds_store_b32 v45, v38 offset:64
.LBB0_17:                               ;   in Loop: Header=BB0_11 Depth=3
	s_wait_alu 0xfffe
	s_and_not1_saveexec_b32 s6, s6
	s_cbranch_execz .LBB0_23
; %bb.18:                               ;   in Loop: Header=BB0_11 Depth=3
	s_xor_b32 s7, s7, -1
	s_wait_alu 0xfffe
	s_and_saveexec_b32 s8, s7
	s_wait_alu 0xfffe
	s_xor_b32 s7, exec_lo, s8
; %bb.19:                               ;   in Loop: Header=BB0_11 Depth=3
	ds_store_b32 v45, v42 offset:64
; %bb.20:                               ;   in Loop: Header=BB0_11 Depth=3
	s_wait_alu 0xfffe
	s_and_not1_saveexec_b32 s7, s7
; %bb.21:                               ;   in Loop: Header=BB0_11 Depth=3
	ds_store_b32 v45, v48 offset:64
; %bb.22:                               ;   in Loop: Header=BB0_11 Depth=3
	s_wait_alu 0xfffe
	s_or_b32 exec_lo, exec_lo, s7
.LBB0_23:                               ;   in Loop: Header=BB0_11 Depth=3
	s_wait_alu 0xfffe
	s_or_b32 exec_lo, exec_lo, s6
	v_add_co_u32 v36, s6, v36, 16
	s_wait_alu 0xf1ff
	v_add_co_ci_u32_e64 v37, null, 0, v37, s6
	v_cmp_eq_u64_e64 s7, s[24:25], v[10:11]
                                        ; implicit-def: $vgpr38
	s_delay_alu instid0(VALU_DEP_2)
	v_cmp_le_i64_e64 s6, s[42:43], v[36:37]
	v_cmp_gt_i64_e64 s8, v[36:37], v[0:1]
	s_and_b32 s39, s55, s7
	v_add_co_u32 v36, s7, v34, v14
	s_wait_alu 0xf1ff
	v_add_co_ci_u32_e64 v37, null, v35, v15, s7
	s_or_b32 s8, s6, s8
	s_wait_alu 0xfffe
	s_or_b32 s7, s8, s39
	s_wait_alu 0xfffe
	s_nor_b32 s7, s0, s7
	s_wait_alu 0xfffe
	s_and_saveexec_b32 s8, s7
	s_wait_alu 0xfffe
	s_xor_b32 s7, exec_lo, s8
	s_cbranch_execz .LBB0_25
; %bb.24:                               ;   in Loop: Header=BB0_11 Depth=3
	global_load_b32 v38, v[36:37], off
.LBB0_25:                               ;   in Loop: Header=BB0_11 Depth=3
	s_wait_alu 0xfffe
	s_and_not1_saveexec_b32 s7, s7
	s_cbranch_execz .LBB0_27
; %bb.26:                               ;   in Loop: Header=BB0_11 Depth=3
	s_wait_loadcnt 0x0
	v_cndmask_b32_e64 v38, 0, 1.0, s39
.LBB0_27:                               ;   in Loop: Header=BB0_11 Depth=3
	s_wait_alu 0xfffe
	s_or_b32 exec_lo, exec_lo, s7
	s_or_b32 s5, s6, s5
	s_wait_loadcnt 0x0
	ds_store_b32 v45, v38 offset:2048
	s_wait_alu 0xfffe
	s_or_b32 s5, s5, s38
	s_wait_alu 0xfffe
	s_nor_b32 s5, s3, s5
	s_wait_alu 0xfffe
	s_and_saveexec_b32 s6, s5
	s_wait_alu 0xfffe
	s_xor_b32 s5, exec_lo, s6
	s_cbranch_execz .LBB0_29
; %bb.28:                               ;   in Loop: Header=BB0_11 Depth=3
	global_load_b32 v36, v[36:37], off offset:64
	s_wait_loadcnt 0x0
	ds_store_b32 v45, v36 offset:2112
.LBB0_29:                               ;   in Loop: Header=BB0_11 Depth=3
	s_wait_alu 0xfffe
	s_and_not1_saveexec_b32 s5, s5
	s_cbranch_execz .LBB0_35
; %bb.30:                               ;   in Loop: Header=BB0_11 Depth=3
	s_xor_b32 s6, s38, -1
	s_wait_alu 0xfffe
	s_and_saveexec_b32 s7, s6
	s_wait_alu 0xfffe
	s_xor_b32 s6, exec_lo, s7
; %bb.31:                               ;   in Loop: Header=BB0_11 Depth=3
	ds_store_b32 v45, v42 offset:2112
; %bb.32:                               ;   in Loop: Header=BB0_11 Depth=3
	s_wait_alu 0xfffe
	s_and_not1_saveexec_b32 s6, s6
; %bb.33:                               ;   in Loop: Header=BB0_11 Depth=3
	ds_store_b32 v45, v48 offset:2112
; %bb.34:                               ;   in Loop: Header=BB0_11 Depth=3
	s_wait_alu 0xfffe
	s_or_b32 exec_lo, exec_lo, s6
.LBB0_35:                               ;   in Loop: Header=BB0_11 Depth=3
	s_wait_alu 0xfffe
	s_or_b32 exec_lo, exec_lo, s5
	v_add_co_u32 v36, s5, v41, s24
	s_wait_alu 0xf1ff
	v_add_co_ci_u32_e64 v37, null, 0, s25, s5
	v_mov_b32_e32 v38, 0
	s_delay_alu instid0(VALU_DEP_2)
	v_cmp_gt_i64_e64 s5, s[42:43], v[36:37]
	s_and_b32 s7, vcc_lo, s5
	s_wait_alu 0xfffe
	s_and_saveexec_b32 s6, s7
	s_cbranch_execz .LBB0_37
; %bb.36:                               ;   in Loop: Header=BB0_11 Depth=3
	global_load_b32 v38, v[28:29], off offset:-64
.LBB0_37:                               ;   in Loop: Header=BB0_11 Depth=3
	s_wait_alu 0xfffe
	s_or_b32 exec_lo, exec_lo, s6
	v_cmp_gt_i64_e64 s6, s[48:49], v[36:37]
	s_wait_loadcnt 0x0
	ds_store_b32 v46, v38
	s_and_b32 s7, vcc_lo, s6
	s_wait_alu 0xfffe
	s_xor_b32 s7, s7, -1
	s_wait_alu 0xfffe
	s_and_saveexec_b32 s8, s7
	s_wait_alu 0xfffe
	s_xor_b32 s7, exec_lo, s8
; %bb.38:                               ;   in Loop: Header=BB0_11 Depth=3
	ds_store_b32 v46, v42 offset:64
; %bb.39:                               ;   in Loop: Header=BB0_11 Depth=3
	s_wait_alu 0xfffe
	s_and_not1_saveexec_b32 s7, s7
	s_cbranch_execz .LBB0_41
; %bb.40:                               ;   in Loop: Header=BB0_11 Depth=3
	global_load_b32 v36, v[28:29], off
	s_wait_loadcnt 0x0
	ds_store_b32 v46, v36 offset:64
.LBB0_41:                               ;   in Loop: Header=BB0_11 Depth=3
	s_wait_alu 0xfffe
	s_or_b32 exec_lo, exec_lo, s7
	v_mov_b32_e32 v36, 0
	s_and_b32 s7, s4, s5
	s_wait_alu 0xfffe
	s_and_saveexec_b32 s5, s7
	s_cbranch_execz .LBB0_43
; %bb.42:                               ;   in Loop: Header=BB0_11 Depth=3
	global_load_b32 v36, v[30:31], off offset:-64
.LBB0_43:                               ;   in Loop: Header=BB0_11 Depth=3
	s_wait_alu 0xfffe
	s_or_b32 exec_lo, exec_lo, s5
	s_and_b32 s5, s4, s6
	s_wait_loadcnt 0x0
	ds_store_b32 v46, v36 offset:2048
	s_wait_alu 0xfffe
	s_xor_b32 s5, s5, -1
	s_wait_alu 0xfffe
	s_and_saveexec_b32 s6, s5
	s_wait_alu 0xfffe
	s_xor_b32 s5, exec_lo, s6
; %bb.44:                               ;   in Loop: Header=BB0_11 Depth=3
	ds_store_b32 v46, v42 offset:2112
; %bb.45:                               ;   in Loop: Header=BB0_11 Depth=3
	s_wait_alu 0xfffe
	s_and_not1_saveexec_b32 s5, s5
	s_cbranch_execz .LBB0_10
; %bb.46:                               ;   in Loop: Header=BB0_11 Depth=3
	global_load_b32 v36, v[30:31], off
	s_wait_loadcnt 0x0
	ds_store_b32 v46, v36 offset:2112
	s_branch .LBB0_10
.LBB0_47:                               ;   in Loop: Header=BB0_8 Depth=2
	v_mul_lo_u32 v30, s29, v53
	v_mul_lo_u32 v31, s28, v55
	v_mad_co_u64_u32 v[28:29], null, s28, v53, 0
	v_cmp_gt_i32_e32 vcc_lo, s10, v53
	s_delay_alu instid0(VALU_DEP_2) | instskip(NEXT) | instid1(VALU_DEP_1)
	v_add3_u32 v29, v29, v31, v30
	v_lshlrev_b64_e32 v[28:29], 2, v[28:29]
	s_delay_alu instid0(VALU_DEP_1) | instskip(SKIP_1) | instid1(VALU_DEP_2)
	v_add_co_u32 v28, s4, s22, v28
	s_wait_alu 0xf1ff
	v_add_co_ci_u32_e64 v29, null, s23, v29, s4
	s_and_b32 s4, s1, vcc_lo
	s_wait_alu 0xfffe
	s_and_saveexec_b32 s5, s4
	s_cbranch_execz .LBB0_49
; %bb.48:                               ;   in Loop: Header=BB0_8 Depth=2
	v_add_co_u32 v30, s4, v28, v14
	s_wait_alu 0xf1ff
	v_add_co_ci_u32_e64 v31, null, v29, v15, s4
	global_load_b32 v32, v[30:31], off
	s_wait_loadcnt 0x0
	v_fmac_f32_e32 v32, v52, v57
	global_store_b32 v[30:31], v32, off
.LBB0_49:                               ;   in Loop: Header=BB0_8 Depth=2
	s_wait_alu 0xfffe
	s_or_b32 exec_lo, exec_lo, s5
	s_and_b32 s5, s2, vcc_lo
	s_wait_alu 0xfffe
	s_and_saveexec_b32 s4, s5
	s_cbranch_execz .LBB0_51
; %bb.50:                               ;   in Loop: Header=BB0_8 Depth=2
	v_add_co_u32 v28, vcc_lo, v28, v18
	s_wait_alu 0xfffd
	v_add_co_ci_u32_e64 v29, null, v29, v19, vcc_lo
	global_load_b32 v30, v[28:29], off
	s_wait_loadcnt 0x0
	v_fmac_f32_e32 v30, v52, v56
	global_store_b32 v[28:29], v30, off
.LBB0_51:                               ;   in Loop: Header=BB0_8 Depth=2
	s_wait_alu 0xfffe
	s_or_b32 exec_lo, exec_lo, s4
	v_add_nc_u32_e32 v30, 16, v53
	s_delay_alu instid0(VALU_DEP_1) | instskip(SKIP_3) | instid1(VALU_DEP_4)
	v_ashrrev_i32_e32 v31, 31, v30
	v_mul_lo_u32 v32, s29, v30
	v_mad_co_u64_u32 v[28:29], null, s28, v30, 0
	v_cmp_gt_i32_e32 vcc_lo, s10, v30
	v_mul_lo_u32 v31, s28, v31
	s_delay_alu instid0(VALU_DEP_1) | instskip(NEXT) | instid1(VALU_DEP_1)
	v_add3_u32 v29, v29, v31, v32
	v_lshlrev_b64_e32 v[28:29], 2, v[28:29]
	s_delay_alu instid0(VALU_DEP_1) | instskip(SKIP_1) | instid1(VALU_DEP_2)
	v_add_co_u32 v28, s4, s22, v28
	s_wait_alu 0xf1ff
	v_add_co_ci_u32_e64 v29, null, s23, v29, s4
	s_and_b32 s4, s1, vcc_lo
	s_wait_alu 0xfffe
	s_and_saveexec_b32 s5, s4
	s_cbranch_execz .LBB0_53
; %bb.52:                               ;   in Loop: Header=BB0_8 Depth=2
	v_add_co_u32 v30, s4, v28, v14
	s_wait_alu 0xf1ff
	v_add_co_ci_u32_e64 v31, null, v29, v15, s4
	global_load_b32 v32, v[30:31], off
	s_wait_loadcnt 0x0
	v_fmac_f32_e32 v32, v52, v54
	global_store_b32 v[30:31], v32, off
.LBB0_53:                               ;   in Loop: Header=BB0_8 Depth=2
	s_wait_alu 0xfffe
	s_or_b32 exec_lo, exec_lo, s5
	s_and_b32 s5, s2, vcc_lo
	s_wait_alu 0xfffe
	s_and_saveexec_b32 s4, s5
	s_cbranch_execz .LBB0_7
; %bb.54:                               ;   in Loop: Header=BB0_8 Depth=2
	v_add_co_u32 v28, vcc_lo, v28, v18
	s_wait_alu 0xfffd
	v_add_co_ci_u32_e64 v29, null, v29, v19, vcc_lo
	global_load_b32 v30, v[28:29], off
	s_wait_loadcnt 0x0
	v_fmac_f32_e32 v30, v52, v27
	global_store_b32 v[28:29], v30, off
	s_branch .LBB0_7
.LBB0_55:
	s_endpgm
	.section	.rodata,"a",@progbits
	.p2align	6, 0x0
	.amdhsa_kernel _ZL30rocblas_trmm_outofplace_kernelIfLi32ELi2ELb1ELb0ELb0ELb0EPKfS0_fEv17rocblas_diagonal_iiT6_lPT7_lllS5_lllPT8_llli
		.amdhsa_group_segment_fixed_size 8192
		.amdhsa_private_segment_fixed_size 0
		.amdhsa_kernarg_size 392
		.amdhsa_user_sgpr_count 2
		.amdhsa_user_sgpr_dispatch_ptr 0
		.amdhsa_user_sgpr_queue_ptr 0
		.amdhsa_user_sgpr_kernarg_segment_ptr 1
		.amdhsa_user_sgpr_dispatch_id 0
		.amdhsa_user_sgpr_private_segment_size 0
		.amdhsa_wavefront_size32 1
		.amdhsa_uses_dynamic_stack 0
		.amdhsa_enable_private_segment 0
		.amdhsa_system_sgpr_workgroup_id_x 1
		.amdhsa_system_sgpr_workgroup_id_y 1
		.amdhsa_system_sgpr_workgroup_id_z 1
		.amdhsa_system_sgpr_workgroup_info 0
		.amdhsa_system_vgpr_workitem_id 1
		.amdhsa_next_free_vgpr 76
		.amdhsa_next_free_sgpr 57
		.amdhsa_reserve_vcc 1
		.amdhsa_float_round_mode_32 0
		.amdhsa_float_round_mode_16_64 0
		.amdhsa_float_denorm_mode_32 3
		.amdhsa_float_denorm_mode_16_64 3
		.amdhsa_fp16_overflow 0
		.amdhsa_workgroup_processor_mode 1
		.amdhsa_memory_ordered 1
		.amdhsa_forward_progress 1
		.amdhsa_inst_pref_size 28
		.amdhsa_round_robin_scheduling 0
		.amdhsa_exception_fp_ieee_invalid_op 0
		.amdhsa_exception_fp_denorm_src 0
		.amdhsa_exception_fp_ieee_div_zero 0
		.amdhsa_exception_fp_ieee_overflow 0
		.amdhsa_exception_fp_ieee_underflow 0
		.amdhsa_exception_fp_ieee_inexact 0
		.amdhsa_exception_int_div_zero 0
	.end_amdhsa_kernel
	.section	.text._ZL30rocblas_trmm_outofplace_kernelIfLi32ELi2ELb1ELb0ELb0ELb0EPKfS0_fEv17rocblas_diagonal_iiT6_lPT7_lllS5_lllPT8_llli,"axG",@progbits,_ZL30rocblas_trmm_outofplace_kernelIfLi32ELi2ELb1ELb0ELb0ELb0EPKfS0_fEv17rocblas_diagonal_iiT6_lPT7_lllS5_lllPT8_llli,comdat
.Lfunc_end0:
	.size	_ZL30rocblas_trmm_outofplace_kernelIfLi32ELi2ELb1ELb0ELb0ELb0EPKfS0_fEv17rocblas_diagonal_iiT6_lPT7_lllS5_lllPT8_llli, .Lfunc_end0-_ZL30rocblas_trmm_outofplace_kernelIfLi32ELi2ELb1ELb0ELb0ELb0EPKfS0_fEv17rocblas_diagonal_iiT6_lPT7_lllS5_lllPT8_llli
                                        ; -- End function
	.set _ZL30rocblas_trmm_outofplace_kernelIfLi32ELi2ELb1ELb0ELb0ELb0EPKfS0_fEv17rocblas_diagonal_iiT6_lPT7_lllS5_lllPT8_llli.num_vgpr, 76
	.set _ZL30rocblas_trmm_outofplace_kernelIfLi32ELi2ELb1ELb0ELb0ELb0EPKfS0_fEv17rocblas_diagonal_iiT6_lPT7_lllS5_lllPT8_llli.num_agpr, 0
	.set _ZL30rocblas_trmm_outofplace_kernelIfLi32ELi2ELb1ELb0ELb0ELb0EPKfS0_fEv17rocblas_diagonal_iiT6_lPT7_lllS5_lllPT8_llli.numbered_sgpr, 57
	.set _ZL30rocblas_trmm_outofplace_kernelIfLi32ELi2ELb1ELb0ELb0ELb0EPKfS0_fEv17rocblas_diagonal_iiT6_lPT7_lllS5_lllPT8_llli.num_named_barrier, 0
	.set _ZL30rocblas_trmm_outofplace_kernelIfLi32ELi2ELb1ELb0ELb0ELb0EPKfS0_fEv17rocblas_diagonal_iiT6_lPT7_lllS5_lllPT8_llli.private_seg_size, 0
	.set _ZL30rocblas_trmm_outofplace_kernelIfLi32ELi2ELb1ELb0ELb0ELb0EPKfS0_fEv17rocblas_diagonal_iiT6_lPT7_lllS5_lllPT8_llli.uses_vcc, 1
	.set _ZL30rocblas_trmm_outofplace_kernelIfLi32ELi2ELb1ELb0ELb0ELb0EPKfS0_fEv17rocblas_diagonal_iiT6_lPT7_lllS5_lllPT8_llli.uses_flat_scratch, 0
	.set _ZL30rocblas_trmm_outofplace_kernelIfLi32ELi2ELb1ELb0ELb0ELb0EPKfS0_fEv17rocblas_diagonal_iiT6_lPT7_lllS5_lllPT8_llli.has_dyn_sized_stack, 0
	.set _ZL30rocblas_trmm_outofplace_kernelIfLi32ELi2ELb1ELb0ELb0ELb0EPKfS0_fEv17rocblas_diagonal_iiT6_lPT7_lllS5_lllPT8_llli.has_recursion, 0
	.set _ZL30rocblas_trmm_outofplace_kernelIfLi32ELi2ELb1ELb0ELb0ELb0EPKfS0_fEv17rocblas_diagonal_iiT6_lPT7_lllS5_lllPT8_llli.has_indirect_call, 0
	.section	.AMDGPU.csdata,"",@progbits
; Kernel info:
; codeLenInByte = 3568
; TotalNumSgprs: 59
; NumVgprs: 76
; ScratchSize: 0
; MemoryBound: 0
; FloatMode: 240
; IeeeMode: 1
; LDSByteSize: 8192 bytes/workgroup (compile time only)
; SGPRBlocks: 0
; VGPRBlocks: 9
; NumSGPRsForWavesPerEU: 59
; NumVGPRsForWavesPerEU: 76
; Occupancy: 16
; WaveLimiterHint : 0
; COMPUTE_PGM_RSRC2:SCRATCH_EN: 0
; COMPUTE_PGM_RSRC2:USER_SGPR: 2
; COMPUTE_PGM_RSRC2:TRAP_HANDLER: 0
; COMPUTE_PGM_RSRC2:TGID_X_EN: 1
; COMPUTE_PGM_RSRC2:TGID_Y_EN: 1
; COMPUTE_PGM_RSRC2:TGID_Z_EN: 1
; COMPUTE_PGM_RSRC2:TIDIG_COMP_CNT: 1
	.section	.text._ZL30rocblas_trmm_outofplace_kernelIfLi32ELi2ELb1ELb0ELb0ELb0EfKffEv17rocblas_diagonal_iiT6_lPT7_lllS4_lllPT8_llli,"axG",@progbits,_ZL30rocblas_trmm_outofplace_kernelIfLi32ELi2ELb1ELb0ELb0ELb0EfKffEv17rocblas_diagonal_iiT6_lPT7_lllS4_lllPT8_llli,comdat
	.globl	_ZL30rocblas_trmm_outofplace_kernelIfLi32ELi2ELb1ELb0ELb0ELb0EfKffEv17rocblas_diagonal_iiT6_lPT7_lllS4_lllPT8_llli ; -- Begin function _ZL30rocblas_trmm_outofplace_kernelIfLi32ELi2ELb1ELb0ELb0ELb0EfKffEv17rocblas_diagonal_iiT6_lPT7_lllS4_lllPT8_llli
	.p2align	8
	.type	_ZL30rocblas_trmm_outofplace_kernelIfLi32ELi2ELb1ELb0ELb0ELb0EfKffEv17rocblas_diagonal_iiT6_lPT7_lllS4_lllPT8_llli,@function
_ZL30rocblas_trmm_outofplace_kernelIfLi32ELi2ELb1ELb0ELb0ELb0EfKffEv17rocblas_diagonal_iiT6_lPT7_lllS4_lllPT8_llli: ; @_ZL30rocblas_trmm_outofplace_kernelIfLi32ELi2ELb1ELb0ELb0ELb0EfKffEv17rocblas_diagonal_iiT6_lPT7_lllS4_lllPT8_llli
; %bb.0:
	s_load_b32 s33, s[0:1], 0x78
	s_lshr_b32 s34, ttmp7, 16
	s_wait_kmcnt 0x0
	s_cmp_ge_u32 s34, s33
	s_cbranch_scc1 .LBB1_54
; %bb.1:
	s_load_b128 s[28:31], s[0:1], 0x0
	s_mov_b32 s35, 0
	s_wait_kmcnt 0x0
	s_cmp_eq_f32 s31, 0
	s_cbranch_scc1 .LBB1_54
; %bb.2:
	s_load_b512 s[4:19], s[0:1], 0x18
	s_add_co_i32 s2, s30, -1
	s_and_b32 s42, ttmp7, 0xffff
	s_ashr_i32 s3, s2, 31
	v_bfe_u32 v40, v0, 10, 10
	s_lshr_b32 s3, s3, 27
	v_dual_mov_b32 v42, 0 :: v_dual_and_b32 v41, 0x3ff, v0
	s_add_co_i32 s2, s2, s3
	s_delay_alu instid0(VALU_DEP_2)
	v_lshlrev_b32_e32 v2, 7, v40
	s_ashr_i32 s43, s2, 5
	v_lshl_add_u32 v15, v40, 2, 64
	s_cmp_le_i32 s42, s43
	s_load_b256 s[20:27], s[0:1], 0x58
	s_cselect_b32 s44, -1, 0
	s_lshl_b32 s45, ttmp9, 5
	s_cmp_gt_i32 ttmp9, -1
	v_add_nc_u32_e32 v0, s45, v41
	s_cselect_b32 s46, -1, 0
	s_cmp_eq_u32 s28, 0x84
	s_wait_kmcnt 0x0
	v_mad_co_u64_u32 v[12:13], null, s8, v40, 0
	v_lshlrev_b32_e32 v43, 2, v41
	v_ashrrev_i32_e32 v1, 31, v0
	v_add_nc_u32_e32 v44, 0x1000, v2
	s_cselect_b32 s47, -1, 0
	s_lshl_b64 s[6:7], s[6:7], 2
	s_ashr_i32 s37, s29, 31
	s_delay_alu instid0(VALU_DEP_4) | instskip(SKIP_2) | instid1(VALU_DEP_1)
	v_dual_mov_b32 v10, v13 :: v_dual_add_nc_u32 v45, v43, v2
	v_mov_b32_e32 v48, 1.0
	v_add_co_u32 v2, vcc_lo, v0, 16
	v_add_co_ci_u32_e64 v3, null, 0, v1, vcc_lo
	v_sub_co_u32 v4, vcc_lo, v0, v40
	s_wait_alu 0xfffd
	v_subrev_co_ci_u32_e64 v5, null, 0, v1, vcc_lo
	s_add_nc_u64 s[4:5], s[4:5], s[6:7]
	v_add_co_u32 v6, vcc_lo, v4, 16
	v_mad_co_u64_u32 v[8:9], null, s8, v15, s[4:5]
	s_wait_alu 0xfffd
	v_add_co_ci_u32_e64 v7, null, 0, v5, vcc_lo
	v_mad_co_u64_u32 v[13:14], null, s9, v40, v[10:11]
	v_add_co_u32 v10, vcc_lo, v4, -16
	s_lshl_b64 s[6:7], s[14:15], 2
	s_wait_alu 0xfffd
	v_add_co_ci_u32_e64 v11, null, -1, v5, vcc_lo
	v_mad_co_u64_u32 v[16:17], null, s9, v15, v[9:10]
	s_add_nc_u64 s[6:7], s[12:13], s[6:7]
	v_lshlrev_b64_e32 v[20:21], 2, v[12:13]
	v_add_co_u32 v14, s6, s6, v43
	s_wait_alu 0xf1ff
	v_add_co_ci_u32_e64 v22, null, s7, 0, s6
	v_dual_mov_b32 v9, v16 :: v_dual_add_nc_u32 v18, 16, v0
	s_delay_alu instid0(VALU_DEP_3)
	v_add_co_u32 v12, vcc_lo, v14, 64
	s_mov_b32 s36, s29
	s_lshl_b64 s[2:3], s[22:23], 2
	v_ashrrev_i32_e32 v19, 31, v18
	s_wait_alu 0xfffd
	v_add_co_ci_u32_e64 v13, null, 0, v22, vcc_lo
	v_add_co_u32 v16, vcc_lo, s4, v20
	s_add_nc_u64 s[22:23], s[0:1], 0x80
	s_add_nc_u64 s[20:21], s[20:21], s[2:3]
	v_cmp_le_i64_e64 s1, s[36:37], v[2:3]
	v_cmp_gt_i32_e64 s3, s29, v18
	v_lshlrev_b64_e32 v[14:15], 2, v[0:1]
	v_lshlrev_b64_e32 v[18:19], 2, v[18:19]
	v_add_nc_u32_e32 v46, v44, v43
	v_cmp_le_i32_e64 s0, s29, v0
	v_cmp_gt_i32_e64 s2, s29, v0
	v_lshl_add_u32 v47, s42, 5, v40
	s_wait_alu 0xfffd
	v_add_co_ci_u32_e64 v17, null, s5, v21, vcc_lo
	v_add_nc_u32_e32 v49, 0x400, v43
	v_add_nc_u32_e32 v50, 0x800, v43
	;; [unrolled: 1-line block ×3, first 2 shown]
	s_ashr_i32 s48, s30, 31
	s_mov_b32 s49, s30
	s_lshl_b64 s[38:39], s[8:9], 7
	s_add_nc_u64 s[40:41], s[36:37], -16
	s_lshl_b64 s[12:13], s[18:19], 2
	s_lshl_b64 s[14:15], s[16:17], 2
	;; [unrolled: 1-line block ×3, first 2 shown]
	s_branch .LBB1_4
.LBB1_3:                                ;   in Loop: Header=BB1_4 Depth=1
	s_add_co_i32 s34, s34, 0x10000
	s_wait_alu 0xfffe
	s_cmp_ge_u32 s34, s33
	s_cbranch_scc1 .LBB1_54
.LBB1_4:                                ; =>This Loop Header: Depth=1
                                        ;     Child Loop BB1_7 Depth 2
                                        ;       Child Loop BB1_10 Depth 3
	s_and_not1_b32 vcc_lo, exec_lo, s44
	s_wait_alu 0xfffe
	s_cbranch_vccnz .LBB1_3
; %bb.5:                                ;   in Loop: Header=BB1_4 Depth=1
	s_load_b32 s9, s[22:23], 0x4
	v_mad_co_u64_u32 v[20:21], null, s12, s34, v[12:13]
	v_mad_co_u64_u32 v[22:23], null, s10, s34, v[8:9]
	;; [unrolled: 1-line block ×3, first 2 shown]
	s_mul_i32 s6, s11, s34
	s_mul_u64 s[4:5], s[26:27], s[34:35]
	s_mov_b32 s51, s42
	s_wait_alu 0xfffe
	s_lshl_b64 s[4:5], s[4:5], 2
	v_mad_co_u64_u32 v[26:27], null, s13, s34, v[21:22]
	v_add_nc_u32_e32 v23, s6, v23
	v_add_nc_u32_e32 v25, s6, v25
	s_wait_alu 0xfffe
	s_add_nc_u64 s[18:19], s[20:21], s[4:5]
	s_delay_alu instid0(VALU_DEP_3)
	v_dual_mov_b32 v21, v26 :: v_dual_mov_b32 v26, v47
	s_wait_kmcnt 0x0
	s_lshl_b32 s50, s9, 5
	s_branch .LBB1_7
.LBB1_6:                                ;   in Loop: Header=BB1_7 Depth=2
	s_wait_alu 0xfffe
	s_or_b32 exec_lo, exec_lo, s4
	v_add_nc_u32_e32 v26, s50, v26
	s_add_co_i32 s51, s9, s51
	s_wait_alu 0xfffe
	s_cmp_gt_i32 s51, s43
	s_cbranch_scc1 .LBB1_3
.LBB1_7:                                ;   Parent Loop BB1_4 Depth=1
                                        ; =>  This Loop Header: Depth=2
                                        ;       Child Loop BB1_10 Depth 3
	v_lshl_add_u32 v52, s51, 5, v40
	v_dual_mov_b32 v56, 0 :: v_dual_mov_b32 v55, 0
	v_mov_b32_e32 v53, 0
	v_mov_b32_e32 v27, 0
	s_delay_alu instid0(VALU_DEP_4)
	v_ashrrev_i32_e32 v54, 31, v52
	s_and_not1_b32 vcc_lo, exec_lo, s46
	s_wait_alu 0xfffe
	s_cbranch_vccnz .LBB1_46
; %bb.8:                                ;   in Loop: Header=BB1_7 Depth=2
	v_ashrrev_i32_e32 v27, 31, v26
	v_mad_co_u64_u32 v[28:29], null, s14, v26, v[20:21]
	v_mul_lo_u32 v38, s15, v26
	v_mov_b32_e32 v33, v25
	s_delay_alu instid0(VALU_DEP_4) | instskip(SKIP_3) | instid1(VALU_DEP_4)
	v_lshlrev_b64_e32 v[30:31], 2, v[26:27]
	v_mul_lo_u32 v39, s14, v27
	v_dual_mov_b32 v35, v23 :: v_dual_mov_b32 v56, 0
	v_dual_mov_b32 v27, 0 :: v_dual_mov_b32 v32, v24
	v_add_co_u32 v30, vcc_lo, v30, 64
	s_wait_alu 0xfffd
	v_add_co_ci_u32_e64 v31, null, 0, v31, vcc_lo
	v_sub_co_u32 v36, vcc_lo, s49, v52
	s_delay_alu instid0(VALU_DEP_3) | instskip(NEXT) | instid1(VALU_DEP_3)
	v_mul_lo_u32 v55, s17, v30
	v_mul_lo_u32 v53, s16, v31
	v_mad_co_u64_u32 v[30:31], null, s16, v30, v[20:21]
	s_wait_alu 0xfffd
	v_sub_co_ci_u32_e64 v37, null, s48, v54, vcc_lo
	v_mov_b32_e32 v34, v22
	v_add3_u32 v29, v38, v29, v39
	s_mov_b64 s[28:29], 0
	s_delay_alu instid0(VALU_DEP_3)
	v_cmp_lt_i64_e64 s4, 16, v[36:37]
	v_add3_u32 v31, v55, v31, v53
	v_mov_b32_e32 v53, 0
	v_mov_b32_e32 v55, 0
	v_cmp_lt_i64_e32 vcc_lo, 0, v[36:37]
	s_branch .LBB1_10
.LBB1_9:                                ;   in Loop: Header=BB1_10 Depth=3
	s_wait_alu 0xfffe
	s_or_b32 exec_lo, exec_lo, s5
	s_wait_dscnt 0x0
	s_barrier_signal -1
	s_barrier_wait -1
	global_inv scope:SCOPE_SE
	ds_load_b128 v[36:39], v44
	ds_load_b128 v[57:60], v44 offset:16
	ds_load_b128 v[61:64], v44 offset:32
	;; [unrolled: 1-line block ×3, first 2 shown]
	ds_load_2addr_b32 v[73:74], v43 offset1:16
	ds_load_b128 v[69:72], v44 offset:2048
	v_add_co_u32 v28, s5, 0x80, v28
	s_wait_alu 0xf1ff
	v_add_co_ci_u32_e64 v29, null, 0, v29, s5
	v_add_co_u32 v34, s5, v34, s38
	s_wait_alu 0xf1ff
	v_add_co_ci_u32_e64 v35, null, s39, v35, s5
	;; [unrolled: 3-line block ×3, first 2 shown]
	v_add_co_u32 v32, s5, v32, s38
	s_add_nc_u64 s[28:29], s[28:29], 32
	v_add_co_ci_u32_e64 v33, null, s39, v33, s5
	s_wait_alu 0xfffe
	s_sub_co_i32 s5, s28, 32
	s_wait_dscnt 0x0
	v_dual_fmac_f32 v56, v73, v36 :: v_dual_fmac_f32 v27, v74, v69
	v_fmac_f32_e32 v55, v74, v36
	v_fmac_f32_e32 v53, v73, v69
	ds_load_2addr_b32 v[73:74], v43 offset0:32 offset1:48
	s_wait_alu 0xfffe
	s_cmp_ge_i32 s5, s45
	s_wait_dscnt 0x0
	v_fmac_f32_e32 v56, v73, v37
	v_fmac_f32_e32 v55, v74, v37
	ds_load_2addr_b32 v[36:37], v43 offset0:64 offset1:80
	v_fmac_f32_e32 v27, v74, v70
	s_wait_dscnt 0x0
	v_fmac_f32_e32 v56, v36, v38
	v_fmac_f32_e32 v53, v73, v70
	;; [unrolled: 1-line block ×4, first 2 shown]
	ds_load_2addr_b32 v[69:70], v43 offset0:128 offset1:144
	v_fmac_f32_e32 v53, v36, v71
	ds_load_2addr_b32 v[36:37], v43 offset0:96 offset1:112
	s_wait_dscnt 0x0
	v_fmac_f32_e32 v56, v36, v39
	v_fmac_f32_e32 v55, v37, v39
	;; [unrolled: 1-line block ×4, first 2 shown]
	ds_load_b128 v[36:39], v44 offset:2064
	v_fmac_f32_e32 v56, v69, v57
	v_fmac_f32_e32 v55, v70, v57
	s_wait_dscnt 0x0
	v_fmac_f32_e32 v53, v69, v36
	v_fmac_f32_e32 v27, v70, v36
	ds_load_2addr_b32 v[69:70], v43 offset0:160 offset1:176
	s_wait_dscnt 0x0
	v_fmac_f32_e32 v53, v69, v37
	v_fmac_f32_e32 v27, v70, v37
	ds_load_2addr_b32 v[36:37], v43 offset0:192 offset1:208
	v_fmac_f32_e32 v56, v69, v58
	v_fmac_f32_e32 v55, v70, v58
	ds_load_2addr_b32 v[57:58], v49 offset1:16
	s_wait_dscnt 0x1
	v_fmac_f32_e32 v56, v36, v59
	v_fmac_f32_e32 v55, v37, v59
	v_fmac_f32_e32 v53, v36, v38
	v_fmac_f32_e32 v27, v37, v38
	ds_load_2addr_b32 v[36:37], v43 offset0:224 offset1:240
	s_wait_dscnt 0x0
	v_fmac_f32_e32 v56, v36, v60
	v_fmac_f32_e32 v55, v37, v60
	v_fmac_f32_e32 v53, v36, v39
	v_fmac_f32_e32 v27, v37, v39
	ds_load_b128 v[36:39], v44 offset:2080
	v_fmac_f32_e32 v56, v57, v61
	v_fmac_f32_e32 v55, v58, v61
	s_wait_dscnt 0x0
	v_fmac_f32_e32 v53, v57, v36
	v_fmac_f32_e32 v27, v58, v36
	ds_load_2addr_b32 v[57:58], v49 offset0:32 offset1:48
	s_wait_dscnt 0x0
	v_fmac_f32_e32 v53, v57, v37
	v_fmac_f32_e32 v27, v58, v37
	ds_load_2addr_b32 v[36:37], v49 offset0:64 offset1:80
	v_fmac_f32_e32 v56, v57, v62
	v_fmac_f32_e32 v55, v58, v62
	ds_load_2addr_b32 v[57:58], v49 offset0:128 offset1:144
	s_wait_dscnt 0x1
	v_fmac_f32_e32 v56, v36, v63
	v_fmac_f32_e32 v55, v37, v63
	;; [unrolled: 1-line block ×4, first 2 shown]
	ds_load_2addr_b32 v[36:37], v49 offset0:96 offset1:112
	s_wait_dscnt 0x0
	v_fmac_f32_e32 v56, v36, v64
	v_fmac_f32_e32 v55, v37, v64
	;; [unrolled: 1-line block ×4, first 2 shown]
	ds_load_b128 v[36:39], v44 offset:2096
	v_fmac_f32_e32 v56, v57, v65
	v_fmac_f32_e32 v55, v58, v65
	s_wait_dscnt 0x0
	v_fmac_f32_e32 v53, v57, v36
	v_fmac_f32_e32 v27, v58, v36
	ds_load_2addr_b32 v[57:58], v49 offset0:160 offset1:176
	s_wait_dscnt 0x0
	v_fmac_f32_e32 v53, v57, v37
	v_fmac_f32_e32 v27, v58, v37
	ds_load_2addr_b32 v[36:37], v49 offset0:192 offset1:208
	v_fmac_f32_e32 v56, v57, v66
	s_wait_dscnt 0x0
	s_delay_alu instid0(VALU_DEP_1) | instskip(NEXT) | instid1(VALU_DEP_1)
	v_dual_fmac_f32 v55, v58, v66 :: v_dual_fmac_f32 v56, v36, v67
	v_fmac_f32_e32 v55, v37, v67
	v_fmac_f32_e32 v53, v36, v38
	;; [unrolled: 1-line block ×3, first 2 shown]
	ds_load_2addr_b32 v[36:37], v49 offset0:224 offset1:240
	s_wait_dscnt 0x0
	v_fmac_f32_e32 v56, v36, v68
	v_fmac_f32_e32 v55, v37, v68
	;; [unrolled: 1-line block ×4, first 2 shown]
	ds_load_b128 v[36:39], v44 offset:64
	ds_load_2addr_b32 v[61:62], v50 offset1:16
	ds_load_b128 v[57:60], v44 offset:2112
	s_wait_dscnt 0x1
	v_fmac_f32_e32 v56, v61, v36
	v_fmac_f32_e32 v55, v62, v36
	s_wait_dscnt 0x0
	v_fmac_f32_e32 v53, v61, v57
	v_fmac_f32_e32 v27, v62, v57
	ds_load_2addr_b32 v[61:62], v50 offset0:32 offset1:48
	s_wait_dscnt 0x0
	v_fmac_f32_e32 v56, v61, v37
	v_fmac_f32_e32 v55, v62, v37
	ds_load_2addr_b32 v[36:37], v50 offset0:64 offset1:80
	v_fmac_f32_e32 v53, v61, v58
	v_fmac_f32_e32 v27, v62, v58
	s_wait_dscnt 0x0
	v_fmac_f32_e32 v56, v36, v38
	v_fmac_f32_e32 v55, v37, v38
	;; [unrolled: 1-line block ×4, first 2 shown]
	ds_load_2addr_b32 v[36:37], v50 offset0:96 offset1:112
	s_wait_dscnt 0x0
	v_fmac_f32_e32 v56, v36, v39
	v_fmac_f32_e32 v55, v37, v39
	;; [unrolled: 1-line block ×4, first 2 shown]
	ds_load_b128 v[36:39], v44 offset:80
	ds_load_2addr_b32 v[61:62], v50 offset0:128 offset1:144
	ds_load_b128 v[57:60], v44 offset:2128
	s_wait_dscnt 0x1
	v_fmac_f32_e32 v56, v61, v36
	v_fmac_f32_e32 v55, v62, v36
	s_wait_dscnt 0x0
	v_fmac_f32_e32 v53, v61, v57
	v_fmac_f32_e32 v27, v62, v57
	ds_load_2addr_b32 v[61:62], v50 offset0:160 offset1:176
	s_wait_dscnt 0x0
	v_fmac_f32_e32 v56, v61, v37
	v_fmac_f32_e32 v55, v62, v37
	ds_load_2addr_b32 v[36:37], v50 offset0:192 offset1:208
	v_fmac_f32_e32 v53, v61, v58
	v_fmac_f32_e32 v27, v62, v58
	s_wait_dscnt 0x0
	v_fmac_f32_e32 v56, v36, v38
	v_fmac_f32_e32 v55, v37, v38
	;; [unrolled: 1-line block ×4, first 2 shown]
	ds_load_2addr_b32 v[36:37], v50 offset0:224 offset1:240
	s_wait_dscnt 0x0
	v_fmac_f32_e32 v56, v36, v39
	v_fmac_f32_e32 v55, v37, v39
	;; [unrolled: 1-line block ×4, first 2 shown]
	ds_load_b128 v[36:39], v44 offset:96
	ds_load_2addr_b32 v[61:62], v51 offset1:16
	ds_load_b128 v[57:60], v44 offset:2144
	s_wait_dscnt 0x1
	v_fmac_f32_e32 v56, v61, v36
	v_fmac_f32_e32 v55, v62, v36
	s_wait_dscnt 0x0
	v_fmac_f32_e32 v53, v61, v57
	v_fmac_f32_e32 v27, v62, v57
	ds_load_2addr_b32 v[61:62], v51 offset0:32 offset1:48
	s_wait_dscnt 0x0
	v_fmac_f32_e32 v56, v61, v37
	v_fmac_f32_e32 v55, v62, v37
	ds_load_2addr_b32 v[36:37], v51 offset0:64 offset1:80
	v_fmac_f32_e32 v53, v61, v58
	v_fmac_f32_e32 v27, v62, v58
	s_wait_dscnt 0x0
	v_fmac_f32_e32 v56, v36, v38
	v_fmac_f32_e32 v55, v37, v38
	;; [unrolled: 1-line block ×4, first 2 shown]
	ds_load_2addr_b32 v[36:37], v51 offset0:96 offset1:112
	s_wait_dscnt 0x0
	v_fmac_f32_e32 v56, v36, v39
	v_fmac_f32_e32 v55, v37, v39
	;; [unrolled: 1-line block ×4, first 2 shown]
	ds_load_b128 v[36:39], v44 offset:112
	ds_load_2addr_b32 v[61:62], v51 offset0:128 offset1:144
	ds_load_b128 v[57:60], v44 offset:2160
	s_wait_dscnt 0x1
	v_fmac_f32_e32 v56, v61, v36
	v_fmac_f32_e32 v55, v62, v36
	s_wait_dscnt 0x0
	v_fmac_f32_e32 v53, v61, v57
	v_fmac_f32_e32 v27, v62, v57
	ds_load_2addr_b32 v[61:62], v51 offset0:160 offset1:176
	s_wait_dscnt 0x0
	v_fmac_f32_e32 v56, v61, v37
	v_fmac_f32_e32 v55, v62, v37
	ds_load_2addr_b32 v[36:37], v51 offset0:192 offset1:208
	v_fmac_f32_e32 v53, v61, v58
	v_fmac_f32_e32 v27, v62, v58
	s_wait_dscnt 0x0
	v_fmac_f32_e32 v56, v36, v38
	v_fmac_f32_e32 v55, v37, v38
	;; [unrolled: 1-line block ×4, first 2 shown]
	ds_load_2addr_b32 v[36:37], v51 offset0:224 offset1:240
	s_wait_loadcnt_dscnt 0x0
	s_barrier_signal -1
	s_barrier_wait -1
	global_inv scope:SCOPE_SE
	v_fmac_f32_e32 v56, v36, v39
	v_fmac_f32_e32 v55, v37, v39
	;; [unrolled: 1-line block ×4, first 2 shown]
	s_cbranch_scc1 .LBB1_46
.LBB1_10:                               ;   Parent Loop BB1_4 Depth=1
                                        ;     Parent Loop BB1_7 Depth=2
                                        ; =>    This Inner Loop Header: Depth=3
	s_wait_alu 0xfffe
	v_add_co_u32 v36, s5, v40, s28
	s_wait_alu 0xf1ff
	v_add_co_ci_u32_e64 v37, null, 0, s29, s5
	v_cmp_eq_u64_e64 s7, s[28:29], v[4:5]
                                        ; implicit-def: $vgpr57
	s_delay_alu instid0(VALU_DEP_2)
	v_cmp_le_i64_e64 s6, s[36:37], v[36:37]
	v_cmp_gt_i64_e64 s5, v[36:37], v[0:1]
	s_and_b32 s52, s47, s7
	v_add_co_u32 v38, s7, v32, v14
	s_wait_alu 0xf1ff
	v_add_co_ci_u32_e64 v39, null, v33, v15, s7
	s_or_b32 s8, s6, s5
	s_wait_alu 0xfffe
	s_or_b32 s7, s8, s52
	s_wait_alu 0xfffe
	s_nor_b32 s7, s0, s7
	s_wait_alu 0xfffe
	s_and_saveexec_b32 s8, s7
	s_wait_alu 0xfffe
	s_xor_b32 s7, exec_lo, s8
	s_cbranch_execz .LBB1_12
; %bb.11:                               ;   in Loop: Header=BB1_10 Depth=3
	global_load_b32 v57, v[38:39], off
.LBB1_12:                               ;   in Loop: Header=BB1_10 Depth=3
	s_wait_alu 0xfffe
	s_and_not1_saveexec_b32 s7, s7
	s_cbranch_execz .LBB1_14
; %bb.13:                               ;   in Loop: Header=BB1_10 Depth=3
	s_wait_loadcnt 0x0
	v_cndmask_b32_e64 v57, 0, 1.0, s52
.LBB1_14:                               ;   in Loop: Header=BB1_10 Depth=3
	s_wait_alu 0xfffe
	s_or_b32 exec_lo, exec_lo, s7
	v_cmp_eq_u64_e64 s7, s[28:29], v[6:7]
	v_cmp_lt_i64_e64 s8, v[2:3], v[36:37]
	s_wait_loadcnt 0x0
	ds_store_b32 v45, v57
	s_and_b32 s7, s47, s7
	s_or_b32 s6, s6, s8
	s_wait_alu 0xfffe
	s_or_b32 s6, s6, s7
	s_wait_alu 0xfffe
	s_nor_b32 s6, s1, s6
	s_wait_alu 0xfffe
	s_and_saveexec_b32 s8, s6
	s_wait_alu 0xfffe
	s_xor_b32 s6, exec_lo, s8
	s_cbranch_execz .LBB1_16
; %bb.15:                               ;   in Loop: Header=BB1_10 Depth=3
	global_load_b32 v38, v[38:39], off offset:64
	s_wait_loadcnt 0x0
	ds_store_b32 v45, v38 offset:64
.LBB1_16:                               ;   in Loop: Header=BB1_10 Depth=3
	s_wait_alu 0xfffe
	s_and_not1_saveexec_b32 s6, s6
	s_cbranch_execz .LBB1_22
; %bb.17:                               ;   in Loop: Header=BB1_10 Depth=3
	s_xor_b32 s7, s7, -1
	s_wait_alu 0xfffe
	s_and_saveexec_b32 s8, s7
	s_wait_alu 0xfffe
	s_xor_b32 s7, exec_lo, s8
; %bb.18:                               ;   in Loop: Header=BB1_10 Depth=3
	ds_store_b32 v45, v42 offset:64
; %bb.19:                               ;   in Loop: Header=BB1_10 Depth=3
	s_wait_alu 0xfffe
	s_and_not1_saveexec_b32 s7, s7
; %bb.20:                               ;   in Loop: Header=BB1_10 Depth=3
	ds_store_b32 v45, v48 offset:64
; %bb.21:                               ;   in Loop: Header=BB1_10 Depth=3
	s_wait_alu 0xfffe
	s_or_b32 exec_lo, exec_lo, s7
.LBB1_22:                               ;   in Loop: Header=BB1_10 Depth=3
	s_wait_alu 0xfffe
	s_or_b32 exec_lo, exec_lo, s6
	v_add_co_u32 v36, s6, v36, 16
	s_wait_alu 0xf1ff
	v_add_co_ci_u32_e64 v37, null, 0, v37, s6
	v_cmp_eq_u64_e64 s7, s[28:29], v[10:11]
                                        ; implicit-def: $vgpr38
	s_delay_alu instid0(VALU_DEP_2)
	v_cmp_le_i64_e64 s6, s[36:37], v[36:37]
	v_cmp_gt_i64_e64 s8, v[36:37], v[0:1]
	s_and_b32 s53, s47, s7
	v_add_co_u32 v36, s7, v34, v14
	s_wait_alu 0xf1ff
	v_add_co_ci_u32_e64 v37, null, v35, v15, s7
	s_or_b32 s8, s6, s8
	s_wait_alu 0xfffe
	s_or_b32 s7, s8, s53
	s_wait_alu 0xfffe
	s_nor_b32 s7, s0, s7
	s_wait_alu 0xfffe
	s_and_saveexec_b32 s8, s7
	s_wait_alu 0xfffe
	s_xor_b32 s7, exec_lo, s8
	s_cbranch_execz .LBB1_24
; %bb.23:                               ;   in Loop: Header=BB1_10 Depth=3
	global_load_b32 v38, v[36:37], off
.LBB1_24:                               ;   in Loop: Header=BB1_10 Depth=3
	s_wait_alu 0xfffe
	s_and_not1_saveexec_b32 s7, s7
	s_cbranch_execz .LBB1_26
; %bb.25:                               ;   in Loop: Header=BB1_10 Depth=3
	s_wait_loadcnt 0x0
	v_cndmask_b32_e64 v38, 0, 1.0, s53
.LBB1_26:                               ;   in Loop: Header=BB1_10 Depth=3
	s_wait_alu 0xfffe
	s_or_b32 exec_lo, exec_lo, s7
	s_or_b32 s5, s6, s5
	s_wait_loadcnt 0x0
	ds_store_b32 v45, v38 offset:2048
	s_wait_alu 0xfffe
	s_or_b32 s5, s5, s52
	s_wait_alu 0xfffe
	s_nor_b32 s5, s1, s5
	s_wait_alu 0xfffe
	s_and_saveexec_b32 s6, s5
	s_wait_alu 0xfffe
	s_xor_b32 s5, exec_lo, s6
	s_cbranch_execz .LBB1_28
; %bb.27:                               ;   in Loop: Header=BB1_10 Depth=3
	global_load_b32 v36, v[36:37], off offset:64
	s_wait_loadcnt 0x0
	ds_store_b32 v45, v36 offset:2112
.LBB1_28:                               ;   in Loop: Header=BB1_10 Depth=3
	s_wait_alu 0xfffe
	s_and_not1_saveexec_b32 s5, s5
	s_cbranch_execz .LBB1_34
; %bb.29:                               ;   in Loop: Header=BB1_10 Depth=3
	s_xor_b32 s6, s52, -1
	s_wait_alu 0xfffe
	s_and_saveexec_b32 s7, s6
	s_wait_alu 0xfffe
	s_xor_b32 s6, exec_lo, s7
; %bb.30:                               ;   in Loop: Header=BB1_10 Depth=3
	ds_store_b32 v45, v42 offset:2112
; %bb.31:                               ;   in Loop: Header=BB1_10 Depth=3
	s_wait_alu 0xfffe
	s_and_not1_saveexec_b32 s6, s6
; %bb.32:                               ;   in Loop: Header=BB1_10 Depth=3
	ds_store_b32 v45, v48 offset:2112
; %bb.33:                               ;   in Loop: Header=BB1_10 Depth=3
	s_wait_alu 0xfffe
	s_or_b32 exec_lo, exec_lo, s6
.LBB1_34:                               ;   in Loop: Header=BB1_10 Depth=3
	s_wait_alu 0xfffe
	s_or_b32 exec_lo, exec_lo, s5
	v_add_co_u32 v36, s5, v41, s28
	s_wait_alu 0xf1ff
	v_add_co_ci_u32_e64 v37, null, 0, s29, s5
	v_mov_b32_e32 v38, 0
	s_delay_alu instid0(VALU_DEP_2)
	v_cmp_gt_i64_e64 s5, s[36:37], v[36:37]
	s_and_b32 s7, vcc_lo, s5
	s_wait_alu 0xfffe
	s_and_saveexec_b32 s6, s7
	s_cbranch_execz .LBB1_36
; %bb.35:                               ;   in Loop: Header=BB1_10 Depth=3
	global_load_b32 v38, v[28:29], off offset:-64
.LBB1_36:                               ;   in Loop: Header=BB1_10 Depth=3
	s_wait_alu 0xfffe
	s_or_b32 exec_lo, exec_lo, s6
	v_cmp_gt_i64_e64 s6, s[40:41], v[36:37]
	s_wait_loadcnt 0x0
	ds_store_b32 v46, v38
	s_and_b32 s7, vcc_lo, s6
	s_wait_alu 0xfffe
	s_xor_b32 s7, s7, -1
	s_wait_alu 0xfffe
	s_and_saveexec_b32 s8, s7
	s_wait_alu 0xfffe
	s_xor_b32 s7, exec_lo, s8
; %bb.37:                               ;   in Loop: Header=BB1_10 Depth=3
	ds_store_b32 v46, v42 offset:64
; %bb.38:                               ;   in Loop: Header=BB1_10 Depth=3
	s_wait_alu 0xfffe
	s_and_not1_saveexec_b32 s7, s7
	s_cbranch_execz .LBB1_40
; %bb.39:                               ;   in Loop: Header=BB1_10 Depth=3
	global_load_b32 v36, v[28:29], off
	s_wait_loadcnt 0x0
	ds_store_b32 v46, v36 offset:64
.LBB1_40:                               ;   in Loop: Header=BB1_10 Depth=3
	s_wait_alu 0xfffe
	s_or_b32 exec_lo, exec_lo, s7
	v_mov_b32_e32 v36, 0
	s_and_b32 s7, s4, s5
	s_wait_alu 0xfffe
	s_and_saveexec_b32 s5, s7
	s_cbranch_execz .LBB1_42
; %bb.41:                               ;   in Loop: Header=BB1_10 Depth=3
	global_load_b32 v36, v[30:31], off offset:-64
.LBB1_42:                               ;   in Loop: Header=BB1_10 Depth=3
	s_wait_alu 0xfffe
	s_or_b32 exec_lo, exec_lo, s5
	s_and_b32 s5, s4, s6
	s_wait_loadcnt 0x0
	ds_store_b32 v46, v36 offset:2048
	s_wait_alu 0xfffe
	s_xor_b32 s5, s5, -1
	s_wait_alu 0xfffe
	s_and_saveexec_b32 s6, s5
	s_wait_alu 0xfffe
	s_xor_b32 s5, exec_lo, s6
; %bb.43:                               ;   in Loop: Header=BB1_10 Depth=3
	ds_store_b32 v46, v42 offset:2112
; %bb.44:                               ;   in Loop: Header=BB1_10 Depth=3
	s_wait_alu 0xfffe
	s_and_not1_saveexec_b32 s5, s5
	s_cbranch_execz .LBB1_9
; %bb.45:                               ;   in Loop: Header=BB1_10 Depth=3
	global_load_b32 v36, v[30:31], off
	s_wait_loadcnt 0x0
	ds_store_b32 v46, v36 offset:2112
	s_branch .LBB1_9
.LBB1_46:                               ;   in Loop: Header=BB1_7 Depth=2
	v_mul_lo_u32 v30, s25, v52
	v_mul_lo_u32 v31, s24, v54
	v_mad_co_u64_u32 v[28:29], null, s24, v52, 0
	v_cmp_gt_i32_e32 vcc_lo, s30, v52
	s_delay_alu instid0(VALU_DEP_2) | instskip(NEXT) | instid1(VALU_DEP_1)
	v_add3_u32 v29, v29, v31, v30
	v_lshlrev_b64_e32 v[28:29], 2, v[28:29]
	s_delay_alu instid0(VALU_DEP_1) | instskip(SKIP_1) | instid1(VALU_DEP_2)
	v_add_co_u32 v28, s4, s18, v28
	s_wait_alu 0xf1ff
	v_add_co_ci_u32_e64 v29, null, s19, v29, s4
	s_and_b32 s4, s2, vcc_lo
	s_wait_alu 0xfffe
	s_and_saveexec_b32 s5, s4
	s_cbranch_execz .LBB1_48
; %bb.47:                               ;   in Loop: Header=BB1_7 Depth=2
	v_add_co_u32 v30, s4, v28, v14
	s_wait_alu 0xf1ff
	v_add_co_ci_u32_e64 v31, null, v29, v15, s4
	global_load_b32 v32, v[30:31], off
	s_wait_loadcnt 0x0
	v_fmac_f32_e32 v32, s31, v56
	global_store_b32 v[30:31], v32, off
.LBB1_48:                               ;   in Loop: Header=BB1_7 Depth=2
	s_wait_alu 0xfffe
	s_or_b32 exec_lo, exec_lo, s5
	s_and_b32 s5, s3, vcc_lo
	s_wait_alu 0xfffe
	s_and_saveexec_b32 s4, s5
	s_cbranch_execz .LBB1_50
; %bb.49:                               ;   in Loop: Header=BB1_7 Depth=2
	v_add_co_u32 v28, vcc_lo, v28, v18
	s_wait_alu 0xfffd
	v_add_co_ci_u32_e64 v29, null, v29, v19, vcc_lo
	global_load_b32 v30, v[28:29], off
	s_wait_loadcnt 0x0
	v_fmac_f32_e32 v30, s31, v55
	global_store_b32 v[28:29], v30, off
.LBB1_50:                               ;   in Loop: Header=BB1_7 Depth=2
	s_wait_alu 0xfffe
	s_or_b32 exec_lo, exec_lo, s4
	v_add_nc_u32_e32 v30, 16, v52
	s_delay_alu instid0(VALU_DEP_1) | instskip(SKIP_3) | instid1(VALU_DEP_4)
	v_ashrrev_i32_e32 v31, 31, v30
	v_mul_lo_u32 v32, s25, v30
	v_mad_co_u64_u32 v[28:29], null, s24, v30, 0
	v_cmp_gt_i32_e32 vcc_lo, s30, v30
	v_mul_lo_u32 v31, s24, v31
	s_delay_alu instid0(VALU_DEP_1) | instskip(NEXT) | instid1(VALU_DEP_1)
	v_add3_u32 v29, v29, v31, v32
	v_lshlrev_b64_e32 v[28:29], 2, v[28:29]
	s_delay_alu instid0(VALU_DEP_1) | instskip(SKIP_1) | instid1(VALU_DEP_2)
	v_add_co_u32 v28, s4, s18, v28
	s_wait_alu 0xf1ff
	v_add_co_ci_u32_e64 v29, null, s19, v29, s4
	s_and_b32 s4, s2, vcc_lo
	s_wait_alu 0xfffe
	s_and_saveexec_b32 s5, s4
	s_cbranch_execz .LBB1_52
; %bb.51:                               ;   in Loop: Header=BB1_7 Depth=2
	v_add_co_u32 v30, s4, v28, v14
	s_wait_alu 0xf1ff
	v_add_co_ci_u32_e64 v31, null, v29, v15, s4
	global_load_b32 v32, v[30:31], off
	s_wait_loadcnt 0x0
	v_fmac_f32_e32 v32, s31, v53
	global_store_b32 v[30:31], v32, off
.LBB1_52:                               ;   in Loop: Header=BB1_7 Depth=2
	s_wait_alu 0xfffe
	s_or_b32 exec_lo, exec_lo, s5
	s_and_b32 s5, s3, vcc_lo
	s_wait_alu 0xfffe
	s_and_saveexec_b32 s4, s5
	s_cbranch_execz .LBB1_6
; %bb.53:                               ;   in Loop: Header=BB1_7 Depth=2
	v_add_co_u32 v28, vcc_lo, v28, v18
	s_wait_alu 0xfffd
	v_add_co_ci_u32_e64 v29, null, v29, v19, vcc_lo
	global_load_b32 v30, v[28:29], off
	s_wait_loadcnt 0x0
	v_fmac_f32_e32 v30, s31, v27
	global_store_b32 v[28:29], v30, off
	s_branch .LBB1_6
.LBB1_54:
	s_endpgm
	.section	.rodata,"a",@progbits
	.p2align	6, 0x0
	.amdhsa_kernel _ZL30rocblas_trmm_outofplace_kernelIfLi32ELi2ELb1ELb0ELb0ELb0EfKffEv17rocblas_diagonal_iiT6_lPT7_lllS4_lllPT8_llli
		.amdhsa_group_segment_fixed_size 8192
		.amdhsa_private_segment_fixed_size 0
		.amdhsa_kernarg_size 384
		.amdhsa_user_sgpr_count 2
		.amdhsa_user_sgpr_dispatch_ptr 0
		.amdhsa_user_sgpr_queue_ptr 0
		.amdhsa_user_sgpr_kernarg_segment_ptr 1
		.amdhsa_user_sgpr_dispatch_id 0
		.amdhsa_user_sgpr_private_segment_size 0
		.amdhsa_wavefront_size32 1
		.amdhsa_uses_dynamic_stack 0
		.amdhsa_enable_private_segment 0
		.amdhsa_system_sgpr_workgroup_id_x 1
		.amdhsa_system_sgpr_workgroup_id_y 1
		.amdhsa_system_sgpr_workgroup_id_z 1
		.amdhsa_system_sgpr_workgroup_info 0
		.amdhsa_system_vgpr_workitem_id 1
		.amdhsa_next_free_vgpr 75
		.amdhsa_next_free_sgpr 54
		.amdhsa_reserve_vcc 1
		.amdhsa_float_round_mode_32 0
		.amdhsa_float_round_mode_16_64 0
		.amdhsa_float_denorm_mode_32 3
		.amdhsa_float_denorm_mode_16_64 3
		.amdhsa_fp16_overflow 0
		.amdhsa_workgroup_processor_mode 1
		.amdhsa_memory_ordered 1
		.amdhsa_forward_progress 1
		.amdhsa_inst_pref_size 28
		.amdhsa_round_robin_scheduling 0
		.amdhsa_exception_fp_ieee_invalid_op 0
		.amdhsa_exception_fp_denorm_src 0
		.amdhsa_exception_fp_ieee_div_zero 0
		.amdhsa_exception_fp_ieee_overflow 0
		.amdhsa_exception_fp_ieee_underflow 0
		.amdhsa_exception_fp_ieee_inexact 0
		.amdhsa_exception_int_div_zero 0
	.end_amdhsa_kernel
	.section	.text._ZL30rocblas_trmm_outofplace_kernelIfLi32ELi2ELb1ELb0ELb0ELb0EfKffEv17rocblas_diagonal_iiT6_lPT7_lllS4_lllPT8_llli,"axG",@progbits,_ZL30rocblas_trmm_outofplace_kernelIfLi32ELi2ELb1ELb0ELb0ELb0EfKffEv17rocblas_diagonal_iiT6_lPT7_lllS4_lllPT8_llli,comdat
.Lfunc_end1:
	.size	_ZL30rocblas_trmm_outofplace_kernelIfLi32ELi2ELb1ELb0ELb0ELb0EfKffEv17rocblas_diagonal_iiT6_lPT7_lllS4_lllPT8_llli, .Lfunc_end1-_ZL30rocblas_trmm_outofplace_kernelIfLi32ELi2ELb1ELb0ELb0ELb0EfKffEv17rocblas_diagonal_iiT6_lPT7_lllS4_lllPT8_llli
                                        ; -- End function
	.set _ZL30rocblas_trmm_outofplace_kernelIfLi32ELi2ELb1ELb0ELb0ELb0EfKffEv17rocblas_diagonal_iiT6_lPT7_lllS4_lllPT8_llli.num_vgpr, 75
	.set _ZL30rocblas_trmm_outofplace_kernelIfLi32ELi2ELb1ELb0ELb0ELb0EfKffEv17rocblas_diagonal_iiT6_lPT7_lllS4_lllPT8_llli.num_agpr, 0
	.set _ZL30rocblas_trmm_outofplace_kernelIfLi32ELi2ELb1ELb0ELb0ELb0EfKffEv17rocblas_diagonal_iiT6_lPT7_lllS4_lllPT8_llli.numbered_sgpr, 54
	.set _ZL30rocblas_trmm_outofplace_kernelIfLi32ELi2ELb1ELb0ELb0ELb0EfKffEv17rocblas_diagonal_iiT6_lPT7_lllS4_lllPT8_llli.num_named_barrier, 0
	.set _ZL30rocblas_trmm_outofplace_kernelIfLi32ELi2ELb1ELb0ELb0ELb0EfKffEv17rocblas_diagonal_iiT6_lPT7_lllS4_lllPT8_llli.private_seg_size, 0
	.set _ZL30rocblas_trmm_outofplace_kernelIfLi32ELi2ELb1ELb0ELb0ELb0EfKffEv17rocblas_diagonal_iiT6_lPT7_lllS4_lllPT8_llli.uses_vcc, 1
	.set _ZL30rocblas_trmm_outofplace_kernelIfLi32ELi2ELb1ELb0ELb0ELb0EfKffEv17rocblas_diagonal_iiT6_lPT7_lllS4_lllPT8_llli.uses_flat_scratch, 0
	.set _ZL30rocblas_trmm_outofplace_kernelIfLi32ELi2ELb1ELb0ELb0ELb0EfKffEv17rocblas_diagonal_iiT6_lPT7_lllS4_lllPT8_llli.has_dyn_sized_stack, 0
	.set _ZL30rocblas_trmm_outofplace_kernelIfLi32ELi2ELb1ELb0ELb0ELb0EfKffEv17rocblas_diagonal_iiT6_lPT7_lllS4_lllPT8_llli.has_recursion, 0
	.set _ZL30rocblas_trmm_outofplace_kernelIfLi32ELi2ELb1ELb0ELb0ELb0EfKffEv17rocblas_diagonal_iiT6_lPT7_lllS4_lllPT8_llli.has_indirect_call, 0
	.section	.AMDGPU.csdata,"",@progbits
; Kernel info:
; codeLenInByte = 3504
; TotalNumSgprs: 56
; NumVgprs: 75
; ScratchSize: 0
; MemoryBound: 0
; FloatMode: 240
; IeeeMode: 1
; LDSByteSize: 8192 bytes/workgroup (compile time only)
; SGPRBlocks: 0
; VGPRBlocks: 9
; NumSGPRsForWavesPerEU: 56
; NumVGPRsForWavesPerEU: 75
; Occupancy: 16
; WaveLimiterHint : 0
; COMPUTE_PGM_RSRC2:SCRATCH_EN: 0
; COMPUTE_PGM_RSRC2:USER_SGPR: 2
; COMPUTE_PGM_RSRC2:TRAP_HANDLER: 0
; COMPUTE_PGM_RSRC2:TGID_X_EN: 1
; COMPUTE_PGM_RSRC2:TGID_Y_EN: 1
; COMPUTE_PGM_RSRC2:TGID_Z_EN: 1
; COMPUTE_PGM_RSRC2:TIDIG_COMP_CNT: 1
	.section	.text._ZL30rocblas_trmm_outofplace_kernelIfLi32ELi2ELb1ELb1ELb0ELb0EPKfS0_fEv17rocblas_diagonal_iiT6_lPT7_lllS5_lllPT8_llli,"axG",@progbits,_ZL30rocblas_trmm_outofplace_kernelIfLi32ELi2ELb1ELb1ELb0ELb0EPKfS0_fEv17rocblas_diagonal_iiT6_lPT7_lllS5_lllPT8_llli,comdat
	.globl	_ZL30rocblas_trmm_outofplace_kernelIfLi32ELi2ELb1ELb1ELb0ELb0EPKfS0_fEv17rocblas_diagonal_iiT6_lPT7_lllS5_lllPT8_llli ; -- Begin function _ZL30rocblas_trmm_outofplace_kernelIfLi32ELi2ELb1ELb1ELb0ELb0EPKfS0_fEv17rocblas_diagonal_iiT6_lPT7_lllS5_lllPT8_llli
	.p2align	8
	.type	_ZL30rocblas_trmm_outofplace_kernelIfLi32ELi2ELb1ELb1ELb0ELb0EPKfS0_fEv17rocblas_diagonal_iiT6_lPT7_lllS5_lllPT8_llli,@function
_ZL30rocblas_trmm_outofplace_kernelIfLi32ELi2ELb1ELb1ELb0ELb0EPKfS0_fEv17rocblas_diagonal_iiT6_lPT7_lllS5_lllPT8_llli: ; @_ZL30rocblas_trmm_outofplace_kernelIfLi32ELi2ELb1ELb1ELb0ELb0EPKfS0_fEv17rocblas_diagonal_iiT6_lPT7_lllS5_lllPT8_llli
; %bb.0:
	s_load_b32 s11, s[0:1], 0x80
	s_lshr_b32 s34, ttmp7, 16
	s_wait_kmcnt 0x0
	s_cmp_ge_u32 s34, s11
	s_cbranch_scc1 .LBB2_56
; %bb.1:
	s_clause 0x3
	s_load_b96 s[8:10], s[0:1], 0x0
	s_load_b256 s[36:43], s[0:1], 0x50
	s_load_b512 s[12:27], s[0:1], 0x10
	s_load_b128 s[28:31], s[0:1], 0x70
	s_add_nc_u64 s[44:45], s[0:1], 0x88
	v_bfe_u32 v38, v0, 10, 10
	v_dual_mov_b32 v44, 0 :: v_dual_and_b32 v1, 0x3ff, v0
	s_and_b32 s33, ttmp7, 0xffff
	s_delay_alu instid0(VALU_DEP_2) | instskip(NEXT) | instid1(VALU_DEP_2)
	v_dual_mov_b32 v45, 1.0 :: v_dual_lshlrev_b32 v0, 7, v38
	v_lshlrev_b32_e32 v39, 2, v1
	v_lshl_add_u32 v43, s33, 5, v38
	s_mov_b32 s35, 0
	s_delay_alu instid0(VALU_DEP_3) | instskip(NEXT) | instid1(VALU_DEP_3)
	v_add_nc_u32_e32 v40, 0x1000, v0
	v_add_nc_u32_e32 v41, v39, v0
	;; [unrolled: 1-line block ×5, first 2 shown]
	s_wait_kmcnt 0x0
	s_add_co_i32 s2, s10, -1
	v_add_nc_u32_e32 v42, v40, v39
	s_ashr_i32 s3, s2, 31
	s_mov_b32 s52, s10
	s_lshr_b32 s0, s3, 27
	s_delay_alu instid0(SALU_CYCLE_1)
	s_add_co_i32 s2, s2, s0
	s_lshl_b64 s[0:1], s[42:43], 2
	s_ashr_i32 s50, s2, 5
	s_mov_b32 s42, s9
	s_cmp_le_i32 s33, s50
	s_add_nc_u64 s[40:41], s[40:41], s[0:1]
	s_cselect_b32 s51, -1, 0
	s_lshl_b32 s2, ttmp9, 5
	s_delay_alu instid0(SALU_CYCLE_1) | instskip(SKIP_2) | instid1(SALU_CYCLE_1)
	v_add_nc_u32_e32 v2, s2, v1
	v_add_nc_u32_e32 v0, s2, v38
	s_sub_co_i32 s53, s9, s2
	s_cmp_gt_i32 s53, 0
	s_delay_alu instid0(VALU_DEP_2) | instskip(NEXT) | instid1(VALU_DEP_2)
	v_ashrrev_i32_e32 v3, 31, v2
	v_ashrrev_i32_e32 v1, 31, v0
	v_add_co_u32 v6, vcc_lo, v2, 16
	v_mul_lo_u32 v19, s21, v0
	s_delay_alu instid0(VALU_DEP_4)
	v_add_co_ci_u32_e64 v7, null, 0, v3, vcc_lo
	v_sub_co_u32 v8, vcc_lo, v2, v0
	v_lshlrev_b64_e32 v[12:13], 2, v[0:1]
	v_mul_lo_u32 v18, s20, v1
	v_mad_co_u64_u32 v[16:17], null, s20, v0, 0
	s_wait_alu 0xfffd
	v_sub_co_ci_u32_e64 v9, null, v3, v1, vcc_lo
	v_add_co_u32 v10, vcc_lo, v8, 16
	s_cselect_b32 s54, -1, 0
	s_wait_alu 0xfffd
	v_add_co_ci_u32_e64 v11, null, 0, v9, vcc_lo
	v_add_co_u32 v14, vcc_lo, v12, 64
	s_cmp_eq_u32 s8, 0x84
	s_wait_alu 0xfffd
	v_add_co_ci_u32_e64 v15, null, 0, v13, vcc_lo
	v_add3_u32 v17, v17, v18, v19
	s_cselect_b32 s55, -1, 0
	s_lshl_b64 s[4:5], s[18:19], 2
	s_delay_alu instid0(VALU_DEP_2)
	v_mul_lo_u32 v20, s20, v15
	s_add_nc_u64 s[4:5], s[16:17], s[4:5]
	v_mul_lo_u32 v21, s21, v14
	v_mad_co_u64_u32 v[12:13], null, s20, v14, s[4:5]
	v_lshlrev_b64_e32 v[18:19], 2, v[16:17]
	v_add_nc_u32_e32 v4, 16, v2
	v_add_co_u32 v14, vcc_lo, v8, -16
	s_ashr_i32 s43, s9, 31
	s_wait_alu 0xfffd
	v_add_co_ci_u32_e64 v15, null, -1, v9, vcc_lo
	v_add_co_u32 v18, vcc_lo, s4, v18
	v_cmp_le_i64_e64 s3, s[42:43], v[6:7]
	s_lshl_b64 s[6:7], s[26:27], 2
	v_lshlrev_b64_e32 v[16:17], 2, v[2:3]
	v_cmp_le_i32_e64 s0, s9, v2
	v_cmp_gt_i32_e64 s1, s9, v2
	v_cmp_gt_i32_e64 s2, s9, v4
	v_ashrrev_i32_e32 v5, 31, v4
	v_add3_u32 v13, v21, v13, v20
	s_wait_alu 0xfffd
	v_add_co_ci_u32_e64 v19, null, s5, v19, vcc_lo
	s_add_nc_u64 s[6:7], s[24:25], s[6:7]
	s_ashr_i32 s56, s10, 31
	s_lshl_b64 s[46:47], s[20:21], 7
	s_add_nc_u64 s[48:49], s[42:43], -16
	s_add_nc_u64 s[16:17], s[6:7], 64
	s_lshl_b64 s[18:19], s[38:39], 2
	s_lshl_b64 s[20:21], s[36:37], 2
	s_lshl_b64 s[22:23], s[22:23], 2
	s_branch .LBB2_4
.LBB2_2:                                ;   in Loop: Header=BB2_4 Depth=1
	s_add_co_i32 s34, s34, 0x10000
	s_wait_alu 0xfffe
	s_cmp_ge_u32 s34, s11
	s_cselect_b32 s4, -1, 0
.LBB2_3:                                ;   in Loop: Header=BB2_4 Depth=1
	s_wait_alu 0xfffe
	s_and_b32 vcc_lo, exec_lo, s4
	s_wait_alu 0xfffe
	s_cbranch_vccnz .LBB2_56
.LBB2_4:                                ; =>This Loop Header: Depth=1
                                        ;     Child Loop BB2_8 Depth 2
                                        ;       Child Loop BB2_11 Depth 3
	s_mul_u64 s[4:5], s[14:15], s[34:35]
	s_wait_alu 0xfffe
	s_lshl_b64 s[4:5], s[4:5], 2
	s_wait_alu 0xfffe
	s_add_nc_u64 s[4:5], s[12:13], s[4:5]
	global_load_b32 v49, v44, s[4:5]
	s_mov_b32 s4, -1
	s_wait_loadcnt 0x0
	v_cmp_eq_f32_e32 vcc_lo, 0, v49
	s_cbranch_vccnz .LBB2_3
; %bb.5:                                ;   in Loop: Header=BB2_4 Depth=1
	s_and_not1_b32 vcc_lo, exec_lo, s51
	s_wait_alu 0xfffe
	s_cbranch_vccnz .LBB2_2
; %bb.6:                                ;   in Loop: Header=BB2_4 Depth=1
	s_load_b32 s9, s[44:45], 0x4
	v_mad_co_u64_u32 v[20:21], null, s22, s34, v[12:13]
	v_mad_co_u64_u32 v[22:23], null, s22, s34, v[18:19]
	s_mul_i32 s8, s23, s34
	s_mul_u64 s[6:7], s[30:31], s[34:35]
	v_mov_b32_e32 v24, v43
	s_mul_u64 s[4:5], s[18:19], s[34:35]
	s_wait_alu 0xfffe
	v_add_nc_u32_e32 v21, s8, v21
	s_lshl_b64 s[6:7], s[6:7], 2
	v_add_nc_u32_e32 v23, s8, v23
	s_add_nc_u64 s[24:25], s[16:17], s[4:5]
	s_wait_alu 0xfffe
	s_add_nc_u64 s[26:27], s[40:41], s[6:7]
	s_mov_b32 s58, s33
	s_wait_kmcnt 0x0
	s_lshl_b32 s57, s9, 5
	s_branch .LBB2_8
.LBB2_7:                                ;   in Loop: Header=BB2_8 Depth=2
	s_wait_alu 0xfffe
	s_or_b32 exec_lo, exec_lo, s4
	v_add_nc_u32_e32 v24, s57, v24
	s_add_co_i32 s58, s9, s58
	s_wait_alu 0xfffe
	s_cmp_gt_i32 s58, s50
	s_cbranch_scc1 .LBB2_2
.LBB2_8:                                ;   Parent Loop BB2_4 Depth=1
                                        ; =>  This Loop Header: Depth=2
                                        ;       Child Loop BB2_11 Depth 3
	s_wait_alu 0xfffe
	v_lshl_add_u32 v50, s58, 5, v38
	s_and_not1_b32 vcc_lo, exec_lo, s54
	s_delay_alu instid0(VALU_DEP_1)
	v_ashrrev_i32_e32 v52, 31, v50
	s_wait_alu 0xfffe
	s_cbranch_vccnz .LBB2_47
; %bb.9:                                ;   in Loop: Header=BB2_8 Depth=2
	v_ashrrev_i32_e32 v25, 31, v24
	v_mad_co_u64_u32 v[26:27], null, s20, v24, s[24:25]
	v_mul_lo_u32 v36, s21, v24
	v_mov_b32_e32 v31, v23
	s_delay_alu instid0(VALU_DEP_4) | instskip(SKIP_3) | instid1(VALU_DEP_4)
	v_lshlrev_b64_e32 v[28:29], 2, v[24:25]
	v_mul_lo_u32 v37, s20, v25
	v_dual_mov_b32 v33, v21 :: v_dual_mov_b32 v54, 0
	v_dual_mov_b32 v25, 0 :: v_dual_mov_b32 v30, v22
	v_add_co_u32 v28, vcc_lo, v28, 64
	s_wait_alu 0xfffd
	v_add_co_ci_u32_e64 v29, null, 0, v29, vcc_lo
	v_sub_co_u32 v34, vcc_lo, s52, v50
	s_delay_alu instid0(VALU_DEP_3) | instskip(NEXT) | instid1(VALU_DEP_3)
	v_mul_lo_u32 v53, s37, v28
	v_mul_lo_u32 v51, s36, v29
	v_mad_co_u64_u32 v[28:29], null, s36, v28, s[24:25]
	s_wait_alu 0xfffd
	v_sub_co_ci_u32_e64 v35, null, s56, v52, vcc_lo
	v_mov_b32_e32 v32, v20
	v_add3_u32 v27, v36, v27, v37
	s_mov_b64 s[38:39], 0
	s_delay_alu instid0(VALU_DEP_3)
	v_cmp_lt_i64_e64 s4, 16, v[34:35]
	v_add3_u32 v29, v53, v29, v51
	v_mov_b32_e32 v51, 0
	v_mov_b32_e32 v53, 0
	v_cmp_lt_i64_e32 vcc_lo, 0, v[34:35]
	s_branch .LBB2_11
.LBB2_10:                               ;   in Loop: Header=BB2_11 Depth=3
	s_wait_alu 0xfffe
	s_or_b32 exec_lo, exec_lo, s5
	s_wait_dscnt 0x0
	s_barrier_signal -1
	s_barrier_wait -1
	global_inv scope:SCOPE_SE
	ds_load_b128 v[34:37], v40
	ds_load_b128 v[55:58], v40 offset:16
	ds_load_b128 v[59:62], v40 offset:32
	;; [unrolled: 1-line block ×3, first 2 shown]
	ds_load_2addr_b32 v[71:72], v39 offset1:16
	ds_load_b128 v[67:70], v40 offset:2048
	v_add_co_u32 v26, s5, 0x80, v26
	s_wait_alu 0xf1ff
	v_add_co_ci_u32_e64 v27, null, 0, v27, s5
	v_add_co_u32 v32, s5, v32, s46
	s_wait_alu 0xf1ff
	v_add_co_ci_u32_e64 v33, null, s47, v33, s5
	;; [unrolled: 3-line block ×4, first 2 shown]
	s_add_nc_u64 s[38:39], s[38:39], 32
	s_wait_dscnt 0x0
	v_dual_fmac_f32 v54, v71, v34 :: v_dual_fmac_f32 v25, v72, v67
	v_fmac_f32_e32 v53, v72, v34
	v_fmac_f32_e32 v51, v71, v67
	ds_load_2addr_b32 v[71:72], v39 offset0:32 offset1:48
	s_wait_alu 0xfffe
	s_cmp_ge_i32 s38, s53
	s_wait_dscnt 0x0
	v_fmac_f32_e32 v54, v71, v35
	v_fmac_f32_e32 v53, v72, v35
	ds_load_2addr_b32 v[34:35], v39 offset0:64 offset1:80
	v_fmac_f32_e32 v25, v72, v68
	s_wait_dscnt 0x0
	v_fmac_f32_e32 v54, v34, v36
	v_fmac_f32_e32 v51, v71, v68
	;; [unrolled: 1-line block ×4, first 2 shown]
	ds_load_2addr_b32 v[67:68], v39 offset0:128 offset1:144
	v_fmac_f32_e32 v51, v34, v69
	ds_load_2addr_b32 v[34:35], v39 offset0:96 offset1:112
	s_wait_dscnt 0x0
	v_fmac_f32_e32 v54, v34, v37
	v_fmac_f32_e32 v53, v35, v37
	v_fmac_f32_e32 v51, v34, v70
	v_fmac_f32_e32 v25, v35, v70
	ds_load_b128 v[34:37], v40 offset:2064
	v_fmac_f32_e32 v54, v67, v55
	v_fmac_f32_e32 v53, v68, v55
	s_wait_dscnt 0x0
	v_fmac_f32_e32 v51, v67, v34
	v_fmac_f32_e32 v25, v68, v34
	ds_load_2addr_b32 v[67:68], v39 offset0:160 offset1:176
	s_wait_dscnt 0x0
	v_fmac_f32_e32 v51, v67, v35
	v_fmac_f32_e32 v25, v68, v35
	ds_load_2addr_b32 v[34:35], v39 offset0:192 offset1:208
	v_fmac_f32_e32 v54, v67, v56
	v_fmac_f32_e32 v53, v68, v56
	ds_load_2addr_b32 v[55:56], v46 offset1:16
	s_wait_dscnt 0x1
	v_fmac_f32_e32 v54, v34, v57
	v_fmac_f32_e32 v53, v35, v57
	;; [unrolled: 1-line block ×4, first 2 shown]
	ds_load_2addr_b32 v[34:35], v39 offset0:224 offset1:240
	s_wait_dscnt 0x0
	v_fmac_f32_e32 v54, v34, v58
	v_fmac_f32_e32 v53, v35, v58
	;; [unrolled: 1-line block ×4, first 2 shown]
	ds_load_b128 v[34:37], v40 offset:2080
	v_fmac_f32_e32 v54, v55, v59
	v_fmac_f32_e32 v53, v56, v59
	s_wait_dscnt 0x0
	v_fmac_f32_e32 v51, v55, v34
	v_fmac_f32_e32 v25, v56, v34
	ds_load_2addr_b32 v[55:56], v46 offset0:32 offset1:48
	s_wait_dscnt 0x0
	v_fmac_f32_e32 v51, v55, v35
	v_fmac_f32_e32 v25, v56, v35
	ds_load_2addr_b32 v[34:35], v46 offset0:64 offset1:80
	v_fmac_f32_e32 v54, v55, v60
	v_fmac_f32_e32 v53, v56, v60
	ds_load_2addr_b32 v[55:56], v46 offset0:128 offset1:144
	s_wait_dscnt 0x1
	v_fmac_f32_e32 v54, v34, v61
	v_fmac_f32_e32 v53, v35, v61
	;; [unrolled: 1-line block ×4, first 2 shown]
	ds_load_2addr_b32 v[34:35], v46 offset0:96 offset1:112
	s_wait_dscnt 0x0
	v_fmac_f32_e32 v54, v34, v62
	v_fmac_f32_e32 v53, v35, v62
	;; [unrolled: 1-line block ×4, first 2 shown]
	ds_load_b128 v[34:37], v40 offset:2096
	v_fmac_f32_e32 v54, v55, v63
	v_fmac_f32_e32 v53, v56, v63
	s_wait_dscnt 0x0
	v_fmac_f32_e32 v51, v55, v34
	v_fmac_f32_e32 v25, v56, v34
	ds_load_2addr_b32 v[55:56], v46 offset0:160 offset1:176
	s_wait_dscnt 0x0
	v_fmac_f32_e32 v51, v55, v35
	v_fmac_f32_e32 v25, v56, v35
	ds_load_2addr_b32 v[34:35], v46 offset0:192 offset1:208
	v_fmac_f32_e32 v54, v55, v64
	s_wait_dscnt 0x0
	s_delay_alu instid0(VALU_DEP_1) | instskip(NEXT) | instid1(VALU_DEP_1)
	v_dual_fmac_f32 v53, v56, v64 :: v_dual_fmac_f32 v54, v34, v65
	v_fmac_f32_e32 v53, v35, v65
	v_fmac_f32_e32 v51, v34, v36
	;; [unrolled: 1-line block ×3, first 2 shown]
	ds_load_2addr_b32 v[34:35], v46 offset0:224 offset1:240
	s_wait_dscnt 0x0
	v_fmac_f32_e32 v54, v34, v66
	v_fmac_f32_e32 v53, v35, v66
	;; [unrolled: 1-line block ×4, first 2 shown]
	ds_load_b128 v[34:37], v40 offset:64
	ds_load_2addr_b32 v[59:60], v47 offset1:16
	ds_load_b128 v[55:58], v40 offset:2112
	s_wait_dscnt 0x1
	v_fmac_f32_e32 v54, v59, v34
	v_fmac_f32_e32 v53, v60, v34
	s_wait_dscnt 0x0
	v_fmac_f32_e32 v51, v59, v55
	v_fmac_f32_e32 v25, v60, v55
	ds_load_2addr_b32 v[59:60], v47 offset0:32 offset1:48
	s_wait_dscnt 0x0
	v_fmac_f32_e32 v54, v59, v35
	v_fmac_f32_e32 v53, v60, v35
	ds_load_2addr_b32 v[34:35], v47 offset0:64 offset1:80
	v_fmac_f32_e32 v51, v59, v56
	v_fmac_f32_e32 v25, v60, v56
	s_wait_dscnt 0x0
	v_fmac_f32_e32 v54, v34, v36
	v_fmac_f32_e32 v53, v35, v36
	;; [unrolled: 1-line block ×4, first 2 shown]
	ds_load_2addr_b32 v[34:35], v47 offset0:96 offset1:112
	s_wait_dscnt 0x0
	v_fmac_f32_e32 v54, v34, v37
	v_fmac_f32_e32 v53, v35, v37
	;; [unrolled: 1-line block ×4, first 2 shown]
	ds_load_b128 v[34:37], v40 offset:80
	ds_load_2addr_b32 v[59:60], v47 offset0:128 offset1:144
	ds_load_b128 v[55:58], v40 offset:2128
	s_wait_dscnt 0x1
	v_fmac_f32_e32 v54, v59, v34
	v_fmac_f32_e32 v53, v60, v34
	s_wait_dscnt 0x0
	v_fmac_f32_e32 v51, v59, v55
	v_fmac_f32_e32 v25, v60, v55
	ds_load_2addr_b32 v[59:60], v47 offset0:160 offset1:176
	s_wait_dscnt 0x0
	v_fmac_f32_e32 v54, v59, v35
	v_fmac_f32_e32 v53, v60, v35
	ds_load_2addr_b32 v[34:35], v47 offset0:192 offset1:208
	v_fmac_f32_e32 v51, v59, v56
	v_fmac_f32_e32 v25, v60, v56
	s_wait_dscnt 0x0
	v_fmac_f32_e32 v54, v34, v36
	v_fmac_f32_e32 v53, v35, v36
	;; [unrolled: 1-line block ×4, first 2 shown]
	ds_load_2addr_b32 v[34:35], v47 offset0:224 offset1:240
	s_wait_dscnt 0x0
	v_fmac_f32_e32 v54, v34, v37
	v_fmac_f32_e32 v53, v35, v37
	;; [unrolled: 1-line block ×4, first 2 shown]
	ds_load_b128 v[34:37], v40 offset:96
	ds_load_2addr_b32 v[59:60], v48 offset1:16
	ds_load_b128 v[55:58], v40 offset:2144
	s_wait_dscnt 0x1
	v_fmac_f32_e32 v54, v59, v34
	v_fmac_f32_e32 v53, v60, v34
	s_wait_dscnt 0x0
	v_fmac_f32_e32 v51, v59, v55
	v_fmac_f32_e32 v25, v60, v55
	ds_load_2addr_b32 v[59:60], v48 offset0:32 offset1:48
	s_wait_dscnt 0x0
	v_fmac_f32_e32 v54, v59, v35
	v_fmac_f32_e32 v53, v60, v35
	ds_load_2addr_b32 v[34:35], v48 offset0:64 offset1:80
	v_fmac_f32_e32 v51, v59, v56
	v_fmac_f32_e32 v25, v60, v56
	s_wait_dscnt 0x0
	v_fmac_f32_e32 v54, v34, v36
	v_fmac_f32_e32 v53, v35, v36
	;; [unrolled: 1-line block ×4, first 2 shown]
	ds_load_2addr_b32 v[34:35], v48 offset0:96 offset1:112
	s_wait_dscnt 0x0
	v_fmac_f32_e32 v54, v34, v37
	v_fmac_f32_e32 v53, v35, v37
	;; [unrolled: 1-line block ×4, first 2 shown]
	ds_load_b128 v[34:37], v40 offset:112
	ds_load_2addr_b32 v[59:60], v48 offset0:128 offset1:144
	ds_load_b128 v[55:58], v40 offset:2160
	s_wait_dscnt 0x1
	v_fmac_f32_e32 v54, v59, v34
	v_fmac_f32_e32 v53, v60, v34
	s_wait_dscnt 0x0
	v_fmac_f32_e32 v51, v59, v55
	v_fmac_f32_e32 v25, v60, v55
	ds_load_2addr_b32 v[59:60], v48 offset0:160 offset1:176
	s_wait_dscnt 0x0
	v_fmac_f32_e32 v54, v59, v35
	v_fmac_f32_e32 v53, v60, v35
	ds_load_2addr_b32 v[34:35], v48 offset0:192 offset1:208
	v_fmac_f32_e32 v51, v59, v56
	v_fmac_f32_e32 v25, v60, v56
	s_wait_dscnt 0x0
	v_fmac_f32_e32 v54, v34, v36
	v_fmac_f32_e32 v53, v35, v36
	;; [unrolled: 1-line block ×4, first 2 shown]
	ds_load_2addr_b32 v[34:35], v48 offset0:224 offset1:240
	s_wait_loadcnt_dscnt 0x0
	s_barrier_signal -1
	s_barrier_wait -1
	global_inv scope:SCOPE_SE
	v_fmac_f32_e32 v54, v34, v37
	v_fmac_f32_e32 v53, v35, v37
	;; [unrolled: 1-line block ×4, first 2 shown]
	s_cbranch_scc1 .LBB2_48
.LBB2_11:                               ;   Parent Loop BB2_4 Depth=1
                                        ;     Parent Loop BB2_8 Depth=2
                                        ; =>    This Inner Loop Header: Depth=3
	s_wait_alu 0xfffe
	v_add_co_u32 v34, s5, v0, s38
	s_wait_alu 0xf1ff
	v_add_co_ci_u32_e64 v35, null, s39, v1, s5
	v_cmp_eq_u64_e64 s7, s[38:39], v[8:9]
                                        ; implicit-def: $vgpr55
	s_delay_alu instid0(VALU_DEP_2)
	v_cmp_le_i64_e64 s6, s[42:43], v[34:35]
	v_cmp_lt_i64_e64 s5, v[34:35], v[2:3]
	s_and_b32 s59, s55, s7
	v_add_co_u32 v36, s7, v30, v16
	s_wait_alu 0xf1ff
	v_add_co_ci_u32_e64 v37, null, v31, v17, s7
	s_or_b32 s8, s6, s5
	s_wait_alu 0xfffe
	s_or_b32 s7, s8, s59
	s_wait_alu 0xfffe
	s_nor_b32 s7, s0, s7
	s_wait_alu 0xfffe
	s_and_saveexec_b32 s8, s7
	s_wait_alu 0xfffe
	s_xor_b32 s7, exec_lo, s8
	s_cbranch_execz .LBB2_13
; %bb.12:                               ;   in Loop: Header=BB2_11 Depth=3
	global_load_b32 v55, v[36:37], off
.LBB2_13:                               ;   in Loop: Header=BB2_11 Depth=3
	s_wait_alu 0xfffe
	s_and_not1_saveexec_b32 s7, s7
	s_cbranch_execz .LBB2_15
; %bb.14:                               ;   in Loop: Header=BB2_11 Depth=3
	s_wait_loadcnt 0x0
	v_cndmask_b32_e64 v55, 0, 1.0, s59
.LBB2_15:                               ;   in Loop: Header=BB2_11 Depth=3
	s_wait_alu 0xfffe
	s_or_b32 exec_lo, exec_lo, s7
	v_cmp_eq_u64_e64 s7, s[38:39], v[10:11]
	v_cmp_gt_i64_e64 s8, v[6:7], v[34:35]
	s_wait_loadcnt 0x0
	ds_store_b32 v41, v55
	s_and_b32 s7, s55, s7
	s_or_b32 s6, s6, s8
	s_wait_alu 0xfffe
	s_or_b32 s6, s6, s7
	s_wait_alu 0xfffe
	s_nor_b32 s6, s3, s6
	s_wait_alu 0xfffe
	s_and_saveexec_b32 s8, s6
	s_wait_alu 0xfffe
	s_xor_b32 s6, exec_lo, s8
	s_cbranch_execz .LBB2_17
; %bb.16:                               ;   in Loop: Header=BB2_11 Depth=3
	global_load_b32 v36, v[36:37], off offset:64
	s_wait_loadcnt 0x0
	ds_store_b32 v41, v36 offset:64
.LBB2_17:                               ;   in Loop: Header=BB2_11 Depth=3
	s_wait_alu 0xfffe
	s_and_not1_saveexec_b32 s6, s6
	s_cbranch_execz .LBB2_23
; %bb.18:                               ;   in Loop: Header=BB2_11 Depth=3
	s_xor_b32 s7, s7, -1
	s_wait_alu 0xfffe
	s_and_saveexec_b32 s8, s7
	s_wait_alu 0xfffe
	s_xor_b32 s7, exec_lo, s8
; %bb.19:                               ;   in Loop: Header=BB2_11 Depth=3
	ds_store_b32 v41, v44 offset:64
; %bb.20:                               ;   in Loop: Header=BB2_11 Depth=3
	s_wait_alu 0xfffe
	s_and_not1_saveexec_b32 s7, s7
; %bb.21:                               ;   in Loop: Header=BB2_11 Depth=3
	ds_store_b32 v41, v45 offset:64
; %bb.22:                               ;   in Loop: Header=BB2_11 Depth=3
	s_wait_alu 0xfffe
	s_or_b32 exec_lo, exec_lo, s7
.LBB2_23:                               ;   in Loop: Header=BB2_11 Depth=3
	s_wait_alu 0xfffe
	s_or_b32 exec_lo, exec_lo, s6
	v_add_co_u32 v34, s6, v34, 16
	s_wait_alu 0xf1ff
	v_add_co_ci_u32_e64 v35, null, 0, v35, s6
	v_cmp_eq_u64_e64 s7, s[38:39], v[14:15]
                                        ; implicit-def: $vgpr36
	s_delay_alu instid0(VALU_DEP_2)
	v_cmp_le_i64_e64 s6, s[42:43], v[34:35]
	v_cmp_lt_i64_e64 s8, v[34:35], v[2:3]
	s_and_b32 s60, s55, s7
	v_add_co_u32 v34, s7, v32, v16
	s_wait_alu 0xf1ff
	v_add_co_ci_u32_e64 v35, null, v33, v17, s7
	s_or_b32 s8, s6, s8
	s_wait_alu 0xfffe
	s_or_b32 s7, s8, s60
	s_wait_alu 0xfffe
	s_nor_b32 s7, s0, s7
	s_wait_alu 0xfffe
	s_and_saveexec_b32 s8, s7
	s_wait_alu 0xfffe
	s_xor_b32 s7, exec_lo, s8
	s_cbranch_execz .LBB2_25
; %bb.24:                               ;   in Loop: Header=BB2_11 Depth=3
	global_load_b32 v36, v[34:35], off
.LBB2_25:                               ;   in Loop: Header=BB2_11 Depth=3
	s_wait_alu 0xfffe
	s_and_not1_saveexec_b32 s7, s7
	s_cbranch_execz .LBB2_27
; %bb.26:                               ;   in Loop: Header=BB2_11 Depth=3
	s_wait_loadcnt 0x0
	v_cndmask_b32_e64 v36, 0, 1.0, s60
.LBB2_27:                               ;   in Loop: Header=BB2_11 Depth=3
	s_wait_alu 0xfffe
	s_or_b32 exec_lo, exec_lo, s7
	s_or_b32 s5, s6, s5
	s_wait_loadcnt 0x0
	ds_store_b32 v41, v36 offset:2048
	s_wait_alu 0xfffe
	s_or_b32 s5, s5, s59
	s_wait_alu 0xfffe
	s_nor_b32 s5, s3, s5
	s_wait_alu 0xfffe
	s_and_saveexec_b32 s6, s5
	s_wait_alu 0xfffe
	s_xor_b32 s5, exec_lo, s6
	s_cbranch_execz .LBB2_29
; %bb.28:                               ;   in Loop: Header=BB2_11 Depth=3
	global_load_b32 v34, v[34:35], off offset:64
	s_wait_loadcnt 0x0
	ds_store_b32 v41, v34 offset:2112
.LBB2_29:                               ;   in Loop: Header=BB2_11 Depth=3
	s_wait_alu 0xfffe
	s_and_not1_saveexec_b32 s5, s5
	s_cbranch_execz .LBB2_35
; %bb.30:                               ;   in Loop: Header=BB2_11 Depth=3
	s_xor_b32 s6, s59, -1
	s_wait_alu 0xfffe
	s_and_saveexec_b32 s7, s6
	s_wait_alu 0xfffe
	s_xor_b32 s6, exec_lo, s7
; %bb.31:                               ;   in Loop: Header=BB2_11 Depth=3
	ds_store_b32 v41, v44 offset:2112
; %bb.32:                               ;   in Loop: Header=BB2_11 Depth=3
	s_wait_alu 0xfffe
	s_and_not1_saveexec_b32 s6, s6
; %bb.33:                               ;   in Loop: Header=BB2_11 Depth=3
	ds_store_b32 v41, v45 offset:2112
; %bb.34:                               ;   in Loop: Header=BB2_11 Depth=3
	s_wait_alu 0xfffe
	s_or_b32 exec_lo, exec_lo, s6
.LBB2_35:                               ;   in Loop: Header=BB2_11 Depth=3
	s_wait_alu 0xfffe
	s_or_b32 exec_lo, exec_lo, s5
	v_add_co_u32 v36, s5, v2, s38
	s_wait_alu 0xf1ff
	v_add_co_ci_u32_e64 v37, null, s39, v3, s5
	v_add_co_u32 v34, s6, v26, v16
	s_wait_alu 0xf1ff
	v_add_co_ci_u32_e64 v35, null, v27, v17, s6
	s_delay_alu instid0(VALU_DEP_3)
	v_cmp_gt_i64_e64 s5, s[42:43], v[36:37]
	v_mov_b32_e32 v55, 0
	s_and_b32 s7, vcc_lo, s5
	s_wait_alu 0xfffe
	s_and_saveexec_b32 s6, s7
	s_cbranch_execz .LBB2_37
; %bb.36:                               ;   in Loop: Header=BB2_11 Depth=3
	global_load_b32 v55, v[34:35], off offset:-64
.LBB2_37:                               ;   in Loop: Header=BB2_11 Depth=3
	s_wait_alu 0xfffe
	s_or_b32 exec_lo, exec_lo, s6
	v_cmp_gt_i64_e64 s6, s[48:49], v[36:37]
	s_wait_loadcnt 0x0
	ds_store_b32 v42, v55
	s_and_b32 s7, vcc_lo, s6
	s_wait_alu 0xfffe
	s_xor_b32 s7, s7, -1
	s_wait_alu 0xfffe
	s_and_saveexec_b32 s8, s7
	s_wait_alu 0xfffe
	s_xor_b32 s7, exec_lo, s8
; %bb.38:                               ;   in Loop: Header=BB2_11 Depth=3
	ds_store_b32 v42, v44 offset:64
                                        ; implicit-def: $vgpr34_vgpr35
; %bb.39:                               ;   in Loop: Header=BB2_11 Depth=3
	s_wait_alu 0xfffe
	s_and_not1_saveexec_b32 s7, s7
	s_cbranch_execz .LBB2_41
; %bb.40:                               ;   in Loop: Header=BB2_11 Depth=3
	global_load_b32 v34, v[34:35], off
	s_wait_loadcnt 0x0
	ds_store_b32 v42, v34 offset:64
.LBB2_41:                               ;   in Loop: Header=BB2_11 Depth=3
	s_wait_alu 0xfffe
	s_or_b32 exec_lo, exec_lo, s7
	v_add_co_u32 v34, s7, v28, v16
	s_wait_alu 0xf1ff
	v_add_co_ci_u32_e64 v35, null, v29, v17, s7
	v_mov_b32_e32 v36, 0
	s_and_b32 s7, s4, s5
	s_wait_alu 0xfffe
	s_and_saveexec_b32 s5, s7
	s_cbranch_execz .LBB2_43
; %bb.42:                               ;   in Loop: Header=BB2_11 Depth=3
	global_load_b32 v36, v[34:35], off offset:-64
.LBB2_43:                               ;   in Loop: Header=BB2_11 Depth=3
	s_wait_alu 0xfffe
	s_or_b32 exec_lo, exec_lo, s5
	s_and_b32 s5, s4, s6
	s_wait_loadcnt 0x0
	ds_store_b32 v42, v36 offset:2048
	s_wait_alu 0xfffe
	s_xor_b32 s5, s5, -1
	s_wait_alu 0xfffe
	s_and_saveexec_b32 s6, s5
	s_wait_alu 0xfffe
	s_xor_b32 s5, exec_lo, s6
; %bb.44:                               ;   in Loop: Header=BB2_11 Depth=3
	ds_store_b32 v42, v44 offset:2112
                                        ; implicit-def: $vgpr34_vgpr35
; %bb.45:                               ;   in Loop: Header=BB2_11 Depth=3
	s_wait_alu 0xfffe
	s_and_not1_saveexec_b32 s5, s5
	s_cbranch_execz .LBB2_10
; %bb.46:                               ;   in Loop: Header=BB2_11 Depth=3
	global_load_b32 v34, v[34:35], off
	s_wait_loadcnt 0x0
	ds_store_b32 v42, v34 offset:2112
	s_branch .LBB2_10
.LBB2_47:                               ;   in Loop: Header=BB2_8 Depth=2
	v_dual_mov_b32 v54, 0 :: v_dual_mov_b32 v53, 0
	v_mov_b32_e32 v51, 0
	v_mov_b32_e32 v25, 0
.LBB2_48:                               ;   in Loop: Header=BB2_8 Depth=2
	v_mul_lo_u32 v28, s29, v50
	v_mul_lo_u32 v29, s28, v52
	v_mad_co_u64_u32 v[26:27], null, s28, v50, 0
	v_cmp_gt_i32_e32 vcc_lo, s10, v50
	s_delay_alu instid0(VALU_DEP_2) | instskip(NEXT) | instid1(VALU_DEP_1)
	v_add3_u32 v27, v27, v29, v28
	v_lshlrev_b64_e32 v[26:27], 2, v[26:27]
	s_delay_alu instid0(VALU_DEP_1) | instskip(SKIP_1) | instid1(VALU_DEP_2)
	v_add_co_u32 v26, s4, s26, v26
	s_wait_alu 0xf1ff
	v_add_co_ci_u32_e64 v27, null, s27, v27, s4
	s_and_b32 s4, s1, vcc_lo
	s_wait_alu 0xfffe
	s_and_saveexec_b32 s5, s4
	s_cbranch_execz .LBB2_50
; %bb.49:                               ;   in Loop: Header=BB2_8 Depth=2
	v_add_co_u32 v28, s4, v26, v16
	s_wait_alu 0xf1ff
	v_add_co_ci_u32_e64 v29, null, v27, v17, s4
	global_load_b32 v30, v[28:29], off
	s_wait_loadcnt 0x0
	v_fmac_f32_e32 v30, v49, v54
	global_store_b32 v[28:29], v30, off
.LBB2_50:                               ;   in Loop: Header=BB2_8 Depth=2
	s_wait_alu 0xfffe
	s_or_b32 exec_lo, exec_lo, s5
	s_and_b32 s5, s2, vcc_lo
	s_wait_alu 0xfffe
	s_and_saveexec_b32 s4, s5
	s_cbranch_execz .LBB2_52
; %bb.51:                               ;   in Loop: Header=BB2_8 Depth=2
	v_lshlrev_b64_e32 v[28:29], 2, v[4:5]
	s_delay_alu instid0(VALU_DEP_1) | instskip(SKIP_1) | instid1(VALU_DEP_2)
	v_add_co_u32 v26, vcc_lo, v26, v28
	s_wait_alu 0xfffd
	v_add_co_ci_u32_e64 v27, null, v27, v29, vcc_lo
	global_load_b32 v28, v[26:27], off
	s_wait_loadcnt 0x0
	v_fmac_f32_e32 v28, v49, v53
	global_store_b32 v[26:27], v28, off
.LBB2_52:                               ;   in Loop: Header=BB2_8 Depth=2
	s_wait_alu 0xfffe
	s_or_b32 exec_lo, exec_lo, s4
	v_add_nc_u32_e32 v28, 16, v50
	s_delay_alu instid0(VALU_DEP_1) | instskip(SKIP_3) | instid1(VALU_DEP_4)
	v_ashrrev_i32_e32 v29, 31, v28
	v_mul_lo_u32 v30, s29, v28
	v_mad_co_u64_u32 v[26:27], null, s28, v28, 0
	v_cmp_gt_i32_e32 vcc_lo, s10, v28
	v_mul_lo_u32 v29, s28, v29
	s_delay_alu instid0(VALU_DEP_1) | instskip(NEXT) | instid1(VALU_DEP_1)
	v_add3_u32 v27, v27, v29, v30
	v_lshlrev_b64_e32 v[26:27], 2, v[26:27]
	s_delay_alu instid0(VALU_DEP_1) | instskip(SKIP_1) | instid1(VALU_DEP_2)
	v_add_co_u32 v26, s4, s26, v26
	s_wait_alu 0xf1ff
	v_add_co_ci_u32_e64 v27, null, s27, v27, s4
	s_and_b32 s4, s1, vcc_lo
	s_wait_alu 0xfffe
	s_and_saveexec_b32 s5, s4
	s_cbranch_execz .LBB2_54
; %bb.53:                               ;   in Loop: Header=BB2_8 Depth=2
	v_add_co_u32 v28, s4, v26, v16
	s_wait_alu 0xf1ff
	v_add_co_ci_u32_e64 v29, null, v27, v17, s4
	global_load_b32 v30, v[28:29], off
	s_wait_loadcnt 0x0
	v_fmac_f32_e32 v30, v49, v51
	global_store_b32 v[28:29], v30, off
.LBB2_54:                               ;   in Loop: Header=BB2_8 Depth=2
	s_wait_alu 0xfffe
	s_or_b32 exec_lo, exec_lo, s5
	s_and_b32 s5, s2, vcc_lo
	s_wait_alu 0xfffe
	s_and_saveexec_b32 s4, s5
	s_cbranch_execz .LBB2_7
; %bb.55:                               ;   in Loop: Header=BB2_8 Depth=2
	v_lshlrev_b64_e32 v[28:29], 2, v[4:5]
	s_delay_alu instid0(VALU_DEP_1) | instskip(SKIP_1) | instid1(VALU_DEP_2)
	v_add_co_u32 v26, vcc_lo, v26, v28
	s_wait_alu 0xfffd
	v_add_co_ci_u32_e64 v27, null, v27, v29, vcc_lo
	global_load_b32 v28, v[26:27], off
	s_wait_loadcnt 0x0
	v_fmac_f32_e32 v28, v49, v25
	global_store_b32 v[26:27], v28, off
	s_branch .LBB2_7
.LBB2_56:
	s_endpgm
	.section	.rodata,"a",@progbits
	.p2align	6, 0x0
	.amdhsa_kernel _ZL30rocblas_trmm_outofplace_kernelIfLi32ELi2ELb1ELb1ELb0ELb0EPKfS0_fEv17rocblas_diagonal_iiT6_lPT7_lllS5_lllPT8_llli
		.amdhsa_group_segment_fixed_size 8192
		.amdhsa_private_segment_fixed_size 0
		.amdhsa_kernarg_size 392
		.amdhsa_user_sgpr_count 2
		.amdhsa_user_sgpr_dispatch_ptr 0
		.amdhsa_user_sgpr_queue_ptr 0
		.amdhsa_user_sgpr_kernarg_segment_ptr 1
		.amdhsa_user_sgpr_dispatch_id 0
		.amdhsa_user_sgpr_private_segment_size 0
		.amdhsa_wavefront_size32 1
		.amdhsa_uses_dynamic_stack 0
		.amdhsa_enable_private_segment 0
		.amdhsa_system_sgpr_workgroup_id_x 1
		.amdhsa_system_sgpr_workgroup_id_y 1
		.amdhsa_system_sgpr_workgroup_id_z 1
		.amdhsa_system_sgpr_workgroup_info 0
		.amdhsa_system_vgpr_workitem_id 1
		.amdhsa_next_free_vgpr 73
		.amdhsa_next_free_sgpr 61
		.amdhsa_reserve_vcc 1
		.amdhsa_float_round_mode_32 0
		.amdhsa_float_round_mode_16_64 0
		.amdhsa_float_denorm_mode_32 3
		.amdhsa_float_denorm_mode_16_64 3
		.amdhsa_fp16_overflow 0
		.amdhsa_workgroup_processor_mode 1
		.amdhsa_memory_ordered 1
		.amdhsa_forward_progress 1
		.amdhsa_inst_pref_size 29
		.amdhsa_round_robin_scheduling 0
		.amdhsa_exception_fp_ieee_invalid_op 0
		.amdhsa_exception_fp_denorm_src 0
		.amdhsa_exception_fp_ieee_div_zero 0
		.amdhsa_exception_fp_ieee_overflow 0
		.amdhsa_exception_fp_ieee_underflow 0
		.amdhsa_exception_fp_ieee_inexact 0
		.amdhsa_exception_int_div_zero 0
	.end_amdhsa_kernel
	.section	.text._ZL30rocblas_trmm_outofplace_kernelIfLi32ELi2ELb1ELb1ELb0ELb0EPKfS0_fEv17rocblas_diagonal_iiT6_lPT7_lllS5_lllPT8_llli,"axG",@progbits,_ZL30rocblas_trmm_outofplace_kernelIfLi32ELi2ELb1ELb1ELb0ELb0EPKfS0_fEv17rocblas_diagonal_iiT6_lPT7_lllS5_lllPT8_llli,comdat
.Lfunc_end2:
	.size	_ZL30rocblas_trmm_outofplace_kernelIfLi32ELi2ELb1ELb1ELb0ELb0EPKfS0_fEv17rocblas_diagonal_iiT6_lPT7_lllS5_lllPT8_llli, .Lfunc_end2-_ZL30rocblas_trmm_outofplace_kernelIfLi32ELi2ELb1ELb1ELb0ELb0EPKfS0_fEv17rocblas_diagonal_iiT6_lPT7_lllS5_lllPT8_llli
                                        ; -- End function
	.set _ZL30rocblas_trmm_outofplace_kernelIfLi32ELi2ELb1ELb1ELb0ELb0EPKfS0_fEv17rocblas_diagonal_iiT6_lPT7_lllS5_lllPT8_llli.num_vgpr, 73
	.set _ZL30rocblas_trmm_outofplace_kernelIfLi32ELi2ELb1ELb1ELb0ELb0EPKfS0_fEv17rocblas_diagonal_iiT6_lPT7_lllS5_lllPT8_llli.num_agpr, 0
	.set _ZL30rocblas_trmm_outofplace_kernelIfLi32ELi2ELb1ELb1ELb0ELb0EPKfS0_fEv17rocblas_diagonal_iiT6_lPT7_lllS5_lllPT8_llli.numbered_sgpr, 61
	.set _ZL30rocblas_trmm_outofplace_kernelIfLi32ELi2ELb1ELb1ELb0ELb0EPKfS0_fEv17rocblas_diagonal_iiT6_lPT7_lllS5_lllPT8_llli.num_named_barrier, 0
	.set _ZL30rocblas_trmm_outofplace_kernelIfLi32ELi2ELb1ELb1ELb0ELb0EPKfS0_fEv17rocblas_diagonal_iiT6_lPT7_lllS5_lllPT8_llli.private_seg_size, 0
	.set _ZL30rocblas_trmm_outofplace_kernelIfLi32ELi2ELb1ELb1ELb0ELb0EPKfS0_fEv17rocblas_diagonal_iiT6_lPT7_lllS5_lllPT8_llli.uses_vcc, 1
	.set _ZL30rocblas_trmm_outofplace_kernelIfLi32ELi2ELb1ELb1ELb0ELb0EPKfS0_fEv17rocblas_diagonal_iiT6_lPT7_lllS5_lllPT8_llli.uses_flat_scratch, 0
	.set _ZL30rocblas_trmm_outofplace_kernelIfLi32ELi2ELb1ELb1ELb0ELb0EPKfS0_fEv17rocblas_diagonal_iiT6_lPT7_lllS5_lllPT8_llli.has_dyn_sized_stack, 0
	.set _ZL30rocblas_trmm_outofplace_kernelIfLi32ELi2ELb1ELb1ELb0ELb0EPKfS0_fEv17rocblas_diagonal_iiT6_lPT7_lllS5_lllPT8_llli.has_recursion, 0
	.set _ZL30rocblas_trmm_outofplace_kernelIfLi32ELi2ELb1ELb1ELb0ELb0EPKfS0_fEv17rocblas_diagonal_iiT6_lPT7_lllS5_lllPT8_llli.has_indirect_call, 0
	.section	.AMDGPU.csdata,"",@progbits
; Kernel info:
; codeLenInByte = 3636
; TotalNumSgprs: 63
; NumVgprs: 73
; ScratchSize: 0
; MemoryBound: 0
; FloatMode: 240
; IeeeMode: 1
; LDSByteSize: 8192 bytes/workgroup (compile time only)
; SGPRBlocks: 0
; VGPRBlocks: 9
; NumSGPRsForWavesPerEU: 63
; NumVGPRsForWavesPerEU: 73
; Occupancy: 16
; WaveLimiterHint : 0
; COMPUTE_PGM_RSRC2:SCRATCH_EN: 0
; COMPUTE_PGM_RSRC2:USER_SGPR: 2
; COMPUTE_PGM_RSRC2:TRAP_HANDLER: 0
; COMPUTE_PGM_RSRC2:TGID_X_EN: 1
; COMPUTE_PGM_RSRC2:TGID_Y_EN: 1
; COMPUTE_PGM_RSRC2:TGID_Z_EN: 1
; COMPUTE_PGM_RSRC2:TIDIG_COMP_CNT: 1
	.section	.text._ZL30rocblas_trmm_outofplace_kernelIfLi32ELi2ELb1ELb1ELb0ELb0EfKffEv17rocblas_diagonal_iiT6_lPT7_lllS4_lllPT8_llli,"axG",@progbits,_ZL30rocblas_trmm_outofplace_kernelIfLi32ELi2ELb1ELb1ELb0ELb0EfKffEv17rocblas_diagonal_iiT6_lPT7_lllS4_lllPT8_llli,comdat
	.globl	_ZL30rocblas_trmm_outofplace_kernelIfLi32ELi2ELb1ELb1ELb0ELb0EfKffEv17rocblas_diagonal_iiT6_lPT7_lllS4_lllPT8_llli ; -- Begin function _ZL30rocblas_trmm_outofplace_kernelIfLi32ELi2ELb1ELb1ELb0ELb0EfKffEv17rocblas_diagonal_iiT6_lPT7_lllS4_lllPT8_llli
	.p2align	8
	.type	_ZL30rocblas_trmm_outofplace_kernelIfLi32ELi2ELb1ELb1ELb0ELb0EfKffEv17rocblas_diagonal_iiT6_lPT7_lllS4_lllPT8_llli,@function
_ZL30rocblas_trmm_outofplace_kernelIfLi32ELi2ELb1ELb1ELb0ELb0EfKffEv17rocblas_diagonal_iiT6_lPT7_lllS4_lllPT8_llli: ; @_ZL30rocblas_trmm_outofplace_kernelIfLi32ELi2ELb1ELb1ELb0ELb0EfKffEv17rocblas_diagonal_iiT6_lPT7_lllS4_lllPT8_llli
; %bb.0:
	s_load_b32 s33, s[0:1], 0x78
	s_lshr_b32 s34, ttmp7, 16
	s_wait_kmcnt 0x0
	s_cmp_ge_u32 s34, s33
	s_cbranch_scc1 .LBB3_55
; %bb.1:
	s_load_b128 s[28:31], s[0:1], 0x0
	s_mov_b32 s35, 0
	s_wait_kmcnt 0x0
	s_cmp_eq_f32 s31, 0
	s_cbranch_scc1 .LBB3_55
; %bb.2:
	s_add_co_i32 s2, s30, -1
	s_load_b512 s[4:19], s[0:1], 0x18
	s_ashr_i32 s3, s2, 31
	s_and_b32 s46, ttmp7, 0xffff
	s_lshr_b32 s3, s3, 27
	v_dual_mov_b32 v45, 1.0 :: v_dual_and_b32 v4, 0x3ff, v0
	s_add_co_i32 s2, s2, s3
	v_bfe_u32 v38, v0, 10, 10
	s_ashr_i32 s47, s2, 5
	s_delay_alu instid0(VALU_DEP_2)
	v_lshlrev_b32_e32 v39, 2, v4
	s_cmp_le_i32 s46, s47
	s_load_b256 s[20:27], s[0:1], 0x58
	s_cselect_b32 s48, -1, 0
	s_lshl_b32 s2, ttmp9, 5
	v_dual_mov_b32 v44, 0 :: v_dual_lshlrev_b32 v5, 7, v38
	v_add_nc_u32_e32 v2, s2, v4
	v_add_nc_u32_e32 v0, s2, v38
	s_sub_co_i32 s49, s29, s2
	s_delay_alu instid0(VALU_DEP_3)
	v_add_nc_u32_e32 v40, 0x1000, v5
	v_add_nc_u32_e32 v41, v39, v5
	v_ashrrev_i32_e32 v3, 31, v2
	v_ashrrev_i32_e32 v1, 31, v0
	v_add_co_u32 v4, vcc_lo, v2, 16
	s_wait_kmcnt 0x0
	v_mul_lo_u32 v19, s9, v0
	v_add_co_ci_u32_e64 v5, null, 0, v3, vcc_lo
	v_sub_co_u32 v8, vcc_lo, v2, v0
	v_lshlrev_b64_e32 v[12:13], 2, v[0:1]
	v_mul_lo_u32 v18, s8, v1
	v_mad_co_u64_u32 v[16:17], null, s8, v0, 0
	s_wait_alu 0xfffd
	v_sub_co_ci_u32_e64 v9, null, v3, v1, vcc_lo
	v_add_co_u32 v10, vcc_lo, v8, 16
	s_cmp_gt_i32 s49, 0
	s_wait_alu 0xfffd
	v_add_co_ci_u32_e64 v11, null, 0, v9, vcc_lo
	v_add_co_u32 v14, vcc_lo, v12, 64
	s_cselect_b32 s50, -1, 0
	s_cmp_eq_u32 s28, 0x84
	s_wait_alu 0xfffd
	v_add_co_ci_u32_e64 v15, null, 0, v13, vcc_lo
	v_add3_u32 v17, v17, v18, v19
	s_cselect_b32 s51, -1, 0
	s_lshl_b64 s[6:7], s[6:7], 2
	s_delay_alu instid0(VALU_DEP_2)
	v_mul_lo_u32 v20, s8, v15
	s_add_nc_u64 s[4:5], s[4:5], s[6:7]
	v_mul_lo_u32 v21, s9, v14
	v_mad_co_u64_u32 v[12:13], null, s8, v14, s[4:5]
	v_lshlrev_b64_e32 v[18:19], 2, v[16:17]
	v_add_nc_u32_e32 v6, 16, v2
	v_add_co_u32 v14, vcc_lo, v8, -16
	s_ashr_i32 s37, s29, 31
	s_mov_b32 s36, s29
	s_lshl_b64 s[2:3], s[22:23], 2
	s_wait_alu 0xfffd
	v_add_co_ci_u32_e64 v15, null, -1, v9, vcc_lo
	v_add_co_u32 v18, vcc_lo, s4, v18
	s_add_nc_u64 s[22:23], s[0:1], 0x80
	v_cmp_le_i64_e64 s1, s[36:37], v[4:5]
	s_lshl_b64 s[14:15], s[14:15], 2
	v_lshlrev_b64_e32 v[16:17], 2, v[2:3]
	v_add_nc_u32_e32 v42, v40, v39
	s_wait_alu 0xfffe
	s_add_nc_u64 s[20:21], s[20:21], s[2:3]
	v_cmp_le_i32_e64 s0, s29, v2
	v_cmp_gt_i32_e64 s2, s29, v2
	v_cmp_gt_i32_e64 s3, s29, v6
	v_ashrrev_i32_e32 v7, 31, v6
	v_lshl_add_u32 v43, s46, 5, v38
	v_add3_u32 v13, v21, v13, v20
	s_wait_alu 0xfffd
	v_add_co_ci_u32_e64 v19, null, s5, v19, vcc_lo
	v_add_nc_u32_e32 v46, 0x400, v39
	v_add_nc_u32_e32 v47, 0x800, v39
	;; [unrolled: 1-line block ×3, first 2 shown]
	s_add_nc_u64 s[6:7], s[12:13], s[14:15]
	s_ashr_i32 s52, s30, 31
	s_mov_b32 s53, s30
	s_lshl_b64 s[38:39], s[8:9], 7
	s_add_nc_u64 s[40:41], s[36:37], -16
	s_add_nc_u64 s[12:13], s[6:7], 64
	s_lshl_b64 s[14:15], s[18:19], 2
	s_lshl_b64 s[18:19], s[16:17], 2
	;; [unrolled: 1-line block ×3, first 2 shown]
	s_branch .LBB3_4
.LBB3_3:                                ;   in Loop: Header=BB3_4 Depth=1
	s_add_co_i32 s34, s34, 0x10000
	s_wait_alu 0xfffe
	s_cmp_ge_u32 s34, s33
	s_cbranch_scc1 .LBB3_55
.LBB3_4:                                ; =>This Loop Header: Depth=1
                                        ;     Child Loop BB3_7 Depth 2
                                        ;       Child Loop BB3_10 Depth 3
	s_and_not1_b32 vcc_lo, exec_lo, s48
	s_wait_alu 0xfffe
	s_cbranch_vccnz .LBB3_3
; %bb.5:                                ;   in Loop: Header=BB3_4 Depth=1
	s_load_b32 s9, s[22:23], 0x4
	v_mad_co_u64_u32 v[20:21], null, s10, s34, v[12:13]
	v_mad_co_u64_u32 v[22:23], null, s10, s34, v[18:19]
	s_mul_i32 s8, s11, s34
	s_mul_u64 s[6:7], s[26:27], s[34:35]
	v_mov_b32_e32 v24, v43
	s_mul_u64 s[4:5], s[14:15], s[34:35]
	s_wait_alu 0xfffe
	v_add_nc_u32_e32 v21, s8, v21
	s_lshl_b64 s[6:7], s[6:7], 2
	v_add_nc_u32_e32 v23, s8, v23
	s_add_nc_u64 s[28:29], s[12:13], s[4:5]
	s_wait_alu 0xfffe
	s_add_nc_u64 s[42:43], s[20:21], s[6:7]
	s_mov_b32 s55, s46
	s_wait_kmcnt 0x0
	s_lshl_b32 s54, s9, 5
	s_branch .LBB3_7
.LBB3_6:                                ;   in Loop: Header=BB3_7 Depth=2
	s_wait_alu 0xfffe
	s_or_b32 exec_lo, exec_lo, s4
	v_add_nc_u32_e32 v24, s54, v24
	s_add_co_i32 s55, s9, s55
	s_wait_alu 0xfffe
	s_cmp_gt_i32 s55, s47
	s_cbranch_scc1 .LBB3_3
.LBB3_7:                                ;   Parent Loop BB3_4 Depth=1
                                        ; =>  This Loop Header: Depth=2
                                        ;       Child Loop BB3_10 Depth 3
	s_wait_alu 0xfffe
	v_lshl_add_u32 v49, s55, 5, v38
	s_and_not1_b32 vcc_lo, exec_lo, s50
	s_delay_alu instid0(VALU_DEP_1)
	v_ashrrev_i32_e32 v51, 31, v49
	s_wait_alu 0xfffe
	s_cbranch_vccnz .LBB3_46
; %bb.8:                                ;   in Loop: Header=BB3_7 Depth=2
	v_ashrrev_i32_e32 v25, 31, v24
	v_mad_co_u64_u32 v[26:27], null, s18, v24, s[28:29]
	v_mul_lo_u32 v36, s19, v24
	v_mov_b32_e32 v31, v23
	s_delay_alu instid0(VALU_DEP_4)
	v_lshlrev_b64_e32 v[28:29], 2, v[24:25]
	v_mul_lo_u32 v37, s18, v25
	v_mov_b32_e32 v33, v21
	v_dual_mov_b32 v25, 0 :: v_dual_mov_b32 v30, v22
	v_mov_b32_e32 v32, v20
	v_add_co_u32 v28, vcc_lo, v28, 64
	s_wait_alu 0xfffd
	v_add_co_ci_u32_e64 v29, null, 0, v29, vcc_lo
	v_sub_co_u32 v34, vcc_lo, s53, v49
	s_delay_alu instid0(VALU_DEP_3) | instskip(NEXT) | instid1(VALU_DEP_3)
	v_mul_lo_u32 v52, s17, v28
	v_mul_lo_u32 v50, s16, v29
	v_mad_co_u64_u32 v[28:29], null, s16, v28, s[28:29]
	s_wait_alu 0xfffd
	v_sub_co_ci_u32_e64 v35, null, s52, v51, vcc_lo
	v_add3_u32 v27, v36, v27, v37
	s_mov_b64 s[44:45], 0
	v_mov_b32_e32 v53, 0
	s_delay_alu instid0(VALU_DEP_3)
	v_cmp_lt_i64_e64 s4, 16, v[34:35]
	v_add3_u32 v29, v52, v29, v50
	v_mov_b32_e32 v50, 0
	v_mov_b32_e32 v52, 0
	v_cmp_lt_i64_e32 vcc_lo, 0, v[34:35]
	s_branch .LBB3_10
.LBB3_9:                                ;   in Loop: Header=BB3_10 Depth=3
	s_wait_alu 0xfffe
	s_or_b32 exec_lo, exec_lo, s5
	s_wait_dscnt 0x0
	s_barrier_signal -1
	s_barrier_wait -1
	global_inv scope:SCOPE_SE
	ds_load_b128 v[34:37], v40
	ds_load_2addr_b32 v[74:75], v39 offset1:16
	ds_load_b128 v[54:57], v40 offset:2048
	ds_load_2addr_b32 v[76:77], v39 offset0:32 offset1:48
	ds_load_b128 v[58:61], v40 offset:16
	ds_load_2addr_b32 v[78:79], v39 offset0:64 offset1:80
	ds_load_b128 v[62:65], v40 offset:32
	ds_load_b128 v[66:69], v40 offset:48
	ds_load_2addr_b32 v[80:81], v39 offset0:96 offset1:112
	ds_load_2addr_b32 v[82:83], v39 offset0:128 offset1:144
	ds_load_b128 v[70:73], v40 offset:2064
	ds_load_2addr_b32 v[84:85], v39 offset0:160 offset1:176
	ds_load_2addr_b32 v[86:87], v39 offset0:192 offset1:208
	;; [unrolled: 1-line block ×3, first 2 shown]
	ds_load_2addr_b32 v[90:91], v46 offset1:16
	ds_load_2addr_b32 v[92:93], v46 offset0:32 offset1:48
	v_add_co_u32 v26, s5, 0x80, v26
	s_wait_alu 0xf1ff
	v_add_co_ci_u32_e64 v27, null, 0, v27, s5
	v_add_co_u32 v32, s5, v32, s38
	s_wait_dscnt 0xe
	v_fmac_f32_e32 v52, v75, v34
	v_fmac_f32_e32 v53, v74, v34
	s_wait_dscnt 0xd
	v_fmac_f32_e32 v25, v75, v54
	v_fmac_f32_e32 v50, v74, v54
	ds_load_2addr_b32 v[74:75], v46 offset0:64 offset1:80
	s_wait_dscnt 0xd
	v_fmac_f32_e32 v52, v77, v35
	v_fmac_f32_e32 v53, v76, v35
	v_fmac_f32_e32 v25, v77, v55
	v_fmac_f32_e32 v50, v76, v55
	ds_load_2addr_b32 v[76:77], v46 offset0:96 offset1:112
	s_wait_dscnt 0xc
	v_fmac_f32_e32 v52, v79, v36
	v_fmac_f32_e32 v53, v78, v36
	;; [unrolled: 6-line block ×3, first 2 shown]
	v_fmac_f32_e32 v25, v81, v57
	v_fmac_f32_e32 v50, v80, v57
	ds_load_b128 v[34:37], v40 offset:2080
	ds_load_b128 v[54:57], v40 offset:2096
	s_wait_dscnt 0xb
	v_fmac_f32_e32 v52, v83, v58
	v_fmac_f32_e32 v53, v82, v58
	s_wait_dscnt 0xa
	v_fmac_f32_e32 v25, v83, v70
	v_fmac_f32_e32 v50, v82, v70
	ds_load_2addr_b32 v[80:81], v46 offset0:160 offset1:176
	s_wait_dscnt 0xa
	v_fmac_f32_e32 v52, v85, v59
	v_fmac_f32_e32 v53, v84, v59
	v_fmac_f32_e32 v25, v85, v71
	v_fmac_f32_e32 v50, v84, v71
	ds_load_2addr_b32 v[82:83], v46 offset0:192 offset1:208
	s_wait_dscnt 0xa
	v_fmac_f32_e32 v52, v87, v60
	v_fmac_f32_e32 v53, v86, v60
	;; [unrolled: 6-line block ×3, first 2 shown]
	v_fmac_f32_e32 v25, v89, v73
	v_fmac_f32_e32 v50, v88, v73
	ds_load_b128 v[58:61], v40 offset:64
	s_wait_dscnt 0xa
	v_fmac_f32_e32 v52, v91, v62
	v_fmac_f32_e32 v53, v90, v62
	s_wait_dscnt 0x5
	v_fmac_f32_e32 v25, v91, v34
	v_fmac_f32_e32 v50, v90, v34
	ds_load_2addr_b32 v[86:87], v47 offset1:16
	v_fmac_f32_e32 v52, v93, v63
	v_fmac_f32_e32 v53, v92, v63
	;; [unrolled: 1-line block ×4, first 2 shown]
	ds_load_b128 v[70:73], v40 offset:2112
	v_fmac_f32_e32 v52, v75, v64
	v_fmac_f32_e32 v53, v74, v64
	;; [unrolled: 1-line block ×4, first 2 shown]
	ds_load_2addr_b32 v[62:63], v47 offset0:32 offset1:48
	v_fmac_f32_e32 v52, v77, v65
	v_fmac_f32_e32 v53, v76, v65
	;; [unrolled: 1-line block ×4, first 2 shown]
	ds_load_2addr_b32 v[64:65], v47 offset0:64 offset1:80
	v_fmac_f32_e32 v52, v79, v66
	v_fmac_f32_e32 v53, v78, v66
	s_wait_dscnt 0x8
	v_fmac_f32_e32 v25, v79, v54
	v_fmac_f32_e32 v50, v78, v54
	ds_load_2addr_b32 v[74:75], v47 offset0:96 offset1:112
	s_wait_dscnt 0x8
	v_fmac_f32_e32 v52, v81, v67
	v_fmac_f32_e32 v53, v80, v67
	;; [unrolled: 1-line block ×4, first 2 shown]
	ds_load_b128 v[34:37], v40 offset:80
	s_wait_dscnt 0x8
	v_fmac_f32_e32 v52, v83, v68
	v_fmac_f32_e32 v53, v82, v68
	;; [unrolled: 1-line block ×4, first 2 shown]
	ds_load_2addr_b32 v[66:67], v47 offset0:128 offset1:144
	s_wait_dscnt 0x8
	v_fmac_f32_e32 v52, v85, v69
	v_fmac_f32_e32 v53, v84, v69
	;; [unrolled: 1-line block ×4, first 2 shown]
	ds_load_b128 v[54:57], v40 offset:2128
	s_wait_dscnt 0x7
	v_fmac_f32_e32 v52, v87, v58
	v_fmac_f32_e32 v53, v86, v58
	s_wait_dscnt 0x6
	v_fmac_f32_e32 v25, v87, v70
	v_fmac_f32_e32 v50, v86, v70
	ds_load_2addr_b32 v[68:69], v47 offset0:160 offset1:176
	s_wait_dscnt 0x6
	v_fmac_f32_e32 v52, v63, v59
	v_fmac_f32_e32 v53, v62, v59
	v_fmac_f32_e32 v25, v63, v71
	v_fmac_f32_e32 v50, v62, v71
	ds_load_2addr_b32 v[70:71], v47 offset0:192 offset1:208
	s_wait_dscnt 0x6
	v_fmac_f32_e32 v52, v65, v60
	v_fmac_f32_e32 v53, v64, v60
	;; [unrolled: 6-line block ×3, first 2 shown]
	v_fmac_f32_e32 v25, v75, v73
	v_fmac_f32_e32 v50, v74, v73
	ds_load_b128 v[58:61], v40 offset:96
	ds_load_2addr_b32 v[72:73], v48 offset1:16
	s_wait_dscnt 0x6
	v_fmac_f32_e32 v52, v67, v34
	v_fmac_f32_e32 v53, v66, v34
	s_wait_dscnt 0x5
	v_fmac_f32_e32 v25, v67, v54
	v_fmac_f32_e32 v50, v66, v54
	ds_load_b128 v[62:65], v40 offset:2144
	s_wait_dscnt 0x5
	v_fmac_f32_e32 v52, v69, v35
	v_fmac_f32_e32 v53, v68, v35
	ds_load_2addr_b32 v[66:67], v48 offset0:32 offset1:48
	v_fmac_f32_e32 v25, v69, v55
	v_fmac_f32_e32 v50, v68, v55
	s_wait_dscnt 0x5
	v_fmac_f32_e32 v52, v71, v36
	v_fmac_f32_e32 v53, v70, v36
	ds_load_2addr_b32 v[68:69], v48 offset0:64 offset1:80
	v_fmac_f32_e32 v25, v71, v56
	v_fmac_f32_e32 v50, v70, v56
	;; [unrolled: 6-line block ×3, first 2 shown]
	ds_load_b128 v[34:37], v40 offset:112
	s_wait_dscnt 0x5
	v_fmac_f32_e32 v52, v73, v58
	v_fmac_f32_e32 v53, v72, v58
	ds_load_2addr_b32 v[74:75], v48 offset0:128 offset1:144
	ds_load_b128 v[54:57], v40 offset:2160
	s_wait_dscnt 0x6
	v_fmac_f32_e32 v25, v73, v62
	v_fmac_f32_e32 v50, v72, v62
	ds_load_2addr_b32 v[72:73], v48 offset0:160 offset1:176
	s_wait_dscnt 0x6
	v_fmac_f32_e32 v52, v67, v59
	v_fmac_f32_e32 v53, v66, v59
	v_fmac_f32_e32 v25, v67, v63
	v_fmac_f32_e32 v50, v66, v63
	ds_load_2addr_b32 v[58:59], v48 offset0:192 offset1:208
	s_wait_dscnt 0x6
	v_fmac_f32_e32 v52, v69, v60
	v_fmac_f32_e32 v53, v68, v60
	;; [unrolled: 6-line block ×3, first 2 shown]
	v_fmac_f32_e32 v25, v71, v65
	v_fmac_f32_e32 v50, v70, v65
	s_wait_alu 0xf1ff
	v_add_co_ci_u32_e64 v33, null, s39, v33, s5
	s_wait_dscnt 0x4
	v_fmac_f32_e32 v52, v75, v34
	v_fmac_f32_e32 v53, v74, v34
	s_wait_dscnt 0x3
	v_fmac_f32_e32 v25, v75, v54
	v_fmac_f32_e32 v50, v74, v54
	v_add_co_u32 v28, s5, 0x80, v28
	s_wait_dscnt 0x2
	v_fmac_f32_e32 v52, v73, v35
	v_fmac_f32_e32 v53, v72, v35
	;; [unrolled: 1-line block ×4, first 2 shown]
	s_wait_alu 0xf1ff
	v_add_co_ci_u32_e64 v29, null, 0, v29, s5
	s_wait_dscnt 0x1
	v_fmac_f32_e32 v52, v59, v36
	v_fmac_f32_e32 v53, v58, v36
	;; [unrolled: 1-line block ×4, first 2 shown]
	v_add_co_u32 v30, s5, v30, s38
	s_wait_dscnt 0x0
	v_fmac_f32_e32 v52, v63, v37
	v_fmac_f32_e32 v53, v62, v37
	;; [unrolled: 1-line block ×4, first 2 shown]
	s_wait_alu 0xf1ff
	v_add_co_ci_u32_e64 v31, null, s39, v31, s5
	s_add_nc_u64 s[44:45], s[44:45], 32
	s_wait_loadcnt 0x0
	s_wait_alu 0xfffe
	s_cmp_ge_i32 s44, s49
	s_barrier_signal -1
	s_barrier_wait -1
	global_inv scope:SCOPE_SE
	s_cbranch_scc1 .LBB3_47
.LBB3_10:                               ;   Parent Loop BB3_4 Depth=1
                                        ;     Parent Loop BB3_7 Depth=2
                                        ; =>    This Inner Loop Header: Depth=3
	s_wait_alu 0xfffe
	v_add_co_u32 v34, s5, v0, s44
	s_wait_alu 0xf1ff
	v_add_co_ci_u32_e64 v35, null, s45, v1, s5
	v_cmp_eq_u64_e64 s7, s[44:45], v[8:9]
                                        ; implicit-def: $vgpr54
	s_delay_alu instid0(VALU_DEP_2)
	v_cmp_le_i64_e64 s6, s[36:37], v[34:35]
	v_cmp_lt_i64_e64 s5, v[34:35], v[2:3]
	s_and_b32 s56, s51, s7
	v_add_co_u32 v36, s7, v30, v16
	s_wait_alu 0xf1ff
	v_add_co_ci_u32_e64 v37, null, v31, v17, s7
	s_or_b32 s8, s6, s5
	s_wait_alu 0xfffe
	s_or_b32 s7, s8, s56
	s_wait_alu 0xfffe
	s_nor_b32 s7, s0, s7
	s_wait_alu 0xfffe
	s_and_saveexec_b32 s8, s7
	s_wait_alu 0xfffe
	s_xor_b32 s7, exec_lo, s8
	s_cbranch_execz .LBB3_12
; %bb.11:                               ;   in Loop: Header=BB3_10 Depth=3
	global_load_b32 v54, v[36:37], off
.LBB3_12:                               ;   in Loop: Header=BB3_10 Depth=3
	s_wait_alu 0xfffe
	s_and_not1_saveexec_b32 s7, s7
	s_cbranch_execz .LBB3_14
; %bb.13:                               ;   in Loop: Header=BB3_10 Depth=3
	s_wait_loadcnt 0x0
	v_cndmask_b32_e64 v54, 0, 1.0, s56
.LBB3_14:                               ;   in Loop: Header=BB3_10 Depth=3
	s_wait_alu 0xfffe
	s_or_b32 exec_lo, exec_lo, s7
	v_cmp_eq_u64_e64 s7, s[44:45], v[10:11]
	v_cmp_gt_i64_e64 s8, v[4:5], v[34:35]
	s_wait_loadcnt 0x0
	ds_store_b32 v41, v54
	s_and_b32 s7, s51, s7
	s_or_b32 s6, s6, s8
	s_wait_alu 0xfffe
	s_or_b32 s6, s6, s7
	s_wait_alu 0xfffe
	s_nor_b32 s6, s1, s6
	s_wait_alu 0xfffe
	s_and_saveexec_b32 s8, s6
	s_wait_alu 0xfffe
	s_xor_b32 s6, exec_lo, s8
	s_cbranch_execz .LBB3_16
; %bb.15:                               ;   in Loop: Header=BB3_10 Depth=3
	global_load_b32 v36, v[36:37], off offset:64
	s_wait_loadcnt 0x0
	ds_store_b32 v41, v36 offset:64
.LBB3_16:                               ;   in Loop: Header=BB3_10 Depth=3
	s_wait_alu 0xfffe
	s_and_not1_saveexec_b32 s6, s6
	s_cbranch_execz .LBB3_22
; %bb.17:                               ;   in Loop: Header=BB3_10 Depth=3
	s_xor_b32 s7, s7, -1
	s_wait_alu 0xfffe
	s_and_saveexec_b32 s8, s7
	s_wait_alu 0xfffe
	s_xor_b32 s7, exec_lo, s8
; %bb.18:                               ;   in Loop: Header=BB3_10 Depth=3
	ds_store_b32 v41, v44 offset:64
; %bb.19:                               ;   in Loop: Header=BB3_10 Depth=3
	s_wait_alu 0xfffe
	s_and_not1_saveexec_b32 s7, s7
; %bb.20:                               ;   in Loop: Header=BB3_10 Depth=3
	ds_store_b32 v41, v45 offset:64
; %bb.21:                               ;   in Loop: Header=BB3_10 Depth=3
	s_wait_alu 0xfffe
	s_or_b32 exec_lo, exec_lo, s7
.LBB3_22:                               ;   in Loop: Header=BB3_10 Depth=3
	s_wait_alu 0xfffe
	s_or_b32 exec_lo, exec_lo, s6
	v_add_co_u32 v34, s6, v34, 16
	s_wait_alu 0xf1ff
	v_add_co_ci_u32_e64 v35, null, 0, v35, s6
	v_cmp_eq_u64_e64 s7, s[44:45], v[14:15]
                                        ; implicit-def: $vgpr36
	s_delay_alu instid0(VALU_DEP_2)
	v_cmp_le_i64_e64 s6, s[36:37], v[34:35]
	v_cmp_lt_i64_e64 s8, v[34:35], v[2:3]
	s_and_b32 s57, s51, s7
	v_add_co_u32 v34, s7, v32, v16
	s_wait_alu 0xf1ff
	v_add_co_ci_u32_e64 v35, null, v33, v17, s7
	s_or_b32 s8, s6, s8
	s_wait_alu 0xfffe
	s_or_b32 s7, s8, s57
	s_wait_alu 0xfffe
	s_nor_b32 s7, s0, s7
	s_wait_alu 0xfffe
	s_and_saveexec_b32 s8, s7
	s_wait_alu 0xfffe
	s_xor_b32 s7, exec_lo, s8
	s_cbranch_execz .LBB3_24
; %bb.23:                               ;   in Loop: Header=BB3_10 Depth=3
	global_load_b32 v36, v[34:35], off
.LBB3_24:                               ;   in Loop: Header=BB3_10 Depth=3
	s_wait_alu 0xfffe
	s_and_not1_saveexec_b32 s7, s7
	s_cbranch_execz .LBB3_26
; %bb.25:                               ;   in Loop: Header=BB3_10 Depth=3
	s_wait_loadcnt 0x0
	v_cndmask_b32_e64 v36, 0, 1.0, s57
.LBB3_26:                               ;   in Loop: Header=BB3_10 Depth=3
	s_wait_alu 0xfffe
	s_or_b32 exec_lo, exec_lo, s7
	s_or_b32 s5, s6, s5
	s_wait_loadcnt 0x0
	ds_store_b32 v41, v36 offset:2048
	s_wait_alu 0xfffe
	s_or_b32 s5, s5, s56
	s_wait_alu 0xfffe
	s_nor_b32 s5, s1, s5
	s_wait_alu 0xfffe
	s_and_saveexec_b32 s6, s5
	s_wait_alu 0xfffe
	s_xor_b32 s5, exec_lo, s6
	s_cbranch_execz .LBB3_28
; %bb.27:                               ;   in Loop: Header=BB3_10 Depth=3
	global_load_b32 v34, v[34:35], off offset:64
	s_wait_loadcnt 0x0
	ds_store_b32 v41, v34 offset:2112
.LBB3_28:                               ;   in Loop: Header=BB3_10 Depth=3
	s_wait_alu 0xfffe
	s_and_not1_saveexec_b32 s5, s5
	s_cbranch_execz .LBB3_34
; %bb.29:                               ;   in Loop: Header=BB3_10 Depth=3
	s_xor_b32 s6, s56, -1
	s_wait_alu 0xfffe
	s_and_saveexec_b32 s7, s6
	s_wait_alu 0xfffe
	s_xor_b32 s6, exec_lo, s7
; %bb.30:                               ;   in Loop: Header=BB3_10 Depth=3
	ds_store_b32 v41, v44 offset:2112
; %bb.31:                               ;   in Loop: Header=BB3_10 Depth=3
	s_wait_alu 0xfffe
	s_and_not1_saveexec_b32 s6, s6
; %bb.32:                               ;   in Loop: Header=BB3_10 Depth=3
	ds_store_b32 v41, v45 offset:2112
; %bb.33:                               ;   in Loop: Header=BB3_10 Depth=3
	s_wait_alu 0xfffe
	s_or_b32 exec_lo, exec_lo, s6
.LBB3_34:                               ;   in Loop: Header=BB3_10 Depth=3
	s_wait_alu 0xfffe
	s_or_b32 exec_lo, exec_lo, s5
	v_add_co_u32 v36, s5, v2, s44
	s_wait_alu 0xf1ff
	v_add_co_ci_u32_e64 v37, null, s45, v3, s5
	v_add_co_u32 v34, s6, v26, v16
	s_wait_alu 0xf1ff
	v_add_co_ci_u32_e64 v35, null, v27, v17, s6
	s_delay_alu instid0(VALU_DEP_3)
	v_cmp_gt_i64_e64 s5, s[36:37], v[36:37]
	v_mov_b32_e32 v54, 0
	s_and_b32 s7, vcc_lo, s5
	s_wait_alu 0xfffe
	s_and_saveexec_b32 s6, s7
	s_cbranch_execz .LBB3_36
; %bb.35:                               ;   in Loop: Header=BB3_10 Depth=3
	global_load_b32 v54, v[34:35], off offset:-64
.LBB3_36:                               ;   in Loop: Header=BB3_10 Depth=3
	s_wait_alu 0xfffe
	s_or_b32 exec_lo, exec_lo, s6
	v_cmp_gt_i64_e64 s6, s[40:41], v[36:37]
	s_wait_loadcnt 0x0
	ds_store_b32 v42, v54
	s_and_b32 s7, vcc_lo, s6
	s_wait_alu 0xfffe
	s_xor_b32 s7, s7, -1
	s_wait_alu 0xfffe
	s_and_saveexec_b32 s8, s7
	s_wait_alu 0xfffe
	s_xor_b32 s7, exec_lo, s8
; %bb.37:                               ;   in Loop: Header=BB3_10 Depth=3
	ds_store_b32 v42, v44 offset:64
                                        ; implicit-def: $vgpr34_vgpr35
; %bb.38:                               ;   in Loop: Header=BB3_10 Depth=3
	s_wait_alu 0xfffe
	s_and_not1_saveexec_b32 s7, s7
	s_cbranch_execz .LBB3_40
; %bb.39:                               ;   in Loop: Header=BB3_10 Depth=3
	global_load_b32 v34, v[34:35], off
	s_wait_loadcnt 0x0
	ds_store_b32 v42, v34 offset:64
.LBB3_40:                               ;   in Loop: Header=BB3_10 Depth=3
	s_wait_alu 0xfffe
	s_or_b32 exec_lo, exec_lo, s7
	v_add_co_u32 v34, s7, v28, v16
	s_wait_alu 0xf1ff
	v_add_co_ci_u32_e64 v35, null, v29, v17, s7
	v_mov_b32_e32 v36, 0
	s_and_b32 s7, s4, s5
	s_wait_alu 0xfffe
	s_and_saveexec_b32 s5, s7
	s_cbranch_execz .LBB3_42
; %bb.41:                               ;   in Loop: Header=BB3_10 Depth=3
	global_load_b32 v36, v[34:35], off offset:-64
.LBB3_42:                               ;   in Loop: Header=BB3_10 Depth=3
	s_wait_alu 0xfffe
	s_or_b32 exec_lo, exec_lo, s5
	s_and_b32 s5, s4, s6
	s_wait_loadcnt 0x0
	ds_store_b32 v42, v36 offset:2048
	s_wait_alu 0xfffe
	s_xor_b32 s5, s5, -1
	s_wait_alu 0xfffe
	s_and_saveexec_b32 s6, s5
	s_wait_alu 0xfffe
	s_xor_b32 s5, exec_lo, s6
; %bb.43:                               ;   in Loop: Header=BB3_10 Depth=3
	ds_store_b32 v42, v44 offset:2112
                                        ; implicit-def: $vgpr34_vgpr35
; %bb.44:                               ;   in Loop: Header=BB3_10 Depth=3
	s_wait_alu 0xfffe
	s_and_not1_saveexec_b32 s5, s5
	s_cbranch_execz .LBB3_9
; %bb.45:                               ;   in Loop: Header=BB3_10 Depth=3
	global_load_b32 v34, v[34:35], off
	s_wait_loadcnt 0x0
	ds_store_b32 v42, v34 offset:2112
	s_branch .LBB3_9
.LBB3_46:                               ;   in Loop: Header=BB3_7 Depth=2
	v_dual_mov_b32 v53, 0 :: v_dual_mov_b32 v52, 0
	v_dual_mov_b32 v50, 0 :: v_dual_mov_b32 v25, 0
.LBB3_47:                               ;   in Loop: Header=BB3_7 Depth=2
	v_mul_lo_u32 v28, s25, v49
	v_mul_lo_u32 v29, s24, v51
	v_mad_co_u64_u32 v[26:27], null, s24, v49, 0
	v_cmp_gt_i32_e32 vcc_lo, s30, v49
	s_delay_alu instid0(VALU_DEP_2) | instskip(NEXT) | instid1(VALU_DEP_1)
	v_add3_u32 v27, v27, v29, v28
	v_lshlrev_b64_e32 v[26:27], 2, v[26:27]
	s_delay_alu instid0(VALU_DEP_1) | instskip(SKIP_1) | instid1(VALU_DEP_2)
	v_add_co_u32 v26, s4, s42, v26
	s_wait_alu 0xf1ff
	v_add_co_ci_u32_e64 v27, null, s43, v27, s4
	s_and_b32 s4, s2, vcc_lo
	s_wait_alu 0xfffe
	s_and_saveexec_b32 s5, s4
	s_cbranch_execz .LBB3_49
; %bb.48:                               ;   in Loop: Header=BB3_7 Depth=2
	v_add_co_u32 v28, s4, v26, v16
	s_wait_alu 0xf1ff
	v_add_co_ci_u32_e64 v29, null, v27, v17, s4
	global_load_b32 v30, v[28:29], off
	s_wait_loadcnt 0x0
	v_fmac_f32_e32 v30, s31, v53
	global_store_b32 v[28:29], v30, off
.LBB3_49:                               ;   in Loop: Header=BB3_7 Depth=2
	s_wait_alu 0xfffe
	s_or_b32 exec_lo, exec_lo, s5
	s_and_b32 s5, s3, vcc_lo
	s_wait_alu 0xfffe
	s_and_saveexec_b32 s4, s5
	s_cbranch_execz .LBB3_51
; %bb.50:                               ;   in Loop: Header=BB3_7 Depth=2
	v_lshlrev_b64_e32 v[28:29], 2, v[6:7]
	s_delay_alu instid0(VALU_DEP_1) | instskip(SKIP_1) | instid1(VALU_DEP_2)
	v_add_co_u32 v26, vcc_lo, v26, v28
	s_wait_alu 0xfffd
	v_add_co_ci_u32_e64 v27, null, v27, v29, vcc_lo
	global_load_b32 v28, v[26:27], off
	s_wait_loadcnt 0x0
	v_fmac_f32_e32 v28, s31, v52
	global_store_b32 v[26:27], v28, off
.LBB3_51:                               ;   in Loop: Header=BB3_7 Depth=2
	s_wait_alu 0xfffe
	s_or_b32 exec_lo, exec_lo, s4
	v_add_nc_u32_e32 v28, 16, v49
	s_delay_alu instid0(VALU_DEP_1) | instskip(SKIP_3) | instid1(VALU_DEP_4)
	v_ashrrev_i32_e32 v29, 31, v28
	v_mul_lo_u32 v30, s25, v28
	v_mad_co_u64_u32 v[26:27], null, s24, v28, 0
	v_cmp_gt_i32_e32 vcc_lo, s30, v28
	v_mul_lo_u32 v29, s24, v29
	s_delay_alu instid0(VALU_DEP_1) | instskip(NEXT) | instid1(VALU_DEP_1)
	v_add3_u32 v27, v27, v29, v30
	v_lshlrev_b64_e32 v[26:27], 2, v[26:27]
	s_delay_alu instid0(VALU_DEP_1) | instskip(SKIP_1) | instid1(VALU_DEP_2)
	v_add_co_u32 v26, s4, s42, v26
	s_wait_alu 0xf1ff
	v_add_co_ci_u32_e64 v27, null, s43, v27, s4
	s_and_b32 s4, s2, vcc_lo
	s_wait_alu 0xfffe
	s_and_saveexec_b32 s5, s4
	s_cbranch_execz .LBB3_53
; %bb.52:                               ;   in Loop: Header=BB3_7 Depth=2
	v_add_co_u32 v28, s4, v26, v16
	s_wait_alu 0xf1ff
	v_add_co_ci_u32_e64 v29, null, v27, v17, s4
	global_load_b32 v30, v[28:29], off
	s_wait_loadcnt 0x0
	v_fmac_f32_e32 v30, s31, v50
	global_store_b32 v[28:29], v30, off
.LBB3_53:                               ;   in Loop: Header=BB3_7 Depth=2
	s_wait_alu 0xfffe
	s_or_b32 exec_lo, exec_lo, s5
	s_and_b32 s5, s3, vcc_lo
	s_wait_alu 0xfffe
	s_and_saveexec_b32 s4, s5
	s_cbranch_execz .LBB3_6
; %bb.54:                               ;   in Loop: Header=BB3_7 Depth=2
	v_lshlrev_b64_e32 v[28:29], 2, v[6:7]
	s_delay_alu instid0(VALU_DEP_1) | instskip(SKIP_1) | instid1(VALU_DEP_2)
	v_add_co_u32 v26, vcc_lo, v26, v28
	s_wait_alu 0xfffd
	v_add_co_ci_u32_e64 v27, null, v27, v29, vcc_lo
	global_load_b32 v28, v[26:27], off
	s_wait_loadcnt 0x0
	v_fmac_f32_e32 v28, s31, v25
	global_store_b32 v[26:27], v28, off
	s_branch .LBB3_6
.LBB3_55:
	s_endpgm
	.section	.rodata,"a",@progbits
	.p2align	6, 0x0
	.amdhsa_kernel _ZL30rocblas_trmm_outofplace_kernelIfLi32ELi2ELb1ELb1ELb0ELb0EfKffEv17rocblas_diagonal_iiT6_lPT7_lllS4_lllPT8_llli
		.amdhsa_group_segment_fixed_size 8192
		.amdhsa_private_segment_fixed_size 0
		.amdhsa_kernarg_size 384
		.amdhsa_user_sgpr_count 2
		.amdhsa_user_sgpr_dispatch_ptr 0
		.amdhsa_user_sgpr_queue_ptr 0
		.amdhsa_user_sgpr_kernarg_segment_ptr 1
		.amdhsa_user_sgpr_dispatch_id 0
		.amdhsa_user_sgpr_private_segment_size 0
		.amdhsa_wavefront_size32 1
		.amdhsa_uses_dynamic_stack 0
		.amdhsa_enable_private_segment 0
		.amdhsa_system_sgpr_workgroup_id_x 1
		.amdhsa_system_sgpr_workgroup_id_y 1
		.amdhsa_system_sgpr_workgroup_id_z 1
		.amdhsa_system_sgpr_workgroup_info 0
		.amdhsa_system_vgpr_workitem_id 1
		.amdhsa_next_free_vgpr 94
		.amdhsa_next_free_sgpr 58
		.amdhsa_reserve_vcc 1
		.amdhsa_float_round_mode_32 0
		.amdhsa_float_round_mode_16_64 0
		.amdhsa_float_denorm_mode_32 3
		.amdhsa_float_denorm_mode_16_64 3
		.amdhsa_fp16_overflow 0
		.amdhsa_workgroup_processor_mode 1
		.amdhsa_memory_ordered 1
		.amdhsa_forward_progress 1
		.amdhsa_inst_pref_size 28
		.amdhsa_round_robin_scheduling 0
		.amdhsa_exception_fp_ieee_invalid_op 0
		.amdhsa_exception_fp_denorm_src 0
		.amdhsa_exception_fp_ieee_div_zero 0
		.amdhsa_exception_fp_ieee_overflow 0
		.amdhsa_exception_fp_ieee_underflow 0
		.amdhsa_exception_fp_ieee_inexact 0
		.amdhsa_exception_int_div_zero 0
	.end_amdhsa_kernel
	.section	.text._ZL30rocblas_trmm_outofplace_kernelIfLi32ELi2ELb1ELb1ELb0ELb0EfKffEv17rocblas_diagonal_iiT6_lPT7_lllS4_lllPT8_llli,"axG",@progbits,_ZL30rocblas_trmm_outofplace_kernelIfLi32ELi2ELb1ELb1ELb0ELb0EfKffEv17rocblas_diagonal_iiT6_lPT7_lllS4_lllPT8_llli,comdat
.Lfunc_end3:
	.size	_ZL30rocblas_trmm_outofplace_kernelIfLi32ELi2ELb1ELb1ELb0ELb0EfKffEv17rocblas_diagonal_iiT6_lPT7_lllS4_lllPT8_llli, .Lfunc_end3-_ZL30rocblas_trmm_outofplace_kernelIfLi32ELi2ELb1ELb1ELb0ELb0EfKffEv17rocblas_diagonal_iiT6_lPT7_lllS4_lllPT8_llli
                                        ; -- End function
	.set _ZL30rocblas_trmm_outofplace_kernelIfLi32ELi2ELb1ELb1ELb0ELb0EfKffEv17rocblas_diagonal_iiT6_lPT7_lllS4_lllPT8_llli.num_vgpr, 94
	.set _ZL30rocblas_trmm_outofplace_kernelIfLi32ELi2ELb1ELb1ELb0ELb0EfKffEv17rocblas_diagonal_iiT6_lPT7_lllS4_lllPT8_llli.num_agpr, 0
	.set _ZL30rocblas_trmm_outofplace_kernelIfLi32ELi2ELb1ELb1ELb0ELb0EfKffEv17rocblas_diagonal_iiT6_lPT7_lllS4_lllPT8_llli.numbered_sgpr, 58
	.set _ZL30rocblas_trmm_outofplace_kernelIfLi32ELi2ELb1ELb1ELb0ELb0EfKffEv17rocblas_diagonal_iiT6_lPT7_lllS4_lllPT8_llli.num_named_barrier, 0
	.set _ZL30rocblas_trmm_outofplace_kernelIfLi32ELi2ELb1ELb1ELb0ELb0EfKffEv17rocblas_diagonal_iiT6_lPT7_lllS4_lllPT8_llli.private_seg_size, 0
	.set _ZL30rocblas_trmm_outofplace_kernelIfLi32ELi2ELb1ELb1ELb0ELb0EfKffEv17rocblas_diagonal_iiT6_lPT7_lllS4_lllPT8_llli.uses_vcc, 1
	.set _ZL30rocblas_trmm_outofplace_kernelIfLi32ELi2ELb1ELb1ELb0ELb0EfKffEv17rocblas_diagonal_iiT6_lPT7_lllS4_lllPT8_llli.uses_flat_scratch, 0
	.set _ZL30rocblas_trmm_outofplace_kernelIfLi32ELi2ELb1ELb1ELb0ELb0EfKffEv17rocblas_diagonal_iiT6_lPT7_lllS4_lllPT8_llli.has_dyn_sized_stack, 0
	.set _ZL30rocblas_trmm_outofplace_kernelIfLi32ELi2ELb1ELb1ELb0ELb0EfKffEv17rocblas_diagonal_iiT6_lPT7_lllS4_lllPT8_llli.has_recursion, 0
	.set _ZL30rocblas_trmm_outofplace_kernelIfLi32ELi2ELb1ELb1ELb0ELb0EfKffEv17rocblas_diagonal_iiT6_lPT7_lllS4_lllPT8_llli.has_indirect_call, 0
	.section	.AMDGPU.csdata,"",@progbits
; Kernel info:
; codeLenInByte = 3560
; TotalNumSgprs: 60
; NumVgprs: 94
; ScratchSize: 0
; MemoryBound: 0
; FloatMode: 240
; IeeeMode: 1
; LDSByteSize: 8192 bytes/workgroup (compile time only)
; SGPRBlocks: 0
; VGPRBlocks: 11
; NumSGPRsForWavesPerEU: 60
; NumVGPRsForWavesPerEU: 94
; Occupancy: 16
; WaveLimiterHint : 0
; COMPUTE_PGM_RSRC2:SCRATCH_EN: 0
; COMPUTE_PGM_RSRC2:USER_SGPR: 2
; COMPUTE_PGM_RSRC2:TRAP_HANDLER: 0
; COMPUTE_PGM_RSRC2:TGID_X_EN: 1
; COMPUTE_PGM_RSRC2:TGID_Y_EN: 1
; COMPUTE_PGM_RSRC2:TGID_Z_EN: 1
; COMPUTE_PGM_RSRC2:TIDIG_COMP_CNT: 1
	.section	.text._ZL30rocblas_trmm_outofplace_kernelIfLi32ELi2ELb1ELb0ELb1ELb0EPKfS0_fEv17rocblas_diagonal_iiT6_lPT7_lllS5_lllPT8_llli,"axG",@progbits,_ZL30rocblas_trmm_outofplace_kernelIfLi32ELi2ELb1ELb0ELb1ELb0EPKfS0_fEv17rocblas_diagonal_iiT6_lPT7_lllS5_lllPT8_llli,comdat
	.globl	_ZL30rocblas_trmm_outofplace_kernelIfLi32ELi2ELb1ELb0ELb1ELb0EPKfS0_fEv17rocblas_diagonal_iiT6_lPT7_lllS5_lllPT8_llli ; -- Begin function _ZL30rocblas_trmm_outofplace_kernelIfLi32ELi2ELb1ELb0ELb1ELb0EPKfS0_fEv17rocblas_diagonal_iiT6_lPT7_lllS5_lllPT8_llli
	.p2align	8
	.type	_ZL30rocblas_trmm_outofplace_kernelIfLi32ELi2ELb1ELb0ELb1ELb0EPKfS0_fEv17rocblas_diagonal_iiT6_lPT7_lllS5_lllPT8_llli,@function
_ZL30rocblas_trmm_outofplace_kernelIfLi32ELi2ELb1ELb0ELb1ELb0EPKfS0_fEv17rocblas_diagonal_iiT6_lPT7_lllS5_lllPT8_llli: ; @_ZL30rocblas_trmm_outofplace_kernelIfLi32ELi2ELb1ELb0ELb1ELb0EPKfS0_fEv17rocblas_diagonal_iiT6_lPT7_lllS5_lllPT8_llli
; %bb.0:
	s_load_b32 s11, s[0:1], 0x80
	s_lshr_b32 s34, ttmp7, 16
	s_wait_kmcnt 0x0
	s_cmp_ge_u32 s34, s11
	s_cbranch_scc1 .LBB4_56
; %bb.1:
	s_clause 0x3
	s_load_b96 s[8:10], s[0:1], 0x0
	s_load_b256 s[36:43], s[0:1], 0x50
	s_load_b512 s[12:27], s[0:1], 0x10
	s_load_b128 s[28:31], s[0:1], 0x70
	s_add_nc_u64 s[44:45], s[0:1], 0x88
	v_bfe_u32 v38, v0, 10, 10
	v_dual_mov_b32 v44, 0 :: v_dual_and_b32 v1, 0x3ff, v0
	s_and_b32 s33, ttmp7, 0xffff
	s_delay_alu instid0(VALU_DEP_2) | instskip(NEXT) | instid1(VALU_DEP_2)
	v_dual_mov_b32 v45, 1.0 :: v_dual_lshlrev_b32 v0, 7, v38
	v_lshlrev_b32_e32 v39, 2, v1
	v_lshl_add_u32 v43, s33, 5, v38
	s_mov_b32 s35, 0
	s_delay_alu instid0(VALU_DEP_3) | instskip(NEXT) | instid1(VALU_DEP_3)
	v_add_nc_u32_e32 v40, 0x1000, v0
	v_add_nc_u32_e32 v41, v39, v0
	;; [unrolled: 1-line block ×5, first 2 shown]
	s_wait_kmcnt 0x0
	s_add_co_i32 s2, s10, -1
	v_add_nc_u32_e32 v42, v40, v39
	s_ashr_i32 s3, s2, 31
	s_mov_b32 s50, s10
	s_lshr_b32 s0, s3, 27
	s_delay_alu instid0(SALU_CYCLE_1)
	s_add_co_i32 s2, s2, s0
	s_lshl_b64 s[0:1], s[42:43], 2
	s_ashr_i32 s48, s2, 5
	s_mov_b32 s42, s9
	s_cmp_le_i32 s33, s48
	s_add_nc_u64 s[40:41], s[40:41], s[0:1]
	s_cselect_b32 s49, -1, 0
	s_lshl_b32 s2, ttmp9, 5
	s_delay_alu instid0(SALU_CYCLE_1) | instskip(SKIP_2) | instid1(SALU_CYCLE_1)
	v_add_nc_u32_e32 v2, s2, v1
	v_add_nc_u32_e32 v0, s2, v38
	s_sub_co_i32 s51, s9, s2
	s_cmp_gt_i32 s51, 0
	s_delay_alu instid0(VALU_DEP_2) | instskip(NEXT) | instid1(VALU_DEP_2)
	v_ashrrev_i32_e32 v3, 31, v2
	v_ashrrev_i32_e32 v1, 31, v0
	v_add_co_u32 v6, vcc_lo, v2, 16
	v_mul_lo_u32 v21, s21, v2
	s_delay_alu instid0(VALU_DEP_4) | instskip(SKIP_4) | instid1(VALU_DEP_3)
	v_add_co_ci_u32_e64 v7, null, 0, v3, vcc_lo
	v_sub_co_u32 v8, vcc_lo, v2, v0
	v_lshlrev_b64_e32 v[10:11], 2, v[2:3]
	s_wait_alu 0xfffd
	v_sub_co_ci_u32_e64 v9, null, v3, v1, vcc_lo
	v_add_co_u32 v12, vcc_lo, v8, 16
	v_mul_lo_u32 v20, s20, v3
	v_mad_co_u64_u32 v[16:17], null, s20, v2, 0
	s_wait_alu 0xfffd
	v_add_co_ci_u32_e64 v13, null, 0, v9, vcc_lo
	v_add_co_u32 v18, vcc_lo, v10, 64
	s_wait_alu 0xfffd
	v_add_co_ci_u32_e64 v19, null, 0, v11, vcc_lo
	s_cselect_b32 s52, -1, 0
	s_cmp_eq_u32 s8, 0x84
	v_mul_lo_u32 v23, s21, v18
	s_cselect_b32 s53, -1, 0
	s_lshl_b64 s[6:7], s[18:19], 2
	s_lshl_b64 s[4:5], s[26:27], 2
	v_mul_lo_u32 v22, s20, v19
	v_mad_co_u64_u32 v[18:19], null, s20, v18, s[6:7]
	v_add3_u32 v17, v17, v20, v21
	v_add_co_u32 v14, vcc_lo, v8, -16
	s_add_nc_u64 s[4:5], s[24:25], s[4:5]
	s_wait_alu 0xfffd
	v_add_co_ci_u32_e64 v15, null, -1, v9, vcc_lo
	v_add_co_u32 v24, vcc_lo, s4, v10
	v_lshlrev_b64_e32 v[20:21], 2, v[16:17]
	s_wait_alu 0xfffd
	v_add_co_ci_u32_e64 v25, null, s5, v11, vcc_lo
	v_add3_u32 v19, v23, v19, v22
	v_lshlrev_b64_e32 v[22:23], 2, v[0:1]
	v_add_co_u32 v16, vcc_lo, v24, 64
	s_wait_alu 0xfffd
	v_add_co_ci_u32_e64 v17, null, 0, v25, vcc_lo
	v_add_co_u32 v20, vcc_lo, v20, s6
	s_wait_alu 0xfffd
	v_add_co_ci_u32_e64 v21, null, s7, v21, vcc_lo
	;; [unrolled: 3-line block ×3, first 2 shown]
	v_add_co_u32 v20, vcc_lo, v20, v22
	v_add_nc_u32_e32 v4, 16, v2
	s_wait_alu 0xfffd
	v_add_co_ci_u32_e64 v21, null, v21, v23, vcc_lo
	v_add_co_u32 v18, vcc_lo, s16, v18
	s_ashr_i32 s43, s9, 31
	s_wait_alu 0xfffd
	v_add_co_ci_u32_e64 v19, null, s17, v19, vcc_lo
	v_add_co_u32 v20, vcc_lo, s16, v20
	v_cmp_le_i64_e64 s3, s[42:43], v[6:7]
	v_cmp_le_i32_e64 s0, s9, v2
	v_cmp_gt_i32_e64 s1, s9, v2
	v_cmp_gt_i32_e64 s2, s9, v4
	v_ashrrev_i32_e32 v5, 31, v4
	s_wait_alu 0xfffd
	v_add_co_ci_u32_e64 v21, null, s17, v21, vcc_lo
	s_ashr_i32 s54, s10, 31
	s_add_nc_u64 s[46:47], s[42:43], -16
	s_lshl_b64 s[16:17], s[38:39], 2
	s_lshl_b64 s[18:19], s[36:37], 2
	;; [unrolled: 1-line block ×3, first 2 shown]
	s_branch .LBB4_4
.LBB4_2:                                ;   in Loop: Header=BB4_4 Depth=1
	s_add_co_i32 s34, s34, 0x10000
	s_wait_alu 0xfffe
	s_cmp_ge_u32 s34, s11
	s_cselect_b32 s4, -1, 0
.LBB4_3:                                ;   in Loop: Header=BB4_4 Depth=1
	s_wait_alu 0xfffe
	s_and_b32 vcc_lo, exec_lo, s4
	s_wait_alu 0xfffe
	s_cbranch_vccnz .LBB4_56
.LBB4_4:                                ; =>This Loop Header: Depth=1
                                        ;     Child Loop BB4_8 Depth 2
                                        ;       Child Loop BB4_11 Depth 3
	s_mul_u64 s[4:5], s[14:15], s[34:35]
	s_wait_alu 0xfffe
	s_lshl_b64 s[4:5], s[4:5], 2
	s_wait_alu 0xfffe
	s_add_nc_u64 s[4:5], s[12:13], s[4:5]
	global_load_b32 v49, v44, s[4:5]
	s_mov_b32 s4, -1
	s_wait_loadcnt 0x0
	v_cmp_eq_f32_e32 vcc_lo, 0, v49
	s_cbranch_vccnz .LBB4_3
; %bb.5:                                ;   in Loop: Header=BB4_4 Depth=1
	s_and_not1_b32 vcc_lo, exec_lo, s49
	s_wait_alu 0xfffe
	s_cbranch_vccnz .LBB4_2
; %bb.6:                                ;   in Loop: Header=BB4_4 Depth=1
	s_load_b32 s9, s[44:45], 0x4
	v_mad_co_u64_u32 v[22:23], null, s16, s34, v[16:17]
	v_mad_co_u64_u32 v[24:25], null, s20, s34, v[18:19]
	;; [unrolled: 1-line block ×3, first 2 shown]
	s_mul_i32 s6, s21, s34
	s_mul_u64 s[4:5], s[30:31], s[34:35]
	s_mov_b32 s39, s33
	s_wait_alu 0xfffe
	s_lshl_b64 s[4:5], s[4:5], 2
	v_mad_co_u64_u32 v[28:29], null, s17, s34, v[23:24]
	v_add_nc_u32_e32 v25, s6, v25
	v_add_nc_u32_e32 v27, s6, v27
	s_wait_alu 0xfffe
	s_add_nc_u64 s[22:23], s[40:41], s[4:5]
	s_delay_alu instid0(VALU_DEP_3)
	v_dual_mov_b32 v23, v28 :: v_dual_mov_b32 v28, v43
	s_wait_kmcnt 0x0
	s_lshl_b32 s38, s9, 5
	s_branch .LBB4_8
.LBB4_7:                                ;   in Loop: Header=BB4_8 Depth=2
	s_wait_alu 0xfffe
	s_or_b32 exec_lo, exec_lo, s4
	v_add_nc_u32_e32 v28, s38, v28
	s_add_co_i32 s39, s9, s39
	s_wait_alu 0xfffe
	s_cmp_gt_i32 s39, s48
	s_cbranch_scc1 .LBB4_2
.LBB4_8:                                ;   Parent Loop BB4_4 Depth=1
                                        ; =>  This Loop Header: Depth=2
                                        ;       Child Loop BB4_11 Depth 3
	v_lshl_add_u32 v50, s39, 5, v38
	s_and_not1_b32 vcc_lo, exec_lo, s52
	s_delay_alu instid0(VALU_DEP_1)
	v_ashrrev_i32_e32 v52, 31, v50
	s_wait_alu 0xfffe
	s_cbranch_vccnz .LBB4_47
; %bb.9:                                ;   in Loop: Header=BB4_8 Depth=2
	v_ashrrev_i32_e32 v29, 31, v28
	v_mad_co_u64_u32 v[30:31], null, s18, v28, v[22:23]
	v_mul_lo_u32 v36, s19, v28
	v_mov_b32_e32 v51, 0
	s_delay_alu instid0(VALU_DEP_4)
	v_lshlrev_b64_e32 v[32:33], 2, v[28:29]
	v_mul_lo_u32 v37, s18, v29
	v_mov_b32_e32 v29, 0
	v_mov_b32_e32 v53, 0
	s_mov_b64 s[24:25], 0
	s_mov_b64 s[26:27], 0
	v_add_co_u32 v32, vcc_lo, v32, 64
	s_wait_alu 0xfffd
	v_add_co_ci_u32_e64 v33, null, 0, v33, vcc_lo
	v_sub_co_u32 v34, vcc_lo, s50, v50
	s_delay_alu instid0(VALU_DEP_3) | instskip(NEXT) | instid1(VALU_DEP_3)
	v_mul_lo_u32 v55, s37, v32
	v_mul_lo_u32 v54, s36, v33
	v_mad_co_u64_u32 v[32:33], null, s36, v32, v[22:23]
	s_wait_alu 0xfffd
	v_sub_co_ci_u32_e64 v35, null, s54, v52, vcc_lo
	v_add3_u32 v31, v36, v31, v37
	s_delay_alu instid0(VALU_DEP_2) | instskip(NEXT) | instid1(VALU_DEP_4)
	v_cmp_lt_i64_e64 s4, 16, v[34:35]
	v_add3_u32 v33, v55, v33, v54
	v_mov_b32_e32 v54, 0
	v_cmp_lt_i64_e32 vcc_lo, 0, v[34:35]
	s_branch .LBB4_11
.LBB4_10:                               ;   in Loop: Header=BB4_11 Depth=3
	s_wait_alu 0xfffe
	s_or_b32 exec_lo, exec_lo, s5
	s_wait_dscnt 0x0
	s_barrier_signal -1
	s_barrier_wait -1
	global_inv scope:SCOPE_SE
	ds_load_b128 v[34:37], v40
	ds_load_b128 v[55:58], v40 offset:16
	ds_load_b128 v[59:62], v40 offset:32
	;; [unrolled: 1-line block ×3, first 2 shown]
	ds_load_2addr_b32 v[71:72], v39 offset1:16
	ds_load_b128 v[67:70], v40 offset:2048
	s_add_nc_u64 s[26:27], s[26:27], 32
	s_add_nc_u64 s[24:25], s[24:25], 0x80
	s_wait_alu 0xfffe
	s_cmp_ge_i32 s26, s51
	s_wait_dscnt 0x0
	v_dual_fmac_f32 v54, v71, v34 :: v_dual_fmac_f32 v29, v72, v67
	v_fmac_f32_e32 v53, v72, v34
	v_fmac_f32_e32 v51, v71, v67
	ds_load_2addr_b32 v[71:72], v39 offset0:32 offset1:48
	s_wait_dscnt 0x0
	v_fmac_f32_e32 v54, v71, v35
	v_fmac_f32_e32 v53, v72, v35
	ds_load_2addr_b32 v[34:35], v39 offset0:64 offset1:80
	v_fmac_f32_e32 v29, v72, v68
	s_wait_dscnt 0x0
	v_fmac_f32_e32 v54, v34, v36
	v_fmac_f32_e32 v51, v71, v68
	;; [unrolled: 1-line block ×4, first 2 shown]
	ds_load_2addr_b32 v[67:68], v39 offset0:128 offset1:144
	v_fmac_f32_e32 v51, v34, v69
	ds_load_2addr_b32 v[34:35], v39 offset0:96 offset1:112
	s_wait_dscnt 0x0
	v_fmac_f32_e32 v54, v34, v37
	v_fmac_f32_e32 v53, v35, v37
	;; [unrolled: 1-line block ×4, first 2 shown]
	ds_load_b128 v[34:37], v40 offset:2064
	v_fmac_f32_e32 v54, v67, v55
	v_fmac_f32_e32 v53, v68, v55
	s_wait_dscnt 0x0
	v_fmac_f32_e32 v51, v67, v34
	v_fmac_f32_e32 v29, v68, v34
	ds_load_2addr_b32 v[67:68], v39 offset0:160 offset1:176
	s_wait_dscnt 0x0
	v_fmac_f32_e32 v51, v67, v35
	v_fmac_f32_e32 v29, v68, v35
	ds_load_2addr_b32 v[34:35], v39 offset0:192 offset1:208
	v_fmac_f32_e32 v54, v67, v56
	v_fmac_f32_e32 v53, v68, v56
	ds_load_2addr_b32 v[55:56], v46 offset1:16
	s_wait_dscnt 0x1
	v_fmac_f32_e32 v54, v34, v57
	v_fmac_f32_e32 v53, v35, v57
	;; [unrolled: 1-line block ×4, first 2 shown]
	ds_load_2addr_b32 v[34:35], v39 offset0:224 offset1:240
	s_wait_dscnt 0x0
	v_fmac_f32_e32 v54, v34, v58
	v_fmac_f32_e32 v53, v35, v58
	v_fmac_f32_e32 v51, v34, v37
	v_fmac_f32_e32 v29, v35, v37
	ds_load_b128 v[34:37], v40 offset:2080
	v_fmac_f32_e32 v54, v55, v59
	v_fmac_f32_e32 v53, v56, v59
	s_wait_dscnt 0x0
	v_fmac_f32_e32 v51, v55, v34
	v_fmac_f32_e32 v29, v56, v34
	ds_load_2addr_b32 v[55:56], v46 offset0:32 offset1:48
	s_wait_dscnt 0x0
	v_fmac_f32_e32 v51, v55, v35
	v_fmac_f32_e32 v29, v56, v35
	ds_load_2addr_b32 v[34:35], v46 offset0:64 offset1:80
	v_fmac_f32_e32 v54, v55, v60
	v_fmac_f32_e32 v53, v56, v60
	ds_load_2addr_b32 v[55:56], v46 offset0:128 offset1:144
	s_wait_dscnt 0x1
	v_fmac_f32_e32 v54, v34, v61
	v_fmac_f32_e32 v53, v35, v61
	;; [unrolled: 1-line block ×4, first 2 shown]
	ds_load_2addr_b32 v[34:35], v46 offset0:96 offset1:112
	s_wait_dscnt 0x0
	v_fmac_f32_e32 v54, v34, v62
	v_fmac_f32_e32 v53, v35, v62
	;; [unrolled: 1-line block ×4, first 2 shown]
	ds_load_b128 v[34:37], v40 offset:2096
	v_fmac_f32_e32 v54, v55, v63
	v_fmac_f32_e32 v53, v56, v63
	s_wait_dscnt 0x0
	v_fmac_f32_e32 v51, v55, v34
	v_fmac_f32_e32 v29, v56, v34
	ds_load_2addr_b32 v[55:56], v46 offset0:160 offset1:176
	s_wait_dscnt 0x0
	v_fmac_f32_e32 v51, v55, v35
	v_fmac_f32_e32 v29, v56, v35
	ds_load_2addr_b32 v[34:35], v46 offset0:192 offset1:208
	v_fmac_f32_e32 v54, v55, v64
	s_wait_dscnt 0x0
	s_delay_alu instid0(VALU_DEP_1) | instskip(NEXT) | instid1(VALU_DEP_1)
	v_dual_fmac_f32 v53, v56, v64 :: v_dual_fmac_f32 v54, v34, v65
	v_fmac_f32_e32 v53, v35, v65
	v_fmac_f32_e32 v51, v34, v36
	;; [unrolled: 1-line block ×3, first 2 shown]
	ds_load_2addr_b32 v[34:35], v46 offset0:224 offset1:240
	s_wait_dscnt 0x0
	v_fmac_f32_e32 v54, v34, v66
	v_fmac_f32_e32 v53, v35, v66
	;; [unrolled: 1-line block ×4, first 2 shown]
	ds_load_b128 v[34:37], v40 offset:64
	ds_load_2addr_b32 v[59:60], v47 offset1:16
	ds_load_b128 v[55:58], v40 offset:2112
	s_wait_dscnt 0x1
	v_fmac_f32_e32 v54, v59, v34
	v_fmac_f32_e32 v53, v60, v34
	s_wait_dscnt 0x0
	v_fmac_f32_e32 v51, v59, v55
	v_fmac_f32_e32 v29, v60, v55
	ds_load_2addr_b32 v[59:60], v47 offset0:32 offset1:48
	s_wait_dscnt 0x0
	v_fmac_f32_e32 v54, v59, v35
	v_fmac_f32_e32 v53, v60, v35
	ds_load_2addr_b32 v[34:35], v47 offset0:64 offset1:80
	v_fmac_f32_e32 v51, v59, v56
	v_fmac_f32_e32 v29, v60, v56
	s_wait_dscnt 0x0
	v_fmac_f32_e32 v54, v34, v36
	v_fmac_f32_e32 v53, v35, v36
	;; [unrolled: 1-line block ×4, first 2 shown]
	ds_load_2addr_b32 v[34:35], v47 offset0:96 offset1:112
	s_wait_dscnt 0x0
	v_fmac_f32_e32 v54, v34, v37
	v_fmac_f32_e32 v53, v35, v37
	;; [unrolled: 1-line block ×4, first 2 shown]
	ds_load_b128 v[34:37], v40 offset:80
	ds_load_2addr_b32 v[59:60], v47 offset0:128 offset1:144
	ds_load_b128 v[55:58], v40 offset:2128
	s_wait_dscnt 0x1
	v_fmac_f32_e32 v54, v59, v34
	v_fmac_f32_e32 v53, v60, v34
	s_wait_dscnt 0x0
	v_fmac_f32_e32 v51, v59, v55
	v_fmac_f32_e32 v29, v60, v55
	ds_load_2addr_b32 v[59:60], v47 offset0:160 offset1:176
	s_wait_dscnt 0x0
	v_fmac_f32_e32 v54, v59, v35
	v_fmac_f32_e32 v53, v60, v35
	ds_load_2addr_b32 v[34:35], v47 offset0:192 offset1:208
	v_fmac_f32_e32 v51, v59, v56
	v_fmac_f32_e32 v29, v60, v56
	s_wait_dscnt 0x0
	v_fmac_f32_e32 v54, v34, v36
	v_fmac_f32_e32 v53, v35, v36
	;; [unrolled: 1-line block ×4, first 2 shown]
	ds_load_2addr_b32 v[34:35], v47 offset0:224 offset1:240
	s_wait_dscnt 0x0
	v_fmac_f32_e32 v54, v34, v37
	v_fmac_f32_e32 v53, v35, v37
	;; [unrolled: 1-line block ×4, first 2 shown]
	ds_load_b128 v[34:37], v40 offset:96
	ds_load_2addr_b32 v[59:60], v48 offset1:16
	ds_load_b128 v[55:58], v40 offset:2144
	s_wait_dscnt 0x1
	v_fmac_f32_e32 v54, v59, v34
	v_fmac_f32_e32 v53, v60, v34
	s_wait_dscnt 0x0
	v_fmac_f32_e32 v51, v59, v55
	v_fmac_f32_e32 v29, v60, v55
	ds_load_2addr_b32 v[59:60], v48 offset0:32 offset1:48
	s_wait_dscnt 0x0
	v_fmac_f32_e32 v54, v59, v35
	v_fmac_f32_e32 v53, v60, v35
	ds_load_2addr_b32 v[34:35], v48 offset0:64 offset1:80
	v_fmac_f32_e32 v51, v59, v56
	v_fmac_f32_e32 v29, v60, v56
	s_wait_dscnt 0x0
	v_fmac_f32_e32 v54, v34, v36
	v_fmac_f32_e32 v53, v35, v36
	v_fmac_f32_e32 v51, v34, v57
	v_fmac_f32_e32 v29, v35, v57
	ds_load_2addr_b32 v[34:35], v48 offset0:96 offset1:112
	s_wait_dscnt 0x0
	v_fmac_f32_e32 v54, v34, v37
	v_fmac_f32_e32 v53, v35, v37
	;; [unrolled: 1-line block ×4, first 2 shown]
	ds_load_b128 v[34:37], v40 offset:112
	ds_load_2addr_b32 v[59:60], v48 offset0:128 offset1:144
	ds_load_b128 v[55:58], v40 offset:2160
	s_wait_dscnt 0x1
	v_fmac_f32_e32 v54, v59, v34
	v_fmac_f32_e32 v53, v60, v34
	s_wait_dscnt 0x0
	v_fmac_f32_e32 v51, v59, v55
	v_fmac_f32_e32 v29, v60, v55
	ds_load_2addr_b32 v[59:60], v48 offset0:160 offset1:176
	s_wait_dscnt 0x0
	v_fmac_f32_e32 v54, v59, v35
	v_fmac_f32_e32 v53, v60, v35
	ds_load_2addr_b32 v[34:35], v48 offset0:192 offset1:208
	v_fmac_f32_e32 v51, v59, v56
	v_fmac_f32_e32 v29, v60, v56
	s_wait_dscnt 0x0
	v_fmac_f32_e32 v54, v34, v36
	v_fmac_f32_e32 v53, v35, v36
	;; [unrolled: 1-line block ×4, first 2 shown]
	ds_load_2addr_b32 v[34:35], v48 offset0:224 offset1:240
	s_wait_loadcnt_dscnt 0x0
	s_barrier_signal -1
	s_barrier_wait -1
	global_inv scope:SCOPE_SE
	v_fmac_f32_e32 v54, v34, v37
	v_fmac_f32_e32 v53, v35, v37
	;; [unrolled: 1-line block ×4, first 2 shown]
	s_cbranch_scc1 .LBB4_48
.LBB4_11:                               ;   Parent Loop BB4_4 Depth=1
                                        ;     Parent Loop BB4_8 Depth=2
                                        ; =>    This Inner Loop Header: Depth=3
	s_wait_alu 0xfffe
	v_add_co_u32 v36, s5, v0, s26
	s_wait_alu 0xf1ff
	v_add_co_ci_u32_e64 v37, null, s27, v1, s5
	v_cmp_eq_u64_e64 s7, s[26:27], v[8:9]
                                        ; implicit-def: $vgpr55
	s_delay_alu instid0(VALU_DEP_2)
	v_cmp_le_i64_e64 s6, s[42:43], v[36:37]
	v_cmp_lt_i64_e64 s5, v[36:37], v[2:3]
	s_and_b32 s55, s53, s7
	v_add_co_u32 v34, s7, v26, s24
	s_wait_alu 0xf1ff
	v_add_co_ci_u32_e64 v35, null, s25, v27, s7
	s_or_b32 s8, s6, s5
	s_wait_alu 0xfffe
	s_or_b32 s7, s8, s55
	s_wait_alu 0xfffe
	s_nor_b32 s7, s0, s7
	s_wait_alu 0xfffe
	s_and_saveexec_b32 s8, s7
	s_wait_alu 0xfffe
	s_xor_b32 s7, exec_lo, s8
	s_cbranch_execz .LBB4_13
; %bb.12:                               ;   in Loop: Header=BB4_11 Depth=3
	global_load_b32 v55, v[34:35], off
.LBB4_13:                               ;   in Loop: Header=BB4_11 Depth=3
	s_wait_alu 0xfffe
	s_and_not1_saveexec_b32 s7, s7
	s_cbranch_execz .LBB4_15
; %bb.14:                               ;   in Loop: Header=BB4_11 Depth=3
	s_wait_loadcnt 0x0
	v_cndmask_b32_e64 v55, 0, 1.0, s55
.LBB4_15:                               ;   in Loop: Header=BB4_11 Depth=3
	s_wait_alu 0xfffe
	s_or_b32 exec_lo, exec_lo, s7
	v_cmp_eq_u64_e64 s7, s[26:27], v[12:13]
	v_cmp_gt_i64_e64 s8, v[6:7], v[36:37]
	s_wait_loadcnt 0x0
	ds_store_b32 v41, v55
	s_and_b32 s7, s53, s7
	s_or_b32 s6, s6, s8
	s_wait_alu 0xfffe
	s_or_b32 s6, s6, s7
	s_wait_alu 0xfffe
	s_nor_b32 s6, s3, s6
	s_wait_alu 0xfffe
	s_and_saveexec_b32 s8, s6
	s_wait_alu 0xfffe
	s_xor_b32 s8, exec_lo, s8
	s_cbranch_execz .LBB4_17
; %bb.16:                               ;   in Loop: Header=BB4_11 Depth=3
	v_add_co_u32 v55, s6, v24, s24
	s_wait_alu 0xf1ff
	v_add_co_ci_u32_e64 v56, null, s25, v25, s6
	global_load_b32 v55, v[55:56], off
	s_wait_loadcnt 0x0
	ds_store_b32 v41, v55 offset:64
.LBB4_17:                               ;   in Loop: Header=BB4_11 Depth=3
	s_wait_alu 0xfffe
	s_and_not1_saveexec_b32 s6, s8
	s_cbranch_execz .LBB4_23
; %bb.18:                               ;   in Loop: Header=BB4_11 Depth=3
	s_xor_b32 s7, s7, -1
	s_wait_alu 0xfffe
	s_and_saveexec_b32 s8, s7
	s_wait_alu 0xfffe
	s_xor_b32 s7, exec_lo, s8
; %bb.19:                               ;   in Loop: Header=BB4_11 Depth=3
	ds_store_b32 v41, v44 offset:64
; %bb.20:                               ;   in Loop: Header=BB4_11 Depth=3
	s_wait_alu 0xfffe
	s_and_not1_saveexec_b32 s7, s7
; %bb.21:                               ;   in Loop: Header=BB4_11 Depth=3
	ds_store_b32 v41, v45 offset:64
; %bb.22:                               ;   in Loop: Header=BB4_11 Depth=3
	s_wait_alu 0xfffe
	s_or_b32 exec_lo, exec_lo, s7
.LBB4_23:                               ;   in Loop: Header=BB4_11 Depth=3
	s_wait_alu 0xfffe
	s_or_b32 exec_lo, exec_lo, s6
	v_add_co_u32 v36, s6, v36, 16
	s_wait_alu 0xf1ff
	v_add_co_ci_u32_e64 v37, null, 0, v37, s6
	v_cmp_eq_u64_e64 s7, s[26:27], v[14:15]
	s_delay_alu instid0(VALU_DEP_2)
	v_cmp_le_i64_e64 s6, s[42:43], v[36:37]
	v_cmp_lt_i64_e64 s8, v[36:37], v[2:3]
                                        ; implicit-def: $vgpr36
	s_and_b32 s7, s53, s7
	s_or_b32 s8, s6, s8
	s_wait_alu 0xfffe
	s_or_b32 s8, s8, s7
	s_wait_alu 0xfffe
	s_nor_b32 s8, s0, s8
	s_wait_alu 0xfffe
	s_and_saveexec_b32 s56, s8
	s_delay_alu instid0(SALU_CYCLE_1)
	s_xor_b32 s8, exec_lo, s56
	s_cbranch_execz .LBB4_25
; %bb.24:                               ;   in Loop: Header=BB4_11 Depth=3
	global_load_b32 v36, v[34:35], off offset:64
.LBB4_25:                               ;   in Loop: Header=BB4_11 Depth=3
	s_wait_alu 0xfffe
	s_and_not1_saveexec_b32 s8, s8
	s_cbranch_execz .LBB4_27
; %bb.26:                               ;   in Loop: Header=BB4_11 Depth=3
	s_wait_loadcnt 0x0
	v_cndmask_b32_e64 v36, 0, 1.0, s7
.LBB4_27:                               ;   in Loop: Header=BB4_11 Depth=3
	s_wait_alu 0xfffe
	s_or_b32 exec_lo, exec_lo, s8
	s_or_b32 s5, s6, s5
	s_wait_loadcnt 0x0
	ds_store_b32 v41, v36 offset:2048
	s_wait_alu 0xfffe
	s_or_b32 s5, s5, s55
	s_wait_alu 0xfffe
	s_nor_b32 s5, s3, s5
	s_wait_alu 0xfffe
	s_and_saveexec_b32 s6, s5
	s_wait_alu 0xfffe
	s_xor_b32 s6, exec_lo, s6
	s_cbranch_execz .LBB4_29
; %bb.28:                               ;   in Loop: Header=BB4_11 Depth=3
	v_add_co_u32 v34, s5, v24, s24
	s_wait_alu 0xf1ff
	v_add_co_ci_u32_e64 v35, null, s25, v25, s5
	global_load_b32 v34, v[34:35], off offset:64
	s_wait_loadcnt 0x0
	ds_store_b32 v41, v34 offset:2112
.LBB4_29:                               ;   in Loop: Header=BB4_11 Depth=3
	s_wait_alu 0xfffe
	s_and_not1_saveexec_b32 s5, s6
	s_cbranch_execz .LBB4_35
; %bb.30:                               ;   in Loop: Header=BB4_11 Depth=3
	s_xor_b32 s6, s55, -1
	s_wait_alu 0xfffe
	s_and_saveexec_b32 s7, s6
	s_wait_alu 0xfffe
	s_xor_b32 s6, exec_lo, s7
; %bb.31:                               ;   in Loop: Header=BB4_11 Depth=3
	ds_store_b32 v41, v44 offset:2112
; %bb.32:                               ;   in Loop: Header=BB4_11 Depth=3
	s_wait_alu 0xfffe
	s_and_not1_saveexec_b32 s6, s6
; %bb.33:                               ;   in Loop: Header=BB4_11 Depth=3
	ds_store_b32 v41, v45 offset:2112
; %bb.34:                               ;   in Loop: Header=BB4_11 Depth=3
	s_wait_alu 0xfffe
	s_or_b32 exec_lo, exec_lo, s6
.LBB4_35:                               ;   in Loop: Header=BB4_11 Depth=3
	s_wait_alu 0xfffe
	s_or_b32 exec_lo, exec_lo, s5
	v_add_co_u32 v36, s5, v2, s26
	s_wait_alu 0xf1ff
	v_add_co_ci_u32_e64 v37, null, s27, v3, s5
	v_add_co_u32 v34, s6, v30, s24
	s_wait_alu 0xf1ff
	v_add_co_ci_u32_e64 v35, null, s25, v31, s6
	s_delay_alu instid0(VALU_DEP_3)
	v_cmp_gt_i64_e64 s5, s[42:43], v[36:37]
	v_mov_b32_e32 v55, 0
	s_and_b32 s7, vcc_lo, s5
	s_wait_alu 0xfffe
	s_and_saveexec_b32 s6, s7
	s_cbranch_execz .LBB4_37
; %bb.36:                               ;   in Loop: Header=BB4_11 Depth=3
	global_load_b32 v55, v[34:35], off offset:-64
.LBB4_37:                               ;   in Loop: Header=BB4_11 Depth=3
	s_wait_alu 0xfffe
	s_or_b32 exec_lo, exec_lo, s6
	v_cmp_gt_i64_e64 s6, s[46:47], v[36:37]
	s_wait_loadcnt 0x0
	ds_store_b32 v42, v55
	s_and_b32 s7, vcc_lo, s6
	s_wait_alu 0xfffe
	s_xor_b32 s7, s7, -1
	s_wait_alu 0xfffe
	s_and_saveexec_b32 s8, s7
	s_wait_alu 0xfffe
	s_xor_b32 s7, exec_lo, s8
; %bb.38:                               ;   in Loop: Header=BB4_11 Depth=3
	ds_store_b32 v42, v44 offset:64
                                        ; implicit-def: $vgpr34_vgpr35
; %bb.39:                               ;   in Loop: Header=BB4_11 Depth=3
	s_wait_alu 0xfffe
	s_and_not1_saveexec_b32 s7, s7
	s_cbranch_execz .LBB4_41
; %bb.40:                               ;   in Loop: Header=BB4_11 Depth=3
	global_load_b32 v34, v[34:35], off
	s_wait_loadcnt 0x0
	ds_store_b32 v42, v34 offset:64
.LBB4_41:                               ;   in Loop: Header=BB4_11 Depth=3
	s_wait_alu 0xfffe
	s_or_b32 exec_lo, exec_lo, s7
	v_add_co_u32 v34, s7, v32, s24
	s_wait_alu 0xf1ff
	v_add_co_ci_u32_e64 v35, null, s25, v33, s7
	v_mov_b32_e32 v36, 0
	s_and_b32 s7, s4, s5
	s_wait_alu 0xfffe
	s_and_saveexec_b32 s5, s7
	s_cbranch_execz .LBB4_43
; %bb.42:                               ;   in Loop: Header=BB4_11 Depth=3
	global_load_b32 v36, v[34:35], off offset:-64
.LBB4_43:                               ;   in Loop: Header=BB4_11 Depth=3
	s_wait_alu 0xfffe
	s_or_b32 exec_lo, exec_lo, s5
	s_and_b32 s5, s4, s6
	s_wait_loadcnt 0x0
	ds_store_b32 v42, v36 offset:2048
	s_wait_alu 0xfffe
	s_xor_b32 s5, s5, -1
	s_wait_alu 0xfffe
	s_and_saveexec_b32 s6, s5
	s_wait_alu 0xfffe
	s_xor_b32 s5, exec_lo, s6
; %bb.44:                               ;   in Loop: Header=BB4_11 Depth=3
	ds_store_b32 v42, v44 offset:2112
                                        ; implicit-def: $vgpr34_vgpr35
; %bb.45:                               ;   in Loop: Header=BB4_11 Depth=3
	s_wait_alu 0xfffe
	s_and_not1_saveexec_b32 s5, s5
	s_cbranch_execz .LBB4_10
; %bb.46:                               ;   in Loop: Header=BB4_11 Depth=3
	global_load_b32 v34, v[34:35], off
	s_wait_loadcnt 0x0
	ds_store_b32 v42, v34 offset:2112
	s_branch .LBB4_10
.LBB4_47:                               ;   in Loop: Header=BB4_8 Depth=2
	v_dual_mov_b32 v54, 0 :: v_dual_mov_b32 v53, 0
	v_mov_b32_e32 v51, 0
	v_mov_b32_e32 v29, 0
.LBB4_48:                               ;   in Loop: Header=BB4_8 Depth=2
	v_mul_lo_u32 v32, s29, v50
	v_mul_lo_u32 v33, s28, v52
	v_mad_co_u64_u32 v[30:31], null, s28, v50, 0
	v_cmp_gt_i32_e32 vcc_lo, s10, v50
	s_delay_alu instid0(VALU_DEP_2) | instskip(NEXT) | instid1(VALU_DEP_1)
	v_add3_u32 v31, v31, v33, v32
	v_lshlrev_b64_e32 v[30:31], 2, v[30:31]
	s_delay_alu instid0(VALU_DEP_1) | instskip(SKIP_1) | instid1(VALU_DEP_2)
	v_add_co_u32 v30, s4, s22, v30
	s_wait_alu 0xf1ff
	v_add_co_ci_u32_e64 v31, null, s23, v31, s4
	s_and_b32 s4, s1, vcc_lo
	s_wait_alu 0xfffe
	s_and_saveexec_b32 s5, s4
	s_cbranch_execz .LBB4_50
; %bb.49:                               ;   in Loop: Header=BB4_8 Depth=2
	v_add_co_u32 v32, s4, v30, v10
	s_wait_alu 0xf1ff
	v_add_co_ci_u32_e64 v33, null, v31, v11, s4
	global_load_b32 v34, v[32:33], off
	s_wait_loadcnt 0x0
	v_fmac_f32_e32 v34, v49, v54
	global_store_b32 v[32:33], v34, off
.LBB4_50:                               ;   in Loop: Header=BB4_8 Depth=2
	s_wait_alu 0xfffe
	s_or_b32 exec_lo, exec_lo, s5
	s_and_b32 s5, s2, vcc_lo
	s_wait_alu 0xfffe
	s_and_saveexec_b32 s4, s5
	s_cbranch_execz .LBB4_52
; %bb.51:                               ;   in Loop: Header=BB4_8 Depth=2
	v_lshlrev_b64_e32 v[32:33], 2, v[4:5]
	s_delay_alu instid0(VALU_DEP_1) | instskip(SKIP_1) | instid1(VALU_DEP_2)
	v_add_co_u32 v30, vcc_lo, v30, v32
	s_wait_alu 0xfffd
	v_add_co_ci_u32_e64 v31, null, v31, v33, vcc_lo
	global_load_b32 v32, v[30:31], off
	s_wait_loadcnt 0x0
	v_fmac_f32_e32 v32, v49, v53
	global_store_b32 v[30:31], v32, off
.LBB4_52:                               ;   in Loop: Header=BB4_8 Depth=2
	s_wait_alu 0xfffe
	s_or_b32 exec_lo, exec_lo, s4
	v_add_nc_u32_e32 v32, 16, v50
	s_delay_alu instid0(VALU_DEP_1) | instskip(SKIP_3) | instid1(VALU_DEP_4)
	v_ashrrev_i32_e32 v33, 31, v32
	v_mul_lo_u32 v34, s29, v32
	v_mad_co_u64_u32 v[30:31], null, s28, v32, 0
	v_cmp_gt_i32_e32 vcc_lo, s10, v32
	v_mul_lo_u32 v33, s28, v33
	s_delay_alu instid0(VALU_DEP_1) | instskip(NEXT) | instid1(VALU_DEP_1)
	v_add3_u32 v31, v31, v33, v34
	v_lshlrev_b64_e32 v[30:31], 2, v[30:31]
	s_delay_alu instid0(VALU_DEP_1) | instskip(SKIP_1) | instid1(VALU_DEP_2)
	v_add_co_u32 v30, s4, s22, v30
	s_wait_alu 0xf1ff
	v_add_co_ci_u32_e64 v31, null, s23, v31, s4
	s_and_b32 s4, s1, vcc_lo
	s_wait_alu 0xfffe
	s_and_saveexec_b32 s5, s4
	s_cbranch_execz .LBB4_54
; %bb.53:                               ;   in Loop: Header=BB4_8 Depth=2
	v_add_co_u32 v32, s4, v30, v10
	s_wait_alu 0xf1ff
	v_add_co_ci_u32_e64 v33, null, v31, v11, s4
	global_load_b32 v34, v[32:33], off
	s_wait_loadcnt 0x0
	v_fmac_f32_e32 v34, v49, v51
	global_store_b32 v[32:33], v34, off
.LBB4_54:                               ;   in Loop: Header=BB4_8 Depth=2
	s_wait_alu 0xfffe
	s_or_b32 exec_lo, exec_lo, s5
	s_and_b32 s5, s2, vcc_lo
	s_wait_alu 0xfffe
	s_and_saveexec_b32 s4, s5
	s_cbranch_execz .LBB4_7
; %bb.55:                               ;   in Loop: Header=BB4_8 Depth=2
	v_lshlrev_b64_e32 v[32:33], 2, v[4:5]
	s_delay_alu instid0(VALU_DEP_1) | instskip(SKIP_1) | instid1(VALU_DEP_2)
	v_add_co_u32 v30, vcc_lo, v30, v32
	s_wait_alu 0xfffd
	v_add_co_ci_u32_e64 v31, null, v31, v33, vcc_lo
	global_load_b32 v32, v[30:31], off
	s_wait_loadcnt 0x0
	v_fmac_f32_e32 v32, v49, v29
	global_store_b32 v[30:31], v32, off
	s_branch .LBB4_7
.LBB4_56:
	s_endpgm
	.section	.rodata,"a",@progbits
	.p2align	6, 0x0
	.amdhsa_kernel _ZL30rocblas_trmm_outofplace_kernelIfLi32ELi2ELb1ELb0ELb1ELb0EPKfS0_fEv17rocblas_diagonal_iiT6_lPT7_lllS5_lllPT8_llli
		.amdhsa_group_segment_fixed_size 8192
		.amdhsa_private_segment_fixed_size 0
		.amdhsa_kernarg_size 392
		.amdhsa_user_sgpr_count 2
		.amdhsa_user_sgpr_dispatch_ptr 0
		.amdhsa_user_sgpr_queue_ptr 0
		.amdhsa_user_sgpr_kernarg_segment_ptr 1
		.amdhsa_user_sgpr_dispatch_id 0
		.amdhsa_user_sgpr_private_segment_size 0
		.amdhsa_wavefront_size32 1
		.amdhsa_uses_dynamic_stack 0
		.amdhsa_enable_private_segment 0
		.amdhsa_system_sgpr_workgroup_id_x 1
		.amdhsa_system_sgpr_workgroup_id_y 1
		.amdhsa_system_sgpr_workgroup_id_z 1
		.amdhsa_system_sgpr_workgroup_info 0
		.amdhsa_system_vgpr_workitem_id 1
		.amdhsa_next_free_vgpr 73
		.amdhsa_next_free_sgpr 57
		.amdhsa_reserve_vcc 1
		.amdhsa_float_round_mode_32 0
		.amdhsa_float_round_mode_16_64 0
		.amdhsa_float_denorm_mode_32 3
		.amdhsa_float_denorm_mode_16_64 3
		.amdhsa_fp16_overflow 0
		.amdhsa_workgroup_processor_mode 1
		.amdhsa_memory_ordered 1
		.amdhsa_forward_progress 1
		.amdhsa_inst_pref_size 29
		.amdhsa_round_robin_scheduling 0
		.amdhsa_exception_fp_ieee_invalid_op 0
		.amdhsa_exception_fp_denorm_src 0
		.amdhsa_exception_fp_ieee_div_zero 0
		.amdhsa_exception_fp_ieee_overflow 0
		.amdhsa_exception_fp_ieee_underflow 0
		.amdhsa_exception_fp_ieee_inexact 0
		.amdhsa_exception_int_div_zero 0
	.end_amdhsa_kernel
	.section	.text._ZL30rocblas_trmm_outofplace_kernelIfLi32ELi2ELb1ELb0ELb1ELb0EPKfS0_fEv17rocblas_diagonal_iiT6_lPT7_lllS5_lllPT8_llli,"axG",@progbits,_ZL30rocblas_trmm_outofplace_kernelIfLi32ELi2ELb1ELb0ELb1ELb0EPKfS0_fEv17rocblas_diagonal_iiT6_lPT7_lllS5_lllPT8_llli,comdat
.Lfunc_end4:
	.size	_ZL30rocblas_trmm_outofplace_kernelIfLi32ELi2ELb1ELb0ELb1ELb0EPKfS0_fEv17rocblas_diagonal_iiT6_lPT7_lllS5_lllPT8_llli, .Lfunc_end4-_ZL30rocblas_trmm_outofplace_kernelIfLi32ELi2ELb1ELb0ELb1ELb0EPKfS0_fEv17rocblas_diagonal_iiT6_lPT7_lllS5_lllPT8_llli
                                        ; -- End function
	.set _ZL30rocblas_trmm_outofplace_kernelIfLi32ELi2ELb1ELb0ELb1ELb0EPKfS0_fEv17rocblas_diagonal_iiT6_lPT7_lllS5_lllPT8_llli.num_vgpr, 73
	.set _ZL30rocblas_trmm_outofplace_kernelIfLi32ELi2ELb1ELb0ELb1ELb0EPKfS0_fEv17rocblas_diagonal_iiT6_lPT7_lllS5_lllPT8_llli.num_agpr, 0
	.set _ZL30rocblas_trmm_outofplace_kernelIfLi32ELi2ELb1ELb0ELb1ELb0EPKfS0_fEv17rocblas_diagonal_iiT6_lPT7_lllS5_lllPT8_llli.numbered_sgpr, 57
	.set _ZL30rocblas_trmm_outofplace_kernelIfLi32ELi2ELb1ELb0ELb1ELb0EPKfS0_fEv17rocblas_diagonal_iiT6_lPT7_lllS5_lllPT8_llli.num_named_barrier, 0
	.set _ZL30rocblas_trmm_outofplace_kernelIfLi32ELi2ELb1ELb0ELb1ELb0EPKfS0_fEv17rocblas_diagonal_iiT6_lPT7_lllS5_lllPT8_llli.private_seg_size, 0
	.set _ZL30rocblas_trmm_outofplace_kernelIfLi32ELi2ELb1ELb0ELb1ELb0EPKfS0_fEv17rocblas_diagonal_iiT6_lPT7_lllS5_lllPT8_llli.uses_vcc, 1
	.set _ZL30rocblas_trmm_outofplace_kernelIfLi32ELi2ELb1ELb0ELb1ELb0EPKfS0_fEv17rocblas_diagonal_iiT6_lPT7_lllS5_lllPT8_llli.uses_flat_scratch, 0
	.set _ZL30rocblas_trmm_outofplace_kernelIfLi32ELi2ELb1ELb0ELb1ELb0EPKfS0_fEv17rocblas_diagonal_iiT6_lPT7_lllS5_lllPT8_llli.has_dyn_sized_stack, 0
	.set _ZL30rocblas_trmm_outofplace_kernelIfLi32ELi2ELb1ELb0ELb1ELb0EPKfS0_fEv17rocblas_diagonal_iiT6_lPT7_lllS5_lllPT8_llli.has_recursion, 0
	.set _ZL30rocblas_trmm_outofplace_kernelIfLi32ELi2ELb1ELb0ELb1ELb0EPKfS0_fEv17rocblas_diagonal_iiT6_lPT7_lllS5_lllPT8_llli.has_indirect_call, 0
	.section	.AMDGPU.csdata,"",@progbits
; Kernel info:
; codeLenInByte = 3680
; TotalNumSgprs: 59
; NumVgprs: 73
; ScratchSize: 0
; MemoryBound: 0
; FloatMode: 240
; IeeeMode: 1
; LDSByteSize: 8192 bytes/workgroup (compile time only)
; SGPRBlocks: 0
; VGPRBlocks: 9
; NumSGPRsForWavesPerEU: 59
; NumVGPRsForWavesPerEU: 73
; Occupancy: 16
; WaveLimiterHint : 0
; COMPUTE_PGM_RSRC2:SCRATCH_EN: 0
; COMPUTE_PGM_RSRC2:USER_SGPR: 2
; COMPUTE_PGM_RSRC2:TRAP_HANDLER: 0
; COMPUTE_PGM_RSRC2:TGID_X_EN: 1
; COMPUTE_PGM_RSRC2:TGID_Y_EN: 1
; COMPUTE_PGM_RSRC2:TGID_Z_EN: 1
; COMPUTE_PGM_RSRC2:TIDIG_COMP_CNT: 1
	.section	.text._ZL30rocblas_trmm_outofplace_kernelIfLi32ELi2ELb1ELb0ELb1ELb0EfKffEv17rocblas_diagonal_iiT6_lPT7_lllS4_lllPT8_llli,"axG",@progbits,_ZL30rocblas_trmm_outofplace_kernelIfLi32ELi2ELb1ELb0ELb1ELb0EfKffEv17rocblas_diagonal_iiT6_lPT7_lllS4_lllPT8_llli,comdat
	.globl	_ZL30rocblas_trmm_outofplace_kernelIfLi32ELi2ELb1ELb0ELb1ELb0EfKffEv17rocblas_diagonal_iiT6_lPT7_lllS4_lllPT8_llli ; -- Begin function _ZL30rocblas_trmm_outofplace_kernelIfLi32ELi2ELb1ELb0ELb1ELb0EfKffEv17rocblas_diagonal_iiT6_lPT7_lllS4_lllPT8_llli
	.p2align	8
	.type	_ZL30rocblas_trmm_outofplace_kernelIfLi32ELi2ELb1ELb0ELb1ELb0EfKffEv17rocblas_diagonal_iiT6_lPT7_lllS4_lllPT8_llli,@function
_ZL30rocblas_trmm_outofplace_kernelIfLi32ELi2ELb1ELb0ELb1ELb0EfKffEv17rocblas_diagonal_iiT6_lPT7_lllS4_lllPT8_llli: ; @_ZL30rocblas_trmm_outofplace_kernelIfLi32ELi2ELb1ELb0ELb1ELb0EfKffEv17rocblas_diagonal_iiT6_lPT7_lllS4_lllPT8_llli
; %bb.0:
	s_load_b32 s33, s[0:1], 0x78
	s_lshr_b32 s34, ttmp7, 16
	s_wait_kmcnt 0x0
	s_cmp_ge_u32 s34, s33
	s_cbranch_scc1 .LBB5_55
; %bb.1:
	s_load_b128 s[28:31], s[0:1], 0x0
	s_mov_b32 s35, 0
	s_wait_kmcnt 0x0
	s_cmp_eq_f32 s31, 0
	s_cbranch_scc1 .LBB5_55
; %bb.2:
	s_add_co_i32 s2, s30, -1
	s_and_b32 s42, ttmp7, 0xffff
	s_ashr_i32 s3, s2, 31
	v_dual_mov_b32 v45, 1.0 :: v_dual_and_b32 v4, 0x3ff, v0
	s_lshr_b32 s3, s3, 27
	s_load_b512 s[4:19], s[0:1], 0x18
	s_add_co_i32 s2, s2, s3
	v_bfe_u32 v38, v0, 10, 10
	s_ashr_i32 s43, s2, 5
	v_lshlrev_b32_e32 v39, 2, v4
	s_cmp_le_i32 s42, s43
	s_delay_alu instid0(VALU_DEP_2)
	v_dual_mov_b32 v44, 0 :: v_dual_lshlrev_b32 v5, 7, v38
	s_cselect_b32 s44, -1, 0
	s_lshl_b32 s2, ttmp9, 5
	s_load_b256 s[20:27], s[0:1], 0x58
	v_add_nc_u32_e32 v2, s2, v4
	v_add_nc_u32_e32 v0, s2, v38
	;; [unrolled: 1-line block ×4, first 2 shown]
	s_sub_co_i32 s45, s29, s2
	v_ashrrev_i32_e32 v3, 31, v2
	v_ashrrev_i32_e32 v1, 31, v0
	v_add_co_u32 v4, vcc_lo, v2, 16
	s_wait_kmcnt 0x0
	v_mul_lo_u32 v21, s9, v2
	v_add_co_ci_u32_e64 v5, null, 0, v3, vcc_lo
	v_sub_co_u32 v8, vcc_lo, v2, v0
	v_lshlrev_b64_e32 v[10:11], 2, v[2:3]
	s_wait_alu 0xfffd
	v_sub_co_ci_u32_e64 v9, null, v3, v1, vcc_lo
	s_delay_alu instid0(VALU_DEP_3)
	v_add_co_u32 v12, vcc_lo, v8, 16
	v_mul_lo_u32 v20, s8, v3
	v_mad_co_u64_u32 v[16:17], null, s8, v2, 0
	s_wait_alu 0xfffd
	v_add_co_ci_u32_e64 v13, null, 0, v9, vcc_lo
	v_add_co_u32 v18, vcc_lo, v10, 64
	s_cmp_gt_i32 s45, 0
	s_wait_alu 0xfffd
	v_add_co_ci_u32_e64 v19, null, 0, v11, vcc_lo
	s_cselect_b32 s46, -1, 0
	s_cmp_eq_u32 s28, 0x84
	v_mul_lo_u32 v23, s9, v18
	s_cselect_b32 s47, -1, 0
	s_lshl_b64 s[6:7], s[6:7], 2
	s_lshl_b64 s[14:15], s[14:15], 2
	v_mul_lo_u32 v22, s8, v19
	v_mad_co_u64_u32 v[18:19], null, s8, v18, s[6:7]
	v_add3_u32 v17, v17, v20, v21
	v_add_co_u32 v14, vcc_lo, v8, -16
	s_add_nc_u64 s[12:13], s[12:13], s[14:15]
	s_wait_alu 0xfffd
	v_add_co_ci_u32_e64 v15, null, -1, v9, vcc_lo
	v_add_co_u32 v24, vcc_lo, s12, v10
	v_lshlrev_b64_e32 v[20:21], 2, v[16:17]
	s_wait_alu 0xfffd
	v_add_co_ci_u32_e64 v25, null, s13, v11, vcc_lo
	v_add3_u32 v19, v23, v19, v22
	v_lshlrev_b64_e32 v[22:23], 2, v[0:1]
	v_add_co_u32 v16, vcc_lo, v24, 64
	s_wait_alu 0xfffd
	v_add_co_ci_u32_e64 v17, null, 0, v25, vcc_lo
	v_add_co_u32 v20, vcc_lo, v20, s6
	s_wait_alu 0xfffd
	v_add_co_ci_u32_e64 v21, null, s7, v21, vcc_lo
	;; [unrolled: 3-line block ×3, first 2 shown]
	v_add_co_u32 v20, vcc_lo, v20, v22
	v_add_nc_u32_e32 v6, 16, v2
	s_wait_alu 0xfffd
	v_add_co_ci_u32_e64 v21, null, v21, v23, vcc_lo
	v_add_co_u32 v18, vcc_lo, s4, v18
	s_ashr_i32 s37, s29, 31
	s_mov_b32 s36, s29
	s_lshl_b64 s[2:3], s[22:23], 2
	s_wait_alu 0xfffd
	v_add_co_ci_u32_e64 v19, null, s5, v19, vcc_lo
	v_add_co_u32 v20, vcc_lo, s4, v20
	s_add_nc_u64 s[22:23], s[0:1], 0x80
	v_cmp_le_i64_e64 s1, s[36:37], v[4:5]
	v_add_nc_u32_e32 v42, v40, v39
	s_wait_alu 0xfffe
	s_add_nc_u64 s[20:21], s[20:21], s[2:3]
	v_cmp_le_i32_e64 s0, s29, v2
	v_cmp_gt_i32_e64 s2, s29, v2
	v_cmp_gt_i32_e64 s3, s29, v6
	v_ashrrev_i32_e32 v7, 31, v6
	v_lshl_add_u32 v43, s42, 5, v38
	s_wait_alu 0xfffd
	v_add_co_ci_u32_e64 v21, null, s5, v21, vcc_lo
	v_add_nc_u32_e32 v46, 0x400, v39
	v_add_nc_u32_e32 v47, 0x800, v39
	;; [unrolled: 1-line block ×3, first 2 shown]
	s_ashr_i32 s48, s30, 31
	s_mov_b32 s49, s30
	s_add_nc_u64 s[38:39], s[36:37], -16
	s_lshl_b64 s[12:13], s[18:19], 2
	s_lshl_b64 s[14:15], s[16:17], 2
	;; [unrolled: 1-line block ×3, first 2 shown]
	s_branch .LBB5_4
.LBB5_3:                                ;   in Loop: Header=BB5_4 Depth=1
	s_add_co_i32 s34, s34, 0x10000
	s_wait_alu 0xfffe
	s_cmp_ge_u32 s34, s33
	s_cbranch_scc1 .LBB5_55
.LBB5_4:                                ; =>This Loop Header: Depth=1
                                        ;     Child Loop BB5_7 Depth 2
                                        ;       Child Loop BB5_10 Depth 3
	s_and_not1_b32 vcc_lo, exec_lo, s44
	s_wait_alu 0xfffe
	s_cbranch_vccnz .LBB5_3
; %bb.5:                                ;   in Loop: Header=BB5_4 Depth=1
	s_load_b32 s9, s[22:23], 0x4
	v_mad_co_u64_u32 v[22:23], null, s12, s34, v[16:17]
	v_mad_co_u64_u32 v[24:25], null, s10, s34, v[18:19]
	;; [unrolled: 1-line block ×3, first 2 shown]
	s_mul_i32 s6, s11, s34
	s_mul_u64 s[4:5], s[26:27], s[34:35]
	s_mov_b32 s51, s42
	s_wait_alu 0xfffe
	s_lshl_b64 s[4:5], s[4:5], 2
	v_mad_co_u64_u32 v[28:29], null, s13, s34, v[23:24]
	v_add_nc_u32_e32 v25, s6, v25
	v_add_nc_u32_e32 v27, s6, v27
	s_wait_alu 0xfffe
	s_add_nc_u64 s[18:19], s[20:21], s[4:5]
	s_delay_alu instid0(VALU_DEP_3)
	v_dual_mov_b32 v23, v28 :: v_dual_mov_b32 v28, v43
	s_wait_kmcnt 0x0
	s_lshl_b32 s50, s9, 5
	s_branch .LBB5_7
.LBB5_6:                                ;   in Loop: Header=BB5_7 Depth=2
	s_wait_alu 0xfffe
	s_or_b32 exec_lo, exec_lo, s4
	v_add_nc_u32_e32 v28, s50, v28
	s_add_co_i32 s51, s9, s51
	s_wait_alu 0xfffe
	s_cmp_gt_i32 s51, s43
	s_cbranch_scc1 .LBB5_3
.LBB5_7:                                ;   Parent Loop BB5_4 Depth=1
                                        ; =>  This Loop Header: Depth=2
                                        ;       Child Loop BB5_10 Depth 3
	v_lshl_add_u32 v49, s51, 5, v38
	s_and_not1_b32 vcc_lo, exec_lo, s46
	s_delay_alu instid0(VALU_DEP_1)
	v_ashrrev_i32_e32 v51, 31, v49
	s_wait_alu 0xfffe
	s_cbranch_vccnz .LBB5_46
; %bb.8:                                ;   in Loop: Header=BB5_7 Depth=2
	v_ashrrev_i32_e32 v29, 31, v28
	v_mad_co_u64_u32 v[30:31], null, s14, v28, v[22:23]
	v_mul_lo_u32 v36, s15, v28
	v_mov_b32_e32 v52, 0
	s_delay_alu instid0(VALU_DEP_4) | instskip(SKIP_4) | instid1(VALU_DEP_3)
	v_lshlrev_b64_e32 v[32:33], 2, v[28:29]
	v_mul_lo_u32 v37, s14, v29
	v_dual_mov_b32 v29, 0 :: v_dual_mov_b32 v50, 0
	s_mov_b64 s[28:29], 0
	s_mov_b64 s[40:41], 0
	v_add_co_u32 v32, vcc_lo, v32, 64
	s_wait_alu 0xfffd
	v_add_co_ci_u32_e64 v33, null, 0, v33, vcc_lo
	v_sub_co_u32 v34, vcc_lo, s49, v49
	s_delay_alu instid0(VALU_DEP_3) | instskip(NEXT) | instid1(VALU_DEP_3)
	v_mul_lo_u32 v54, s17, v32
	v_mul_lo_u32 v53, s16, v33
	v_mad_co_u64_u32 v[32:33], null, s16, v32, v[22:23]
	s_wait_alu 0xfffd
	v_sub_co_ci_u32_e64 v35, null, s48, v51, vcc_lo
	v_add3_u32 v31, v36, v31, v37
	s_delay_alu instid0(VALU_DEP_2) | instskip(NEXT) | instid1(VALU_DEP_4)
	v_cmp_lt_i64_e64 s4, 16, v[34:35]
	v_add3_u32 v33, v54, v33, v53
	v_mov_b32_e32 v53, 0
	v_cmp_lt_i64_e32 vcc_lo, 0, v[34:35]
	s_branch .LBB5_10
.LBB5_9:                                ;   in Loop: Header=BB5_10 Depth=3
	s_wait_alu 0xfffe
	s_or_b32 exec_lo, exec_lo, s5
	s_wait_dscnt 0x0
	s_barrier_signal -1
	s_barrier_wait -1
	global_inv scope:SCOPE_SE
	ds_load_b128 v[34:37], v40
	ds_load_2addr_b32 v[74:75], v39 offset1:16
	ds_load_b128 v[54:57], v40 offset:2048
	ds_load_2addr_b32 v[76:77], v39 offset0:32 offset1:48
	ds_load_b128 v[58:61], v40 offset:16
	ds_load_2addr_b32 v[78:79], v39 offset0:64 offset1:80
	ds_load_b128 v[62:65], v40 offset:32
	ds_load_b128 v[66:69], v40 offset:48
	ds_load_2addr_b32 v[80:81], v39 offset0:96 offset1:112
	ds_load_2addr_b32 v[82:83], v39 offset0:128 offset1:144
	ds_load_b128 v[70:73], v40 offset:2064
	ds_load_2addr_b32 v[84:85], v39 offset0:160 offset1:176
	ds_load_2addr_b32 v[86:87], v39 offset0:192 offset1:208
	;; [unrolled: 1-line block ×3, first 2 shown]
	ds_load_2addr_b32 v[90:91], v46 offset1:16
	ds_load_2addr_b32 v[92:93], v46 offset0:32 offset1:48
	s_add_nc_u64 s[40:41], s[40:41], 32
	s_add_nc_u64 s[28:29], s[28:29], 0x80
	s_wait_alu 0xfffe
	s_cmp_ge_i32 s40, s45
	s_wait_dscnt 0xe
	v_fmac_f32_e32 v52, v75, v34
	v_fmac_f32_e32 v53, v74, v34
	s_wait_dscnt 0xd
	v_fmac_f32_e32 v29, v75, v54
	v_fmac_f32_e32 v50, v74, v54
	ds_load_2addr_b32 v[74:75], v46 offset0:64 offset1:80
	s_wait_dscnt 0xd
	v_fmac_f32_e32 v52, v77, v35
	v_fmac_f32_e32 v53, v76, v35
	v_fmac_f32_e32 v29, v77, v55
	v_fmac_f32_e32 v50, v76, v55
	ds_load_2addr_b32 v[76:77], v46 offset0:96 offset1:112
	s_wait_dscnt 0xc
	v_fmac_f32_e32 v52, v79, v36
	v_fmac_f32_e32 v53, v78, v36
	;; [unrolled: 6-line block ×3, first 2 shown]
	v_fmac_f32_e32 v29, v81, v57
	v_fmac_f32_e32 v50, v80, v57
	ds_load_b128 v[34:37], v40 offset:2080
	ds_load_b128 v[54:57], v40 offset:2096
	s_wait_dscnt 0xb
	v_fmac_f32_e32 v52, v83, v58
	v_fmac_f32_e32 v53, v82, v58
	s_wait_dscnt 0xa
	v_fmac_f32_e32 v29, v83, v70
	v_fmac_f32_e32 v50, v82, v70
	ds_load_2addr_b32 v[80:81], v46 offset0:160 offset1:176
	s_wait_dscnt 0xa
	v_fmac_f32_e32 v52, v85, v59
	v_fmac_f32_e32 v53, v84, v59
	v_fmac_f32_e32 v29, v85, v71
	v_fmac_f32_e32 v50, v84, v71
	ds_load_2addr_b32 v[82:83], v46 offset0:192 offset1:208
	s_wait_dscnt 0xa
	v_fmac_f32_e32 v52, v87, v60
	v_fmac_f32_e32 v53, v86, v60
	;; [unrolled: 6-line block ×3, first 2 shown]
	v_fmac_f32_e32 v29, v89, v73
	v_fmac_f32_e32 v50, v88, v73
	ds_load_b128 v[58:61], v40 offset:64
	s_wait_dscnt 0xa
	v_fmac_f32_e32 v52, v91, v62
	v_fmac_f32_e32 v53, v90, v62
	s_wait_dscnt 0x5
	v_fmac_f32_e32 v29, v91, v34
	v_fmac_f32_e32 v50, v90, v34
	ds_load_2addr_b32 v[86:87], v47 offset1:16
	v_fmac_f32_e32 v52, v93, v63
	v_fmac_f32_e32 v53, v92, v63
	;; [unrolled: 1-line block ×4, first 2 shown]
	ds_load_b128 v[70:73], v40 offset:2112
	v_fmac_f32_e32 v52, v75, v64
	v_fmac_f32_e32 v53, v74, v64
	;; [unrolled: 1-line block ×4, first 2 shown]
	ds_load_2addr_b32 v[62:63], v47 offset0:32 offset1:48
	v_fmac_f32_e32 v52, v77, v65
	v_fmac_f32_e32 v53, v76, v65
	;; [unrolled: 1-line block ×4, first 2 shown]
	ds_load_2addr_b32 v[64:65], v47 offset0:64 offset1:80
	v_fmac_f32_e32 v52, v79, v66
	v_fmac_f32_e32 v53, v78, v66
	s_wait_dscnt 0x8
	v_fmac_f32_e32 v29, v79, v54
	v_fmac_f32_e32 v50, v78, v54
	ds_load_2addr_b32 v[74:75], v47 offset0:96 offset1:112
	s_wait_dscnt 0x8
	v_fmac_f32_e32 v52, v81, v67
	v_fmac_f32_e32 v53, v80, v67
	;; [unrolled: 1-line block ×4, first 2 shown]
	ds_load_b128 v[34:37], v40 offset:80
	s_wait_dscnt 0x8
	v_fmac_f32_e32 v52, v83, v68
	v_fmac_f32_e32 v53, v82, v68
	;; [unrolled: 1-line block ×4, first 2 shown]
	ds_load_2addr_b32 v[66:67], v47 offset0:128 offset1:144
	s_wait_dscnt 0x8
	v_fmac_f32_e32 v52, v85, v69
	v_fmac_f32_e32 v53, v84, v69
	;; [unrolled: 1-line block ×4, first 2 shown]
	ds_load_b128 v[54:57], v40 offset:2128
	s_wait_dscnt 0x7
	v_fmac_f32_e32 v52, v87, v58
	v_fmac_f32_e32 v53, v86, v58
	s_wait_dscnt 0x6
	v_fmac_f32_e32 v29, v87, v70
	v_fmac_f32_e32 v50, v86, v70
	ds_load_2addr_b32 v[68:69], v47 offset0:160 offset1:176
	s_wait_dscnt 0x6
	v_fmac_f32_e32 v52, v63, v59
	v_fmac_f32_e32 v53, v62, v59
	v_fmac_f32_e32 v29, v63, v71
	v_fmac_f32_e32 v50, v62, v71
	ds_load_2addr_b32 v[70:71], v47 offset0:192 offset1:208
	s_wait_dscnt 0x6
	v_fmac_f32_e32 v52, v65, v60
	v_fmac_f32_e32 v53, v64, v60
	v_fmac_f32_e32 v29, v65, v72
	v_fmac_f32_e32 v50, v64, v72
	ds_load_2addr_b32 v[76:77], v47 offset0:224 offset1:240
	s_wait_dscnt 0x6
	v_fmac_f32_e32 v52, v75, v61
	v_fmac_f32_e32 v53, v74, v61
	v_fmac_f32_e32 v29, v75, v73
	v_fmac_f32_e32 v50, v74, v73
	ds_load_b128 v[58:61], v40 offset:96
	ds_load_2addr_b32 v[72:73], v48 offset1:16
	s_wait_dscnt 0x6
	v_fmac_f32_e32 v52, v67, v34
	v_fmac_f32_e32 v53, v66, v34
	s_wait_dscnt 0x5
	v_fmac_f32_e32 v29, v67, v54
	v_fmac_f32_e32 v50, v66, v54
	ds_load_b128 v[62:65], v40 offset:2144
	s_wait_dscnt 0x5
	v_fmac_f32_e32 v52, v69, v35
	v_fmac_f32_e32 v53, v68, v35
	ds_load_2addr_b32 v[66:67], v48 offset0:32 offset1:48
	v_fmac_f32_e32 v29, v69, v55
	v_fmac_f32_e32 v50, v68, v55
	s_wait_dscnt 0x5
	v_fmac_f32_e32 v52, v71, v36
	v_fmac_f32_e32 v53, v70, v36
	ds_load_2addr_b32 v[68:69], v48 offset0:64 offset1:80
	v_fmac_f32_e32 v29, v71, v56
	v_fmac_f32_e32 v50, v70, v56
	;; [unrolled: 6-line block ×3, first 2 shown]
	ds_load_b128 v[34:37], v40 offset:112
	s_wait_dscnt 0x5
	v_fmac_f32_e32 v52, v73, v58
	v_fmac_f32_e32 v53, v72, v58
	ds_load_2addr_b32 v[74:75], v48 offset0:128 offset1:144
	ds_load_b128 v[54:57], v40 offset:2160
	s_wait_dscnt 0x6
	v_fmac_f32_e32 v29, v73, v62
	v_fmac_f32_e32 v50, v72, v62
	ds_load_2addr_b32 v[72:73], v48 offset0:160 offset1:176
	s_wait_dscnt 0x6
	v_fmac_f32_e32 v52, v67, v59
	v_fmac_f32_e32 v53, v66, v59
	v_fmac_f32_e32 v29, v67, v63
	v_fmac_f32_e32 v50, v66, v63
	ds_load_2addr_b32 v[58:59], v48 offset0:192 offset1:208
	s_wait_dscnt 0x6
	v_fmac_f32_e32 v52, v69, v60
	v_fmac_f32_e32 v53, v68, v60
	;; [unrolled: 6-line block ×3, first 2 shown]
	v_fmac_f32_e32 v29, v71, v65
	v_fmac_f32_e32 v50, v70, v65
	s_wait_loadcnt_dscnt 0x0
	v_fmac_f32_e32 v52, v75, v34
	v_fmac_f32_e32 v53, v74, v34
	;; [unrolled: 1-line block ×4, first 2 shown]
	s_barrier_signal -1
	v_fmac_f32_e32 v52, v73, v35
	v_fmac_f32_e32 v53, v72, v35
	;; [unrolled: 1-line block ×4, first 2 shown]
	s_barrier_wait -1
	v_fmac_f32_e32 v52, v59, v36
	v_fmac_f32_e32 v53, v58, v36
	;; [unrolled: 1-line block ×4, first 2 shown]
	global_inv scope:SCOPE_SE
	v_fmac_f32_e32 v52, v63, v37
	v_fmac_f32_e32 v53, v62, v37
	;; [unrolled: 1-line block ×4, first 2 shown]
	s_cbranch_scc1 .LBB5_47
.LBB5_10:                               ;   Parent Loop BB5_4 Depth=1
                                        ;     Parent Loop BB5_7 Depth=2
                                        ; =>    This Inner Loop Header: Depth=3
	s_wait_alu 0xfffe
	v_add_co_u32 v36, s5, v0, s40
	s_wait_alu 0xf1ff
	v_add_co_ci_u32_e64 v37, null, s41, v1, s5
	v_cmp_eq_u64_e64 s7, s[40:41], v[8:9]
                                        ; implicit-def: $vgpr54
	s_delay_alu instid0(VALU_DEP_2)
	v_cmp_le_i64_e64 s6, s[36:37], v[36:37]
	v_cmp_lt_i64_e64 s5, v[36:37], v[2:3]
	s_and_b32 s52, s47, s7
	v_add_co_u32 v34, s7, v26, s28
	s_wait_alu 0xf1ff
	v_add_co_ci_u32_e64 v35, null, s29, v27, s7
	s_or_b32 s8, s6, s5
	s_wait_alu 0xfffe
	s_or_b32 s7, s8, s52
	s_wait_alu 0xfffe
	s_nor_b32 s7, s0, s7
	s_wait_alu 0xfffe
	s_and_saveexec_b32 s8, s7
	s_wait_alu 0xfffe
	s_xor_b32 s7, exec_lo, s8
	s_cbranch_execz .LBB5_12
; %bb.11:                               ;   in Loop: Header=BB5_10 Depth=3
	global_load_b32 v54, v[34:35], off
.LBB5_12:                               ;   in Loop: Header=BB5_10 Depth=3
	s_wait_alu 0xfffe
	s_and_not1_saveexec_b32 s7, s7
	s_cbranch_execz .LBB5_14
; %bb.13:                               ;   in Loop: Header=BB5_10 Depth=3
	s_wait_loadcnt 0x0
	v_cndmask_b32_e64 v54, 0, 1.0, s52
.LBB5_14:                               ;   in Loop: Header=BB5_10 Depth=3
	s_wait_alu 0xfffe
	s_or_b32 exec_lo, exec_lo, s7
	v_cmp_eq_u64_e64 s7, s[40:41], v[12:13]
	v_cmp_gt_i64_e64 s8, v[4:5], v[36:37]
	s_wait_loadcnt 0x0
	ds_store_b32 v41, v54
	s_and_b32 s7, s47, s7
	s_or_b32 s6, s6, s8
	s_wait_alu 0xfffe
	s_or_b32 s6, s6, s7
	s_wait_alu 0xfffe
	s_nor_b32 s6, s1, s6
	s_wait_alu 0xfffe
	s_and_saveexec_b32 s8, s6
	s_wait_alu 0xfffe
	s_xor_b32 s8, exec_lo, s8
	s_cbranch_execz .LBB5_16
; %bb.15:                               ;   in Loop: Header=BB5_10 Depth=3
	v_add_co_u32 v54, s6, v24, s28
	s_wait_alu 0xf1ff
	v_add_co_ci_u32_e64 v55, null, s29, v25, s6
	global_load_b32 v54, v[54:55], off
	s_wait_loadcnt 0x0
	ds_store_b32 v41, v54 offset:64
.LBB5_16:                               ;   in Loop: Header=BB5_10 Depth=3
	s_wait_alu 0xfffe
	s_and_not1_saveexec_b32 s6, s8
	s_cbranch_execz .LBB5_22
; %bb.17:                               ;   in Loop: Header=BB5_10 Depth=3
	s_xor_b32 s7, s7, -1
	s_wait_alu 0xfffe
	s_and_saveexec_b32 s8, s7
	s_wait_alu 0xfffe
	s_xor_b32 s7, exec_lo, s8
; %bb.18:                               ;   in Loop: Header=BB5_10 Depth=3
	ds_store_b32 v41, v44 offset:64
; %bb.19:                               ;   in Loop: Header=BB5_10 Depth=3
	s_wait_alu 0xfffe
	s_and_not1_saveexec_b32 s7, s7
; %bb.20:                               ;   in Loop: Header=BB5_10 Depth=3
	ds_store_b32 v41, v45 offset:64
; %bb.21:                               ;   in Loop: Header=BB5_10 Depth=3
	s_wait_alu 0xfffe
	s_or_b32 exec_lo, exec_lo, s7
.LBB5_22:                               ;   in Loop: Header=BB5_10 Depth=3
	s_wait_alu 0xfffe
	s_or_b32 exec_lo, exec_lo, s6
	v_add_co_u32 v36, s6, v36, 16
	s_wait_alu 0xf1ff
	v_add_co_ci_u32_e64 v37, null, 0, v37, s6
	v_cmp_eq_u64_e64 s7, s[40:41], v[14:15]
	s_delay_alu instid0(VALU_DEP_2)
	v_cmp_le_i64_e64 s6, s[36:37], v[36:37]
	v_cmp_lt_i64_e64 s8, v[36:37], v[2:3]
                                        ; implicit-def: $vgpr36
	s_and_b32 s7, s47, s7
	s_or_b32 s8, s6, s8
	s_wait_alu 0xfffe
	s_or_b32 s8, s8, s7
	s_wait_alu 0xfffe
	s_nor_b32 s8, s0, s8
	s_wait_alu 0xfffe
	s_and_saveexec_b32 s53, s8
	s_wait_alu 0xfffe
	s_xor_b32 s8, exec_lo, s53
	s_cbranch_execz .LBB5_24
; %bb.23:                               ;   in Loop: Header=BB5_10 Depth=3
	global_load_b32 v36, v[34:35], off offset:64
.LBB5_24:                               ;   in Loop: Header=BB5_10 Depth=3
	s_wait_alu 0xfffe
	s_and_not1_saveexec_b32 s8, s8
	s_cbranch_execz .LBB5_26
; %bb.25:                               ;   in Loop: Header=BB5_10 Depth=3
	s_wait_loadcnt 0x0
	v_cndmask_b32_e64 v36, 0, 1.0, s7
.LBB5_26:                               ;   in Loop: Header=BB5_10 Depth=3
	s_wait_alu 0xfffe
	s_or_b32 exec_lo, exec_lo, s8
	s_or_b32 s5, s6, s5
	s_wait_loadcnt 0x0
	ds_store_b32 v41, v36 offset:2048
	s_wait_alu 0xfffe
	s_or_b32 s5, s5, s52
	s_wait_alu 0xfffe
	s_nor_b32 s5, s1, s5
	s_wait_alu 0xfffe
	s_and_saveexec_b32 s6, s5
	s_wait_alu 0xfffe
	s_xor_b32 s6, exec_lo, s6
	s_cbranch_execz .LBB5_28
; %bb.27:                               ;   in Loop: Header=BB5_10 Depth=3
	v_add_co_u32 v34, s5, v24, s28
	s_wait_alu 0xf1ff
	v_add_co_ci_u32_e64 v35, null, s29, v25, s5
	global_load_b32 v34, v[34:35], off offset:64
	s_wait_loadcnt 0x0
	ds_store_b32 v41, v34 offset:2112
.LBB5_28:                               ;   in Loop: Header=BB5_10 Depth=3
	s_wait_alu 0xfffe
	s_and_not1_saveexec_b32 s5, s6
	s_cbranch_execz .LBB5_34
; %bb.29:                               ;   in Loop: Header=BB5_10 Depth=3
	s_xor_b32 s6, s52, -1
	s_wait_alu 0xfffe
	s_and_saveexec_b32 s7, s6
	s_wait_alu 0xfffe
	s_xor_b32 s6, exec_lo, s7
; %bb.30:                               ;   in Loop: Header=BB5_10 Depth=3
	ds_store_b32 v41, v44 offset:2112
; %bb.31:                               ;   in Loop: Header=BB5_10 Depth=3
	s_wait_alu 0xfffe
	s_and_not1_saveexec_b32 s6, s6
; %bb.32:                               ;   in Loop: Header=BB5_10 Depth=3
	ds_store_b32 v41, v45 offset:2112
; %bb.33:                               ;   in Loop: Header=BB5_10 Depth=3
	s_wait_alu 0xfffe
	s_or_b32 exec_lo, exec_lo, s6
.LBB5_34:                               ;   in Loop: Header=BB5_10 Depth=3
	s_wait_alu 0xfffe
	s_or_b32 exec_lo, exec_lo, s5
	v_add_co_u32 v36, s5, v2, s40
	s_wait_alu 0xf1ff
	v_add_co_ci_u32_e64 v37, null, s41, v3, s5
	v_add_co_u32 v34, s6, v30, s28
	s_wait_alu 0xf1ff
	v_add_co_ci_u32_e64 v35, null, s29, v31, s6
	s_delay_alu instid0(VALU_DEP_3)
	v_cmp_gt_i64_e64 s5, s[36:37], v[36:37]
	v_mov_b32_e32 v54, 0
	s_and_b32 s7, vcc_lo, s5
	s_wait_alu 0xfffe
	s_and_saveexec_b32 s6, s7
	s_cbranch_execz .LBB5_36
; %bb.35:                               ;   in Loop: Header=BB5_10 Depth=3
	global_load_b32 v54, v[34:35], off offset:-64
.LBB5_36:                               ;   in Loop: Header=BB5_10 Depth=3
	s_wait_alu 0xfffe
	s_or_b32 exec_lo, exec_lo, s6
	v_cmp_gt_i64_e64 s6, s[38:39], v[36:37]
	s_wait_loadcnt 0x0
	ds_store_b32 v42, v54
	s_and_b32 s7, vcc_lo, s6
	s_wait_alu 0xfffe
	s_xor_b32 s7, s7, -1
	s_wait_alu 0xfffe
	s_and_saveexec_b32 s8, s7
	s_wait_alu 0xfffe
	s_xor_b32 s7, exec_lo, s8
; %bb.37:                               ;   in Loop: Header=BB5_10 Depth=3
	ds_store_b32 v42, v44 offset:64
                                        ; implicit-def: $vgpr34_vgpr35
; %bb.38:                               ;   in Loop: Header=BB5_10 Depth=3
	s_wait_alu 0xfffe
	s_and_not1_saveexec_b32 s7, s7
	s_cbranch_execz .LBB5_40
; %bb.39:                               ;   in Loop: Header=BB5_10 Depth=3
	global_load_b32 v34, v[34:35], off
	s_wait_loadcnt 0x0
	ds_store_b32 v42, v34 offset:64
.LBB5_40:                               ;   in Loop: Header=BB5_10 Depth=3
	s_wait_alu 0xfffe
	s_or_b32 exec_lo, exec_lo, s7
	v_add_co_u32 v34, s7, v32, s28
	s_wait_alu 0xf1ff
	v_add_co_ci_u32_e64 v35, null, s29, v33, s7
	v_mov_b32_e32 v36, 0
	s_and_b32 s7, s4, s5
	s_wait_alu 0xfffe
	s_and_saveexec_b32 s5, s7
	s_cbranch_execz .LBB5_42
; %bb.41:                               ;   in Loop: Header=BB5_10 Depth=3
	global_load_b32 v36, v[34:35], off offset:-64
.LBB5_42:                               ;   in Loop: Header=BB5_10 Depth=3
	s_wait_alu 0xfffe
	s_or_b32 exec_lo, exec_lo, s5
	s_and_b32 s5, s4, s6
	s_wait_loadcnt 0x0
	ds_store_b32 v42, v36 offset:2048
	s_wait_alu 0xfffe
	s_xor_b32 s5, s5, -1
	s_wait_alu 0xfffe
	s_and_saveexec_b32 s6, s5
	s_wait_alu 0xfffe
	s_xor_b32 s5, exec_lo, s6
; %bb.43:                               ;   in Loop: Header=BB5_10 Depth=3
	ds_store_b32 v42, v44 offset:2112
                                        ; implicit-def: $vgpr34_vgpr35
; %bb.44:                               ;   in Loop: Header=BB5_10 Depth=3
	s_wait_alu 0xfffe
	s_and_not1_saveexec_b32 s5, s5
	s_cbranch_execz .LBB5_9
; %bb.45:                               ;   in Loop: Header=BB5_10 Depth=3
	global_load_b32 v34, v[34:35], off
	s_wait_loadcnt 0x0
	ds_store_b32 v42, v34 offset:2112
	s_branch .LBB5_9
.LBB5_46:                               ;   in Loop: Header=BB5_7 Depth=2
	v_dual_mov_b32 v53, 0 :: v_dual_mov_b32 v52, 0
	v_dual_mov_b32 v50, 0 :: v_dual_mov_b32 v29, 0
.LBB5_47:                               ;   in Loop: Header=BB5_7 Depth=2
	v_mul_lo_u32 v32, s25, v49
	v_mul_lo_u32 v33, s24, v51
	v_mad_co_u64_u32 v[30:31], null, s24, v49, 0
	v_cmp_gt_i32_e32 vcc_lo, s30, v49
	s_delay_alu instid0(VALU_DEP_2) | instskip(NEXT) | instid1(VALU_DEP_1)
	v_add3_u32 v31, v31, v33, v32
	v_lshlrev_b64_e32 v[30:31], 2, v[30:31]
	s_delay_alu instid0(VALU_DEP_1) | instskip(SKIP_1) | instid1(VALU_DEP_2)
	v_add_co_u32 v30, s4, s18, v30
	s_wait_alu 0xf1ff
	v_add_co_ci_u32_e64 v31, null, s19, v31, s4
	s_and_b32 s4, s2, vcc_lo
	s_wait_alu 0xfffe
	s_and_saveexec_b32 s5, s4
	s_cbranch_execz .LBB5_49
; %bb.48:                               ;   in Loop: Header=BB5_7 Depth=2
	v_add_co_u32 v32, s4, v30, v10
	s_wait_alu 0xf1ff
	v_add_co_ci_u32_e64 v33, null, v31, v11, s4
	global_load_b32 v34, v[32:33], off
	s_wait_loadcnt 0x0
	v_fmac_f32_e32 v34, s31, v53
	global_store_b32 v[32:33], v34, off
.LBB5_49:                               ;   in Loop: Header=BB5_7 Depth=2
	s_wait_alu 0xfffe
	s_or_b32 exec_lo, exec_lo, s5
	s_and_b32 s5, s3, vcc_lo
	s_wait_alu 0xfffe
	s_and_saveexec_b32 s4, s5
	s_cbranch_execz .LBB5_51
; %bb.50:                               ;   in Loop: Header=BB5_7 Depth=2
	v_lshlrev_b64_e32 v[32:33], 2, v[6:7]
	s_delay_alu instid0(VALU_DEP_1) | instskip(SKIP_1) | instid1(VALU_DEP_2)
	v_add_co_u32 v30, vcc_lo, v30, v32
	s_wait_alu 0xfffd
	v_add_co_ci_u32_e64 v31, null, v31, v33, vcc_lo
	global_load_b32 v32, v[30:31], off
	s_wait_loadcnt 0x0
	v_fmac_f32_e32 v32, s31, v52
	global_store_b32 v[30:31], v32, off
.LBB5_51:                               ;   in Loop: Header=BB5_7 Depth=2
	s_wait_alu 0xfffe
	s_or_b32 exec_lo, exec_lo, s4
	v_add_nc_u32_e32 v32, 16, v49
	s_delay_alu instid0(VALU_DEP_1) | instskip(SKIP_3) | instid1(VALU_DEP_4)
	v_ashrrev_i32_e32 v33, 31, v32
	v_mul_lo_u32 v34, s25, v32
	v_mad_co_u64_u32 v[30:31], null, s24, v32, 0
	v_cmp_gt_i32_e32 vcc_lo, s30, v32
	v_mul_lo_u32 v33, s24, v33
	s_delay_alu instid0(VALU_DEP_1) | instskip(NEXT) | instid1(VALU_DEP_1)
	v_add3_u32 v31, v31, v33, v34
	v_lshlrev_b64_e32 v[30:31], 2, v[30:31]
	s_delay_alu instid0(VALU_DEP_1) | instskip(SKIP_1) | instid1(VALU_DEP_2)
	v_add_co_u32 v30, s4, s18, v30
	s_wait_alu 0xf1ff
	v_add_co_ci_u32_e64 v31, null, s19, v31, s4
	s_and_b32 s4, s2, vcc_lo
	s_wait_alu 0xfffe
	s_and_saveexec_b32 s5, s4
	s_cbranch_execz .LBB5_53
; %bb.52:                               ;   in Loop: Header=BB5_7 Depth=2
	v_add_co_u32 v32, s4, v30, v10
	s_wait_alu 0xf1ff
	v_add_co_ci_u32_e64 v33, null, v31, v11, s4
	global_load_b32 v34, v[32:33], off
	s_wait_loadcnt 0x0
	v_fmac_f32_e32 v34, s31, v50
	global_store_b32 v[32:33], v34, off
.LBB5_53:                               ;   in Loop: Header=BB5_7 Depth=2
	s_wait_alu 0xfffe
	s_or_b32 exec_lo, exec_lo, s5
	s_and_b32 s5, s3, vcc_lo
	s_wait_alu 0xfffe
	s_and_saveexec_b32 s4, s5
	s_cbranch_execz .LBB5_6
; %bb.54:                               ;   in Loop: Header=BB5_7 Depth=2
	v_lshlrev_b64_e32 v[32:33], 2, v[6:7]
	s_delay_alu instid0(VALU_DEP_1) | instskip(SKIP_1) | instid1(VALU_DEP_2)
	v_add_co_u32 v30, vcc_lo, v30, v32
	s_wait_alu 0xfffd
	v_add_co_ci_u32_e64 v31, null, v31, v33, vcc_lo
	global_load_b32 v32, v[30:31], off
	s_wait_loadcnt 0x0
	v_fmac_f32_e32 v32, s31, v29
	global_store_b32 v[30:31], v32, off
	s_branch .LBB5_6
.LBB5_55:
	s_endpgm
	.section	.rodata,"a",@progbits
	.p2align	6, 0x0
	.amdhsa_kernel _ZL30rocblas_trmm_outofplace_kernelIfLi32ELi2ELb1ELb0ELb1ELb0EfKffEv17rocblas_diagonal_iiT6_lPT7_lllS4_lllPT8_llli
		.amdhsa_group_segment_fixed_size 8192
		.amdhsa_private_segment_fixed_size 0
		.amdhsa_kernarg_size 384
		.amdhsa_user_sgpr_count 2
		.amdhsa_user_sgpr_dispatch_ptr 0
		.amdhsa_user_sgpr_queue_ptr 0
		.amdhsa_user_sgpr_kernarg_segment_ptr 1
		.amdhsa_user_sgpr_dispatch_id 0
		.amdhsa_user_sgpr_private_segment_size 0
		.amdhsa_wavefront_size32 1
		.amdhsa_uses_dynamic_stack 0
		.amdhsa_enable_private_segment 0
		.amdhsa_system_sgpr_workgroup_id_x 1
		.amdhsa_system_sgpr_workgroup_id_y 1
		.amdhsa_system_sgpr_workgroup_id_z 1
		.amdhsa_system_sgpr_workgroup_info 0
		.amdhsa_system_vgpr_workitem_id 1
		.amdhsa_next_free_vgpr 94
		.amdhsa_next_free_sgpr 54
		.amdhsa_reserve_vcc 1
		.amdhsa_float_round_mode_32 0
		.amdhsa_float_round_mode_16_64 0
		.amdhsa_float_denorm_mode_32 3
		.amdhsa_float_denorm_mode_16_64 3
		.amdhsa_fp16_overflow 0
		.amdhsa_workgroup_processor_mode 1
		.amdhsa_memory_ordered 1
		.amdhsa_forward_progress 1
		.amdhsa_inst_pref_size 28
		.amdhsa_round_robin_scheduling 0
		.amdhsa_exception_fp_ieee_invalid_op 0
		.amdhsa_exception_fp_denorm_src 0
		.amdhsa_exception_fp_ieee_div_zero 0
		.amdhsa_exception_fp_ieee_overflow 0
		.amdhsa_exception_fp_ieee_underflow 0
		.amdhsa_exception_fp_ieee_inexact 0
		.amdhsa_exception_int_div_zero 0
	.end_amdhsa_kernel
	.section	.text._ZL30rocblas_trmm_outofplace_kernelIfLi32ELi2ELb1ELb0ELb1ELb0EfKffEv17rocblas_diagonal_iiT6_lPT7_lllS4_lllPT8_llli,"axG",@progbits,_ZL30rocblas_trmm_outofplace_kernelIfLi32ELi2ELb1ELb0ELb1ELb0EfKffEv17rocblas_diagonal_iiT6_lPT7_lllS4_lllPT8_llli,comdat
.Lfunc_end5:
	.size	_ZL30rocblas_trmm_outofplace_kernelIfLi32ELi2ELb1ELb0ELb1ELb0EfKffEv17rocblas_diagonal_iiT6_lPT7_lllS4_lllPT8_llli, .Lfunc_end5-_ZL30rocblas_trmm_outofplace_kernelIfLi32ELi2ELb1ELb0ELb1ELb0EfKffEv17rocblas_diagonal_iiT6_lPT7_lllS4_lllPT8_llli
                                        ; -- End function
	.set _ZL30rocblas_trmm_outofplace_kernelIfLi32ELi2ELb1ELb0ELb1ELb0EfKffEv17rocblas_diagonal_iiT6_lPT7_lllS4_lllPT8_llli.num_vgpr, 94
	.set _ZL30rocblas_trmm_outofplace_kernelIfLi32ELi2ELb1ELb0ELb1ELb0EfKffEv17rocblas_diagonal_iiT6_lPT7_lllS4_lllPT8_llli.num_agpr, 0
	.set _ZL30rocblas_trmm_outofplace_kernelIfLi32ELi2ELb1ELb0ELb1ELb0EfKffEv17rocblas_diagonal_iiT6_lPT7_lllS4_lllPT8_llli.numbered_sgpr, 54
	.set _ZL30rocblas_trmm_outofplace_kernelIfLi32ELi2ELb1ELb0ELb1ELb0EfKffEv17rocblas_diagonal_iiT6_lPT7_lllS4_lllPT8_llli.num_named_barrier, 0
	.set _ZL30rocblas_trmm_outofplace_kernelIfLi32ELi2ELb1ELb0ELb1ELb0EfKffEv17rocblas_diagonal_iiT6_lPT7_lllS4_lllPT8_llli.private_seg_size, 0
	.set _ZL30rocblas_trmm_outofplace_kernelIfLi32ELi2ELb1ELb0ELb1ELb0EfKffEv17rocblas_diagonal_iiT6_lPT7_lllS4_lllPT8_llli.uses_vcc, 1
	.set _ZL30rocblas_trmm_outofplace_kernelIfLi32ELi2ELb1ELb0ELb1ELb0EfKffEv17rocblas_diagonal_iiT6_lPT7_lllS4_lllPT8_llli.uses_flat_scratch, 0
	.set _ZL30rocblas_trmm_outofplace_kernelIfLi32ELi2ELb1ELb0ELb1ELb0EfKffEv17rocblas_diagonal_iiT6_lPT7_lllS4_lllPT8_llli.has_dyn_sized_stack, 0
	.set _ZL30rocblas_trmm_outofplace_kernelIfLi32ELi2ELb1ELb0ELb1ELb0EfKffEv17rocblas_diagonal_iiT6_lPT7_lllS4_lllPT8_llli.has_recursion, 0
	.set _ZL30rocblas_trmm_outofplace_kernelIfLi32ELi2ELb1ELb0ELb1ELb0EfKffEv17rocblas_diagonal_iiT6_lPT7_lllS4_lllPT8_llli.has_indirect_call, 0
	.section	.AMDGPU.csdata,"",@progbits
; Kernel info:
; codeLenInByte = 3584
; TotalNumSgprs: 56
; NumVgprs: 94
; ScratchSize: 0
; MemoryBound: 0
; FloatMode: 240
; IeeeMode: 1
; LDSByteSize: 8192 bytes/workgroup (compile time only)
; SGPRBlocks: 0
; VGPRBlocks: 11
; NumSGPRsForWavesPerEU: 56
; NumVGPRsForWavesPerEU: 94
; Occupancy: 16
; WaveLimiterHint : 0
; COMPUTE_PGM_RSRC2:SCRATCH_EN: 0
; COMPUTE_PGM_RSRC2:USER_SGPR: 2
; COMPUTE_PGM_RSRC2:TRAP_HANDLER: 0
; COMPUTE_PGM_RSRC2:TGID_X_EN: 1
; COMPUTE_PGM_RSRC2:TGID_Y_EN: 1
; COMPUTE_PGM_RSRC2:TGID_Z_EN: 1
; COMPUTE_PGM_RSRC2:TIDIG_COMP_CNT: 1
	.section	.text._ZL30rocblas_trmm_outofplace_kernelIfLi32ELi2ELb1ELb1ELb1ELb0EPKfS0_fEv17rocblas_diagonal_iiT6_lPT7_lllS5_lllPT8_llli,"axG",@progbits,_ZL30rocblas_trmm_outofplace_kernelIfLi32ELi2ELb1ELb1ELb1ELb0EPKfS0_fEv17rocblas_diagonal_iiT6_lPT7_lllS5_lllPT8_llli,comdat
	.globl	_ZL30rocblas_trmm_outofplace_kernelIfLi32ELi2ELb1ELb1ELb1ELb0EPKfS0_fEv17rocblas_diagonal_iiT6_lPT7_lllS5_lllPT8_llli ; -- Begin function _ZL30rocblas_trmm_outofplace_kernelIfLi32ELi2ELb1ELb1ELb1ELb0EPKfS0_fEv17rocblas_diagonal_iiT6_lPT7_lllS5_lllPT8_llli
	.p2align	8
	.type	_ZL30rocblas_trmm_outofplace_kernelIfLi32ELi2ELb1ELb1ELb1ELb0EPKfS0_fEv17rocblas_diagonal_iiT6_lPT7_lllS5_lllPT8_llli,@function
_ZL30rocblas_trmm_outofplace_kernelIfLi32ELi2ELb1ELb1ELb1ELb0EPKfS0_fEv17rocblas_diagonal_iiT6_lPT7_lllS5_lllPT8_llli: ; @_ZL30rocblas_trmm_outofplace_kernelIfLi32ELi2ELb1ELb1ELb1ELb0EPKfS0_fEv17rocblas_diagonal_iiT6_lPT7_lllS5_lllPT8_llli
; %bb.0:
	s_load_b32 s11, s[0:1], 0x80
	s_lshr_b32 s34, ttmp7, 16
	s_wait_kmcnt 0x0
	s_cmp_ge_u32 s34, s11
	s_cbranch_scc1 .LBB6_55
; %bb.1:
	s_clause 0x3
	s_load_b96 s[8:10], s[0:1], 0x0
	s_load_b256 s[36:43], s[0:1], 0x50
	s_load_b512 s[12:27], s[0:1], 0x10
	s_load_b128 s[28:31], s[0:1], 0x70
	s_add_nc_u64 s[44:45], s[0:1], 0x88
	v_bfe_u32 v36, v0, 10, 10
	v_dual_mov_b32 v38, 0 :: v_dual_and_b32 v37, 0x3ff, v0
	s_and_b32 s33, ttmp7, 0xffff
	v_mov_b32_e32 v44, 1.0
	s_delay_alu instid0(VALU_DEP_3) | instskip(NEXT) | instid1(VALU_DEP_3)
	v_lshlrev_b32_e32 v0, 7, v36
	v_lshlrev_b32_e32 v39, 2, v37
	v_lshl_add_u32 v43, s33, 5, v36
	s_mov_b32 s35, 0
	s_delay_alu instid0(VALU_DEP_3) | instskip(NEXT) | instid1(VALU_DEP_3)
	v_add_nc_u32_e32 v40, 0x1000, v0
	v_add_nc_u32_e32 v41, v39, v0
	;; [unrolled: 1-line block ×5, first 2 shown]
	s_wait_kmcnt 0x0
	s_add_co_i32 s2, s10, -1
	v_add_nc_u32_e32 v42, v40, v39
	s_ashr_i32 s0, s2, 31
	s_mov_b32 s49, s10
	s_lshr_b32 s0, s0, 27
	s_delay_alu instid0(SALU_CYCLE_1)
	s_add_co_i32 s2, s2, s0
	s_lshl_b64 s[0:1], s[42:43], 2
	s_ashr_i32 s48, s2, 5
	s_mov_b32 s42, s9
	s_cmp_le_i32 s33, s48
	s_add_nc_u64 s[40:41], s[40:41], s[0:1]
	s_cselect_b32 s50, -1, 0
	s_lshl_b32 s51, ttmp9, 5
	s_cmp_gt_i32 ttmp9, -1
	v_add_nc_u32_e32 v0, s51, v37
	s_cselect_b32 s52, -1, 0
	s_cmp_eq_u32 s8, 0x84
	s_cselect_b32 s53, -1, 0
	s_delay_alu instid0(VALU_DEP_1) | instskip(SKIP_3) | instid1(VALU_DEP_4)
	v_ashrrev_i32_e32 v1, 31, v0
	v_add_co_u32 v2, vcc_lo, v0, 16
	v_mul_lo_u32 v21, s21, v0
	v_mad_co_u64_u32 v[14:15], null, s20, v0, 0
	v_add_co_ci_u32_e64 v3, null, 0, v1, vcc_lo
	v_sub_co_u32 v4, vcc_lo, v0, v36
	s_wait_alu 0xfffd
	v_subrev_co_ci_u32_e64 v5, null, 0, v1, vcc_lo
	v_lshlrev_b64_e32 v[8:9], 2, v[0:1]
	s_delay_alu instid0(VALU_DEP_3)
	v_add_co_u32 v6, vcc_lo, v4, 16
	v_mul_lo_u32 v20, s20, v1
	s_wait_alu 0xfffd
	v_add_co_ci_u32_e64 v7, null, 0, v5, vcc_lo
	v_add_co_u32 v10, vcc_lo, v4, -16
	s_lshl_b64 s[4:5], s[26:27], 2
	s_wait_alu 0xfffd
	v_add_co_ci_u32_e64 v11, null, -1, v5, vcc_lo
	v_add_co_u32 v12, vcc_lo, v8, 64
	s_add_nc_u64 s[4:5], s[24:25], s[4:5]
	s_wait_alu 0xfffd
	v_add_co_ci_u32_e64 v13, null, 0, v9, vcc_lo
	v_add_co_u32 v22, s4, s4, v39
	v_add3_u32 v15, v15, v20, v21
	s_wait_alu 0xf1ff
	v_add_co_ci_u32_e64 v23, null, s5, 0, s4
	s_lshl_b64 s[4:5], s[18:19], 2
	v_mul_lo_u32 v24, s20, v13
	v_mul_lo_u32 v25, s21, v12
	s_wait_alu 0xfffe
	v_mad_co_u64_u32 v[16:17], null, s20, v12, s[4:5]
	v_lshlrev_b64_e32 v[14:15], 2, v[14:15]
	v_add_co_u32 v12, vcc_lo, v22, 64
	v_lshlrev_b32_e32 v20, 2, v36
	s_wait_alu 0xfffd
	v_add_co_ci_u32_e64 v13, null, 0, v23, vcc_lo
	v_add3_u32 v17, v25, v17, v24
	v_add_co_u32 v14, vcc_lo, v14, s4
	v_add_nc_u32_e32 v18, 16, v0
	s_wait_alu 0xfffd
	v_add_co_ci_u32_e64 v15, null, s5, v15, vcc_lo
	v_add_co_u32 v16, vcc_lo, v16, v20
	s_wait_alu 0xfffd
	v_add_co_ci_u32_e64 v17, null, 0, v17, vcc_lo
	v_add_co_u32 v20, vcc_lo, v14, v20
	v_ashrrev_i32_e32 v19, 31, v18
	s_wait_alu 0xfffd
	v_add_co_ci_u32_e64 v21, null, 0, v15, vcc_lo
	v_add_co_u32 v14, vcc_lo, s16, v16
	s_ashr_i32 s43, s9, 31
	s_wait_alu 0xfffd
	v_add_co_ci_u32_e64 v15, null, s17, v17, vcc_lo
	v_add_co_u32 v16, vcc_lo, s16, v20
	v_cmp_gt_i32_e64 s2, s9, v18
	v_cmp_le_i64_e64 s3, s[42:43], v[2:3]
	v_lshlrev_b64_e32 v[18:19], 2, v[18:19]
	v_cmp_le_i32_e64 s0, s9, v0
	v_cmp_gt_i32_e64 s1, s9, v0
	s_wait_alu 0xfffd
	v_add_co_ci_u32_e64 v17, null, s17, v21, vcc_lo
	s_ashr_i32 s54, s10, 31
	s_add_nc_u64 s[46:47], s[42:43], -16
	s_lshl_b64 s[18:19], s[38:39], 2
	s_lshl_b64 s[16:17], s[36:37], 2
	;; [unrolled: 1-line block ×3, first 2 shown]
	s_branch .LBB6_4
.LBB6_2:                                ;   in Loop: Header=BB6_4 Depth=1
	s_add_co_i32 s34, s34, 0x10000
	s_wait_alu 0xfffe
	s_cmp_ge_u32 s34, s11
	s_cselect_b32 s4, -1, 0
.LBB6_3:                                ;   in Loop: Header=BB6_4 Depth=1
	s_wait_alu 0xfffe
	s_and_b32 vcc_lo, exec_lo, s4
	s_wait_alu 0xfffe
	s_cbranch_vccnz .LBB6_55
.LBB6_4:                                ; =>This Loop Header: Depth=1
                                        ;     Child Loop BB6_8 Depth 2
                                        ;       Child Loop BB6_11 Depth 3
	s_mul_u64 s[4:5], s[14:15], s[34:35]
	s_wait_alu 0xfffe
	s_lshl_b64 s[4:5], s[4:5], 2
	s_wait_alu 0xfffe
	s_add_nc_u64 s[4:5], s[12:13], s[4:5]
	global_load_b32 v48, v38, s[4:5]
	s_mov_b32 s4, -1
	s_wait_loadcnt 0x0
	v_cmp_eq_f32_e32 vcc_lo, 0, v48
	s_cbranch_vccnz .LBB6_3
; %bb.5:                                ;   in Loop: Header=BB6_4 Depth=1
	s_and_not1_b32 vcc_lo, exec_lo, s50
	s_wait_alu 0xfffe
	s_cbranch_vccnz .LBB6_2
; %bb.6:                                ;   in Loop: Header=BB6_4 Depth=1
	s_load_b32 s9, s[44:45], 0x4
	v_mad_co_u64_u32 v[20:21], null, s18, s34, v[12:13]
	v_mad_co_u64_u32 v[22:23], null, s20, s34, v[14:15]
	;; [unrolled: 1-line block ×3, first 2 shown]
	s_mul_i32 s6, s21, s34
	s_mul_u64 s[4:5], s[30:31], s[34:35]
	s_mov_b32 s39, s33
	s_wait_alu 0xfffe
	s_lshl_b64 s[4:5], s[4:5], 2
	v_mad_co_u64_u32 v[26:27], null, s19, s34, v[21:22]
	v_add_nc_u32_e32 v23, s6, v23
	v_add_nc_u32_e32 v25, s6, v25
	s_wait_alu 0xfffe
	s_add_nc_u64 s[22:23], s[40:41], s[4:5]
	s_delay_alu instid0(VALU_DEP_3)
	v_dual_mov_b32 v21, v26 :: v_dual_mov_b32 v26, v43
	s_wait_kmcnt 0x0
	s_lshl_b32 s38, s9, 5
	s_branch .LBB6_8
.LBB6_7:                                ;   in Loop: Header=BB6_8 Depth=2
	s_wait_alu 0xfffe
	s_or_b32 exec_lo, exec_lo, s4
	v_add_nc_u32_e32 v26, s38, v26
	s_add_co_i32 s39, s9, s39
	s_wait_alu 0xfffe
	s_cmp_gt_i32 s39, s48
	s_cbranch_scc1 .LBB6_2
.LBB6_8:                                ;   Parent Loop BB6_4 Depth=1
                                        ; =>  This Loop Header: Depth=2
                                        ;       Child Loop BB6_11 Depth 3
	v_lshl_add_u32 v49, s39, 5, v36
	v_dual_mov_b32 v53, 0 :: v_dual_mov_b32 v50, 0
	v_mov_b32_e32 v51, 0
	v_mov_b32_e32 v27, 0
	s_delay_alu instid0(VALU_DEP_4)
	v_ashrrev_i32_e32 v52, 31, v49
	s_and_not1_b32 vcc_lo, exec_lo, s52
	s_wait_alu 0xfffe
	s_cbranch_vccnz .LBB6_47
; %bb.9:                                ;   in Loop: Header=BB6_8 Depth=2
	v_ashrrev_i32_e32 v27, 31, v26
	v_mad_co_u64_u32 v[28:29], null, s16, v26, v[20:21]
	v_mul_lo_u32 v34, s17, v26
	v_mov_b32_e32 v51, 0
	s_delay_alu instid0(VALU_DEP_4) | instskip(SKIP_4) | instid1(VALU_DEP_3)
	v_lshlrev_b64_e32 v[30:31], 2, v[26:27]
	v_mul_lo_u32 v35, s16, v27
	v_dual_mov_b32 v27, 0 :: v_dual_mov_b32 v50, 0
	s_mov_b64 s[24:25], 0
	s_mov_b64 s[26:27], 0
	v_add_co_u32 v30, vcc_lo, v30, 64
	s_wait_alu 0xfffd
	v_add_co_ci_u32_e64 v31, null, 0, v31, vcc_lo
	v_sub_co_u32 v32, vcc_lo, s49, v49
	s_delay_alu instid0(VALU_DEP_3) | instskip(NEXT) | instid1(VALU_DEP_3)
	v_mul_lo_u32 v54, s37, v30
	v_mul_lo_u32 v53, s36, v31
	v_mad_co_u64_u32 v[30:31], null, s36, v30, v[20:21]
	s_wait_alu 0xfffd
	v_sub_co_ci_u32_e64 v33, null, s54, v52, vcc_lo
	v_add3_u32 v29, v34, v29, v35
	s_delay_alu instid0(VALU_DEP_2) | instskip(NEXT) | instid1(VALU_DEP_4)
	v_cmp_lt_i64_e64 s4, 16, v[32:33]
	v_add3_u32 v31, v54, v31, v53
	v_mov_b32_e32 v53, 0
	v_cmp_lt_i64_e32 vcc_lo, 0, v[32:33]
	s_branch .LBB6_11
.LBB6_10:                               ;   in Loop: Header=BB6_11 Depth=3
	s_wait_alu 0xfffe
	s_or_b32 exec_lo, exec_lo, s5
	s_wait_dscnt 0x0
	s_barrier_signal -1
	s_barrier_wait -1
	global_inv scope:SCOPE_SE
	ds_load_b128 v[32:35], v40
	ds_load_2addr_b32 v[74:75], v39 offset1:16
	ds_load_b128 v[54:57], v40 offset:2048
	ds_load_2addr_b32 v[76:77], v39 offset0:32 offset1:48
	ds_load_b128 v[58:61], v40 offset:16
	ds_load_2addr_b32 v[78:79], v39 offset0:64 offset1:80
	ds_load_b128 v[62:65], v40 offset:32
	ds_load_b128 v[66:69], v40 offset:48
	ds_load_2addr_b32 v[80:81], v39 offset0:96 offset1:112
	ds_load_2addr_b32 v[82:83], v39 offset0:128 offset1:144
	ds_load_b128 v[70:73], v40 offset:2064
	ds_load_2addr_b32 v[84:85], v39 offset0:160 offset1:176
	ds_load_2addr_b32 v[86:87], v39 offset0:192 offset1:208
	;; [unrolled: 1-line block ×3, first 2 shown]
	ds_load_2addr_b32 v[90:91], v45 offset1:16
	ds_load_2addr_b32 v[92:93], v45 offset0:32 offset1:48
	s_add_nc_u64 s[26:27], s[26:27], 32
	s_add_nc_u64 s[24:25], s[24:25], 0x80
	s_wait_alu 0xfffe
	s_sub_co_i32 s5, s26, 32
	s_wait_alu 0xfffe
	s_cmp_ge_i32 s5, s51
	s_wait_dscnt 0xd
	v_dual_fmac_f32 v51, v75, v32 :: v_dual_fmac_f32 v50, v74, v54
	s_wait_dscnt 0xc
	s_delay_alu instid0(VALU_DEP_1)
	v_dual_fmac_f32 v53, v74, v32 :: v_dual_fmac_f32 v50, v76, v55
	v_fmac_f32_e32 v27, v75, v54
	ds_load_2addr_b32 v[74:75], v45 offset0:64 offset1:80
	s_wait_dscnt 0xb
	v_dual_fmac_f32 v50, v78, v56 :: v_dual_fmac_f32 v27, v77, v55
	s_wait_dscnt 0x8
	s_delay_alu instid0(VALU_DEP_1) | instskip(SKIP_2) | instid1(VALU_DEP_2)
	v_fmac_f32_e32 v50, v80, v57
	v_fmac_f32_e32 v53, v76, v33
	s_wait_dscnt 0x6
	v_dual_fmac_f32 v27, v79, v56 :: v_dual_fmac_f32 v50, v82, v70
	v_fmac_f32_e32 v51, v77, v33
	ds_load_2addr_b32 v[76:77], v45 offset0:96 offset1:112
	s_wait_dscnt 0x6
	v_dual_fmac_f32 v27, v81, v57 :: v_dual_fmac_f32 v50, v84, v71
	s_wait_dscnt 0x5
	s_delay_alu instid0(VALU_DEP_1)
	v_dual_fmac_f32 v51, v79, v34 :: v_dual_fmac_f32 v50, v86, v72
	v_fmac_f32_e32 v53, v78, v34
	ds_load_2addr_b32 v[78:79], v45 offset0:128 offset1:144
	s_wait_dscnt 0x5
	v_dual_fmac_f32 v51, v81, v35 :: v_dual_fmac_f32 v50, v88, v73
	v_fmac_f32_e32 v53, v80, v35
	ds_load_b128 v[32:35], v40 offset:2080
	ds_load_b128 v[54:57], v40 offset:2096
	ds_load_2addr_b32 v[80:81], v45 offset0:160 offset1:176
	s_wait_dscnt 0x2
	v_fmac_f32_e32 v50, v90, v32
	s_delay_alu instid0(VALU_DEP_1) | instskip(NEXT) | instid1(VALU_DEP_1)
	v_fmac_f32_e32 v50, v92, v33
	v_fmac_f32_e32 v50, v74, v34
	s_delay_alu instid0(VALU_DEP_1) | instskip(SKIP_1) | instid1(VALU_DEP_1)
	v_dual_fmac_f32 v50, v76, v35 :: v_dual_fmac_f32 v27, v83, v70
	s_wait_dscnt 0x1
	v_dual_fmac_f32 v50, v78, v54 :: v_dual_fmac_f32 v27, v85, v71
	s_wait_dscnt 0x0
	s_delay_alu instid0(VALU_DEP_1) | instskip(NEXT) | instid1(VALU_DEP_2)
	v_dual_fmac_f32 v53, v82, v58 :: v_dual_fmac_f32 v50, v80, v55
	v_fmac_f32_e32 v27, v87, v72
	v_fmac_f32_e32 v51, v83, v58
	ds_load_2addr_b32 v[82:83], v45 offset0:192 offset1:208
	v_fmac_f32_e32 v27, v89, v73
	ds_load_b128 v[70:73], v40 offset:2112
	v_fmac_f32_e32 v53, v84, v59
	v_fmac_f32_e32 v27, v91, v32
	s_delay_alu instid0(VALU_DEP_1) | instskip(SKIP_1) | instid1(VALU_DEP_1)
	v_fmac_f32_e32 v27, v93, v33
	s_wait_dscnt 0x1
	v_dual_fmac_f32 v27, v75, v34 :: v_dual_fmac_f32 v50, v82, v56
	v_fmac_f32_e32 v51, v85, v59
	ds_load_2addr_b32 v[84:85], v45 offset0:224 offset1:240
	v_fmac_f32_e32 v27, v77, v35
	ds_load_b128 v[32:35], v40 offset:80
	v_fmac_f32_e32 v27, v79, v54
	s_delay_alu instid0(VALU_DEP_1) | instskip(SKIP_1) | instid1(VALU_DEP_1)
	v_fmac_f32_e32 v27, v81, v55
	s_wait_dscnt 0x1
	v_dual_fmac_f32 v27, v83, v56 :: v_dual_fmac_f32 v50, v84, v57
	s_delay_alu instid0(VALU_DEP_1)
	v_fmac_f32_e32 v27, v85, v57
	ds_load_b128 v[54:57], v40 offset:2128
	v_fmac_f32_e32 v53, v86, v60
	v_fmac_f32_e32 v51, v87, v60
	ds_load_2addr_b32 v[86:87], v46 offset1:16
	v_fmac_f32_e32 v53, v88, v61
	v_fmac_f32_e32 v51, v89, v61
	ds_load_b128 v[58:61], v40 offset:64
	v_fmac_f32_e32 v53, v90, v62
	v_fmac_f32_e32 v51, v91, v62
	s_delay_alu instid0(VALU_DEP_2) | instskip(NEXT) | instid1(VALU_DEP_2)
	v_fmac_f32_e32 v53, v92, v63
	v_fmac_f32_e32 v51, v93, v63
	ds_load_2addr_b32 v[62:63], v46 offset0:32 offset1:48
	v_fmac_f32_e32 v53, v74, v64
	v_fmac_f32_e32 v51, v75, v64
	ds_load_2addr_b32 v[74:75], v46 offset0:96 offset1:112
	s_wait_dscnt 0x3
	v_fmac_f32_e32 v50, v86, v70
	v_fmac_f32_e32 v27, v87, v70
	;; [unrolled: 1-line block ×4, first 2 shown]
	ds_load_2addr_b32 v[64:65], v46 offset0:64 offset1:80
	ds_load_2addr_b32 v[76:77], v46 offset0:224 offset1:240
	v_fmac_f32_e32 v53, v78, v66
	v_fmac_f32_e32 v51, v79, v66
	s_delay_alu instid0(VALU_DEP_2) | instskip(NEXT) | instid1(VALU_DEP_2)
	v_fmac_f32_e32 v53, v80, v67
	v_fmac_f32_e32 v51, v81, v67
	ds_load_2addr_b32 v[66:67], v46 offset0:128 offset1:144
	s_wait_dscnt 0x4
	v_fmac_f32_e32 v50, v62, v71
	v_fmac_f32_e32 v27, v63, v71
	;; [unrolled: 1-line block ×4, first 2 shown]
	ds_load_2addr_b32 v[70:71], v46 offset0:192 offset1:208
	v_fmac_f32_e32 v53, v84, v69
	v_fmac_f32_e32 v51, v85, v69
	ds_load_2addr_b32 v[68:69], v46 offset0:160 offset1:176
	s_wait_dscnt 0x4
	v_fmac_f32_e32 v50, v64, v72
	v_fmac_f32_e32 v27, v65, v72
	;; [unrolled: 1-line block ×3, first 2 shown]
	s_delay_alu instid0(VALU_DEP_3) | instskip(NEXT) | instid1(VALU_DEP_3)
	v_dual_fmac_f32 v51, v87, v58 :: v_dual_fmac_f32 v50, v74, v73
	v_fmac_f32_e32 v27, v75, v73
	s_delay_alu instid0(VALU_DEP_3) | instskip(SKIP_1) | instid1(VALU_DEP_3)
	v_fmac_f32_e32 v53, v62, v59
	s_wait_dscnt 0x2
	v_dual_fmac_f32 v51, v63, v59 :: v_dual_fmac_f32 v50, v66, v54
	s_delay_alu instid0(VALU_DEP_3) | instskip(NEXT) | instid1(VALU_DEP_3)
	v_fmac_f32_e32 v27, v67, v54
	v_fmac_f32_e32 v53, v64, v60
	s_delay_alu instid0(VALU_DEP_3) | instskip(NEXT) | instid1(VALU_DEP_2)
	v_fmac_f32_e32 v51, v65, v60
	v_fmac_f32_e32 v53, v74, v61
	s_delay_alu instid0(VALU_DEP_2)
	v_fmac_f32_e32 v51, v75, v61
	ds_load_b128 v[58:61], v40 offset:96
	ds_load_2addr_b32 v[72:73], v47 offset1:16
	ds_load_b128 v[62:65], v40 offset:2144
	s_wait_dscnt 0x3
	v_dual_fmac_f32 v50, v68, v55 :: v_dual_fmac_f32 v53, v66, v32
	v_fmac_f32_e32 v51, v67, v32
	ds_load_2addr_b32 v[66:67], v47 offset0:32 offset1:48
	v_dual_fmac_f32 v27, v69, v55 :: v_dual_fmac_f32 v50, v70, v56
	v_fmac_f32_e32 v53, v68, v33
	v_fmac_f32_e32 v51, v69, v33
	ds_load_2addr_b32 v[68:69], v47 offset0:64 offset1:80
	v_dual_fmac_f32 v27, v71, v56 :: v_dual_fmac_f32 v50, v76, v57
	v_fmac_f32_e32 v53, v70, v34
	v_fmac_f32_e32 v51, v71, v34
	ds_load_2addr_b32 v[70:71], v47 offset0:96 offset1:112
	v_fmac_f32_e32 v27, v77, v57
	v_fmac_f32_e32 v53, v76, v35
	;; [unrolled: 1-line block ×3, first 2 shown]
	ds_load_b128 v[32:35], v40 offset:112
	ds_load_2addr_b32 v[74:75], v47 offset0:128 offset1:144
	ds_load_b128 v[54:57], v40 offset:2160
	s_wait_dscnt 0x6
	v_fmac_f32_e32 v50, v72, v62
	v_fmac_f32_e32 v53, v72, v58
	v_fmac_f32_e32 v51, v73, v58
	v_fmac_f32_e32 v27, v73, v62
	ds_load_2addr_b32 v[72:73], v47 offset0:160 offset1:176
	s_wait_dscnt 0x6
	v_fmac_f32_e32 v50, v66, v63
	v_fmac_f32_e32 v53, v66, v59
	v_fmac_f32_e32 v51, v67, v59
	v_fmac_f32_e32 v27, v67, v63
	ds_load_2addr_b32 v[58:59], v47 offset0:192 offset1:208
	;; [unrolled: 6-line block ×3, first 2 shown]
	s_wait_dscnt 0x6
	v_fmac_f32_e32 v50, v70, v65
	v_fmac_f32_e32 v53, v70, v61
	;; [unrolled: 1-line block ×4, first 2 shown]
	s_wait_loadcnt_dscnt 0x0
	v_fmac_f32_e32 v50, v74, v54
	v_fmac_f32_e32 v53, v74, v32
	;; [unrolled: 1-line block ×4, first 2 shown]
	s_barrier_signal -1
	v_fmac_f32_e32 v50, v72, v55
	v_fmac_f32_e32 v53, v72, v33
	;; [unrolled: 1-line block ×4, first 2 shown]
	s_barrier_wait -1
	v_fmac_f32_e32 v50, v58, v56
	v_fmac_f32_e32 v53, v58, v34
	;; [unrolled: 1-line block ×4, first 2 shown]
	global_inv scope:SCOPE_SE
	v_fmac_f32_e32 v50, v62, v57
	v_fmac_f32_e32 v53, v62, v35
	;; [unrolled: 1-line block ×4, first 2 shown]
	s_cbranch_scc1 .LBB6_47
.LBB6_11:                               ;   Parent Loop BB6_4 Depth=1
                                        ;     Parent Loop BB6_8 Depth=2
                                        ; =>    This Inner Loop Header: Depth=3
	s_wait_alu 0xfffe
	v_add_co_u32 v34, s5, v36, s26
	s_wait_alu 0xf1ff
	v_add_co_ci_u32_e64 v35, null, 0, s27, s5
	v_cmp_eq_u64_e64 s7, s[26:27], v[4:5]
                                        ; implicit-def: $vgpr54
	s_delay_alu instid0(VALU_DEP_2)
	v_cmp_le_i64_e64 s6, s[42:43], v[34:35]
	v_cmp_gt_i64_e64 s5, v[34:35], v[0:1]
	s_and_b32 s55, s53, s7
	v_add_co_u32 v32, s7, v24, s24
	s_wait_alu 0xf1ff
	v_add_co_ci_u32_e64 v33, null, s25, v25, s7
	s_or_b32 s8, s6, s5
	s_wait_alu 0xfffe
	s_or_b32 s7, s8, s55
	s_wait_alu 0xfffe
	s_nor_b32 s7, s0, s7
	s_wait_alu 0xfffe
	s_and_saveexec_b32 s8, s7
	s_wait_alu 0xfffe
	s_xor_b32 s7, exec_lo, s8
	s_cbranch_execz .LBB6_13
; %bb.12:                               ;   in Loop: Header=BB6_11 Depth=3
	global_load_b32 v54, v[32:33], off
.LBB6_13:                               ;   in Loop: Header=BB6_11 Depth=3
	s_wait_alu 0xfffe
	s_and_not1_saveexec_b32 s7, s7
	s_cbranch_execz .LBB6_15
; %bb.14:                               ;   in Loop: Header=BB6_11 Depth=3
	s_wait_loadcnt 0x0
	v_cndmask_b32_e64 v54, 0, 1.0, s55
.LBB6_15:                               ;   in Loop: Header=BB6_11 Depth=3
	s_wait_alu 0xfffe
	s_or_b32 exec_lo, exec_lo, s7
	v_cmp_eq_u64_e64 s7, s[26:27], v[6:7]
	v_cmp_lt_i64_e64 s8, v[2:3], v[34:35]
	s_wait_loadcnt 0x0
	ds_store_b32 v41, v54
	s_and_b32 s7, s53, s7
	s_or_b32 s6, s6, s8
	s_wait_alu 0xfffe
	s_or_b32 s6, s6, s7
	s_wait_alu 0xfffe
	s_nor_b32 s6, s3, s6
	s_wait_alu 0xfffe
	s_and_saveexec_b32 s8, s6
	s_wait_alu 0xfffe
	s_xor_b32 s8, exec_lo, s8
	s_cbranch_execz .LBB6_17
; %bb.16:                               ;   in Loop: Header=BB6_11 Depth=3
	v_add_co_u32 v54, s6, v22, s24
	s_wait_alu 0xf1ff
	v_add_co_ci_u32_e64 v55, null, s25, v23, s6
	global_load_b32 v54, v[54:55], off
	s_wait_loadcnt 0x0
	ds_store_b32 v41, v54 offset:64
.LBB6_17:                               ;   in Loop: Header=BB6_11 Depth=3
	s_wait_alu 0xfffe
	s_and_not1_saveexec_b32 s6, s8
	s_cbranch_execz .LBB6_23
; %bb.18:                               ;   in Loop: Header=BB6_11 Depth=3
	s_xor_b32 s7, s7, -1
	s_wait_alu 0xfffe
	s_and_saveexec_b32 s8, s7
	s_wait_alu 0xfffe
	s_xor_b32 s7, exec_lo, s8
; %bb.19:                               ;   in Loop: Header=BB6_11 Depth=3
	ds_store_b32 v41, v38 offset:64
; %bb.20:                               ;   in Loop: Header=BB6_11 Depth=3
	s_wait_alu 0xfffe
	s_and_not1_saveexec_b32 s7, s7
; %bb.21:                               ;   in Loop: Header=BB6_11 Depth=3
	ds_store_b32 v41, v44 offset:64
; %bb.22:                               ;   in Loop: Header=BB6_11 Depth=3
	s_wait_alu 0xfffe
	s_or_b32 exec_lo, exec_lo, s7
.LBB6_23:                               ;   in Loop: Header=BB6_11 Depth=3
	s_wait_alu 0xfffe
	s_or_b32 exec_lo, exec_lo, s6
	v_add_co_u32 v34, s6, v34, 16
	s_wait_alu 0xf1ff
	v_add_co_ci_u32_e64 v35, null, 0, v35, s6
	v_cmp_eq_u64_e64 s7, s[26:27], v[10:11]
	s_delay_alu instid0(VALU_DEP_2)
	v_cmp_le_i64_e64 s6, s[42:43], v[34:35]
	v_cmp_gt_i64_e64 s8, v[34:35], v[0:1]
                                        ; implicit-def: $vgpr34
	s_and_b32 s7, s53, s7
	s_or_b32 s8, s6, s8
	s_wait_alu 0xfffe
	s_or_b32 s8, s8, s7
	s_wait_alu 0xfffe
	s_nor_b32 s8, s0, s8
	s_wait_alu 0xfffe
	s_and_saveexec_b32 s56, s8
	s_delay_alu instid0(SALU_CYCLE_1)
	s_xor_b32 s8, exec_lo, s56
	s_cbranch_execz .LBB6_25
; %bb.24:                               ;   in Loop: Header=BB6_11 Depth=3
	global_load_b32 v34, v[32:33], off offset:64
.LBB6_25:                               ;   in Loop: Header=BB6_11 Depth=3
	s_wait_alu 0xfffe
	s_and_not1_saveexec_b32 s8, s8
	s_cbranch_execz .LBB6_27
; %bb.26:                               ;   in Loop: Header=BB6_11 Depth=3
	s_wait_loadcnt 0x0
	v_cndmask_b32_e64 v34, 0, 1.0, s7
.LBB6_27:                               ;   in Loop: Header=BB6_11 Depth=3
	s_wait_alu 0xfffe
	s_or_b32 exec_lo, exec_lo, s8
	s_or_b32 s5, s6, s5
	s_wait_loadcnt 0x0
	ds_store_b32 v41, v34 offset:2048
	s_wait_alu 0xfffe
	s_or_b32 s5, s5, s55
	s_wait_alu 0xfffe
	s_nor_b32 s5, s3, s5
	s_wait_alu 0xfffe
	s_and_saveexec_b32 s6, s5
	s_wait_alu 0xfffe
	s_xor_b32 s6, exec_lo, s6
	s_cbranch_execz .LBB6_29
; %bb.28:                               ;   in Loop: Header=BB6_11 Depth=3
	v_add_co_u32 v32, s5, v22, s24
	s_wait_alu 0xf1ff
	v_add_co_ci_u32_e64 v33, null, s25, v23, s5
	global_load_b32 v32, v[32:33], off offset:64
	s_wait_loadcnt 0x0
	ds_store_b32 v41, v32 offset:2112
.LBB6_29:                               ;   in Loop: Header=BB6_11 Depth=3
	s_wait_alu 0xfffe
	s_and_not1_saveexec_b32 s5, s6
	s_cbranch_execz .LBB6_35
; %bb.30:                               ;   in Loop: Header=BB6_11 Depth=3
	s_xor_b32 s6, s55, -1
	s_wait_alu 0xfffe
	s_and_saveexec_b32 s7, s6
	s_wait_alu 0xfffe
	s_xor_b32 s6, exec_lo, s7
; %bb.31:                               ;   in Loop: Header=BB6_11 Depth=3
	ds_store_b32 v41, v38 offset:2112
; %bb.32:                               ;   in Loop: Header=BB6_11 Depth=3
	s_wait_alu 0xfffe
	s_and_not1_saveexec_b32 s6, s6
; %bb.33:                               ;   in Loop: Header=BB6_11 Depth=3
	ds_store_b32 v41, v44 offset:2112
; %bb.34:                               ;   in Loop: Header=BB6_11 Depth=3
	s_wait_alu 0xfffe
	s_or_b32 exec_lo, exec_lo, s6
.LBB6_35:                               ;   in Loop: Header=BB6_11 Depth=3
	s_wait_alu 0xfffe
	s_or_b32 exec_lo, exec_lo, s5
	v_add_co_u32 v34, s5, v37, s26
	s_wait_alu 0xf1ff
	v_add_co_ci_u32_e64 v35, null, 0, s27, s5
	v_add_co_u32 v32, s6, v28, s24
	s_wait_alu 0xf1ff
	v_add_co_ci_u32_e64 v33, null, s25, v29, s6
	s_delay_alu instid0(VALU_DEP_3)
	v_cmp_gt_i64_e64 s5, s[42:43], v[34:35]
	v_mov_b32_e32 v54, 0
	s_and_b32 s7, vcc_lo, s5
	s_wait_alu 0xfffe
	s_and_saveexec_b32 s6, s7
	s_cbranch_execz .LBB6_37
; %bb.36:                               ;   in Loop: Header=BB6_11 Depth=3
	global_load_b32 v54, v[32:33], off offset:-64
.LBB6_37:                               ;   in Loop: Header=BB6_11 Depth=3
	s_wait_alu 0xfffe
	s_or_b32 exec_lo, exec_lo, s6
	v_cmp_gt_i64_e64 s6, s[46:47], v[34:35]
	s_wait_loadcnt 0x0
	ds_store_b32 v42, v54
	s_and_b32 s7, vcc_lo, s6
	s_wait_alu 0xfffe
	s_xor_b32 s7, s7, -1
	s_wait_alu 0xfffe
	s_and_saveexec_b32 s8, s7
	s_wait_alu 0xfffe
	s_xor_b32 s7, exec_lo, s8
; %bb.38:                               ;   in Loop: Header=BB6_11 Depth=3
	ds_store_b32 v42, v38 offset:64
                                        ; implicit-def: $vgpr32_vgpr33
; %bb.39:                               ;   in Loop: Header=BB6_11 Depth=3
	s_wait_alu 0xfffe
	s_and_not1_saveexec_b32 s7, s7
	s_cbranch_execz .LBB6_41
; %bb.40:                               ;   in Loop: Header=BB6_11 Depth=3
	global_load_b32 v32, v[32:33], off
	s_wait_loadcnt 0x0
	ds_store_b32 v42, v32 offset:64
.LBB6_41:                               ;   in Loop: Header=BB6_11 Depth=3
	s_wait_alu 0xfffe
	s_or_b32 exec_lo, exec_lo, s7
	v_add_co_u32 v32, s7, v30, s24
	s_wait_alu 0xf1ff
	v_add_co_ci_u32_e64 v33, null, s25, v31, s7
	v_mov_b32_e32 v34, 0
	s_and_b32 s7, s4, s5
	s_wait_alu 0xfffe
	s_and_saveexec_b32 s5, s7
	s_cbranch_execz .LBB6_43
; %bb.42:                               ;   in Loop: Header=BB6_11 Depth=3
	global_load_b32 v34, v[32:33], off offset:-64
.LBB6_43:                               ;   in Loop: Header=BB6_11 Depth=3
	s_wait_alu 0xfffe
	s_or_b32 exec_lo, exec_lo, s5
	s_and_b32 s5, s4, s6
	s_wait_loadcnt 0x0
	ds_store_b32 v42, v34 offset:2048
	s_wait_alu 0xfffe
	s_xor_b32 s5, s5, -1
	s_wait_alu 0xfffe
	s_and_saveexec_b32 s6, s5
	s_wait_alu 0xfffe
	s_xor_b32 s5, exec_lo, s6
; %bb.44:                               ;   in Loop: Header=BB6_11 Depth=3
	ds_store_b32 v42, v38 offset:2112
                                        ; implicit-def: $vgpr32_vgpr33
; %bb.45:                               ;   in Loop: Header=BB6_11 Depth=3
	s_wait_alu 0xfffe
	s_and_not1_saveexec_b32 s5, s5
	s_cbranch_execz .LBB6_10
; %bb.46:                               ;   in Loop: Header=BB6_11 Depth=3
	global_load_b32 v32, v[32:33], off
	s_wait_loadcnt 0x0
	ds_store_b32 v42, v32 offset:2112
	s_branch .LBB6_10
.LBB6_47:                               ;   in Loop: Header=BB6_8 Depth=2
	v_mul_lo_u32 v30, s29, v49
	v_mul_lo_u32 v31, s28, v52
	v_mad_co_u64_u32 v[28:29], null, s28, v49, 0
	v_cmp_gt_i32_e32 vcc_lo, s10, v49
	s_delay_alu instid0(VALU_DEP_2) | instskip(NEXT) | instid1(VALU_DEP_1)
	v_add3_u32 v29, v29, v31, v30
	v_lshlrev_b64_e32 v[28:29], 2, v[28:29]
	s_delay_alu instid0(VALU_DEP_1) | instskip(SKIP_1) | instid1(VALU_DEP_2)
	v_add_co_u32 v28, s4, s22, v28
	s_wait_alu 0xf1ff
	v_add_co_ci_u32_e64 v29, null, s23, v29, s4
	s_and_b32 s4, s1, vcc_lo
	s_wait_alu 0xfffe
	s_and_saveexec_b32 s5, s4
	s_cbranch_execz .LBB6_49
; %bb.48:                               ;   in Loop: Header=BB6_8 Depth=2
	v_add_co_u32 v30, s4, v28, v8
	s_wait_alu 0xf1ff
	v_add_co_ci_u32_e64 v31, null, v29, v9, s4
	global_load_b32 v32, v[30:31], off
	s_wait_loadcnt 0x0
	v_fmac_f32_e32 v32, v48, v53
	global_store_b32 v[30:31], v32, off
.LBB6_49:                               ;   in Loop: Header=BB6_8 Depth=2
	s_wait_alu 0xfffe
	s_or_b32 exec_lo, exec_lo, s5
	s_and_b32 s5, s2, vcc_lo
	s_wait_alu 0xfffe
	s_and_saveexec_b32 s4, s5
	s_cbranch_execz .LBB6_51
; %bb.50:                               ;   in Loop: Header=BB6_8 Depth=2
	v_add_co_u32 v28, vcc_lo, v28, v18
	s_wait_alu 0xfffd
	v_add_co_ci_u32_e64 v29, null, v29, v19, vcc_lo
	global_load_b32 v30, v[28:29], off
	s_wait_loadcnt 0x0
	v_fmac_f32_e32 v30, v48, v51
	global_store_b32 v[28:29], v30, off
.LBB6_51:                               ;   in Loop: Header=BB6_8 Depth=2
	s_wait_alu 0xfffe
	s_or_b32 exec_lo, exec_lo, s4
	v_add_nc_u32_e32 v30, 16, v49
	s_delay_alu instid0(VALU_DEP_1) | instskip(SKIP_3) | instid1(VALU_DEP_4)
	v_ashrrev_i32_e32 v31, 31, v30
	v_mul_lo_u32 v32, s29, v30
	v_mad_co_u64_u32 v[28:29], null, s28, v30, 0
	v_cmp_gt_i32_e32 vcc_lo, s10, v30
	v_mul_lo_u32 v31, s28, v31
	s_delay_alu instid0(VALU_DEP_1) | instskip(NEXT) | instid1(VALU_DEP_1)
	v_add3_u32 v29, v29, v31, v32
	v_lshlrev_b64_e32 v[28:29], 2, v[28:29]
	s_delay_alu instid0(VALU_DEP_1) | instskip(SKIP_1) | instid1(VALU_DEP_2)
	v_add_co_u32 v28, s4, s22, v28
	s_wait_alu 0xf1ff
	v_add_co_ci_u32_e64 v29, null, s23, v29, s4
	s_and_b32 s4, s1, vcc_lo
	s_wait_alu 0xfffe
	s_and_saveexec_b32 s5, s4
	s_cbranch_execz .LBB6_53
; %bb.52:                               ;   in Loop: Header=BB6_8 Depth=2
	v_add_co_u32 v30, s4, v28, v8
	s_wait_alu 0xf1ff
	v_add_co_ci_u32_e64 v31, null, v29, v9, s4
	global_load_b32 v32, v[30:31], off
	s_wait_loadcnt 0x0
	v_fmac_f32_e32 v32, v48, v50
	global_store_b32 v[30:31], v32, off
.LBB6_53:                               ;   in Loop: Header=BB6_8 Depth=2
	s_wait_alu 0xfffe
	s_or_b32 exec_lo, exec_lo, s5
	s_and_b32 s5, s2, vcc_lo
	s_wait_alu 0xfffe
	s_and_saveexec_b32 s4, s5
	s_cbranch_execz .LBB6_7
; %bb.54:                               ;   in Loop: Header=BB6_8 Depth=2
	v_add_co_u32 v28, vcc_lo, v28, v18
	s_wait_alu 0xfffd
	v_add_co_ci_u32_e64 v29, null, v29, v19, vcc_lo
	global_load_b32 v30, v[28:29], off
	s_wait_loadcnt 0x0
	v_fmac_f32_e32 v30, v48, v27
	global_store_b32 v[28:29], v30, off
	s_branch .LBB6_7
.LBB6_55:
	s_endpgm
	.section	.rodata,"a",@progbits
	.p2align	6, 0x0
	.amdhsa_kernel _ZL30rocblas_trmm_outofplace_kernelIfLi32ELi2ELb1ELb1ELb1ELb0EPKfS0_fEv17rocblas_diagonal_iiT6_lPT7_lllS5_lllPT8_llli
		.amdhsa_group_segment_fixed_size 8192
		.amdhsa_private_segment_fixed_size 0
		.amdhsa_kernarg_size 392
		.amdhsa_user_sgpr_count 2
		.amdhsa_user_sgpr_dispatch_ptr 0
		.amdhsa_user_sgpr_queue_ptr 0
		.amdhsa_user_sgpr_kernarg_segment_ptr 1
		.amdhsa_user_sgpr_dispatch_id 0
		.amdhsa_user_sgpr_private_segment_size 0
		.amdhsa_wavefront_size32 1
		.amdhsa_uses_dynamic_stack 0
		.amdhsa_enable_private_segment 0
		.amdhsa_system_sgpr_workgroup_id_x 1
		.amdhsa_system_sgpr_workgroup_id_y 1
		.amdhsa_system_sgpr_workgroup_id_z 1
		.amdhsa_system_sgpr_workgroup_info 0
		.amdhsa_system_vgpr_workitem_id 1
		.amdhsa_next_free_vgpr 94
		.amdhsa_next_free_sgpr 57
		.amdhsa_reserve_vcc 1
		.amdhsa_float_round_mode_32 0
		.amdhsa_float_round_mode_16_64 0
		.amdhsa_float_denorm_mode_32 3
		.amdhsa_float_denorm_mode_16_64 3
		.amdhsa_fp16_overflow 0
		.amdhsa_workgroup_processor_mode 1
		.amdhsa_memory_ordered 1
		.amdhsa_forward_progress 1
		.amdhsa_inst_pref_size 29
		.amdhsa_round_robin_scheduling 0
		.amdhsa_exception_fp_ieee_invalid_op 0
		.amdhsa_exception_fp_denorm_src 0
		.amdhsa_exception_fp_ieee_div_zero 0
		.amdhsa_exception_fp_ieee_overflow 0
		.amdhsa_exception_fp_ieee_underflow 0
		.amdhsa_exception_fp_ieee_inexact 0
		.amdhsa_exception_int_div_zero 0
	.end_amdhsa_kernel
	.section	.text._ZL30rocblas_trmm_outofplace_kernelIfLi32ELi2ELb1ELb1ELb1ELb0EPKfS0_fEv17rocblas_diagonal_iiT6_lPT7_lllS5_lllPT8_llli,"axG",@progbits,_ZL30rocblas_trmm_outofplace_kernelIfLi32ELi2ELb1ELb1ELb1ELb0EPKfS0_fEv17rocblas_diagonal_iiT6_lPT7_lllS5_lllPT8_llli,comdat
.Lfunc_end6:
	.size	_ZL30rocblas_trmm_outofplace_kernelIfLi32ELi2ELb1ELb1ELb1ELb0EPKfS0_fEv17rocblas_diagonal_iiT6_lPT7_lllS5_lllPT8_llli, .Lfunc_end6-_ZL30rocblas_trmm_outofplace_kernelIfLi32ELi2ELb1ELb1ELb1ELb0EPKfS0_fEv17rocblas_diagonal_iiT6_lPT7_lllS5_lllPT8_llli
                                        ; -- End function
	.set _ZL30rocblas_trmm_outofplace_kernelIfLi32ELi2ELb1ELb1ELb1ELb0EPKfS0_fEv17rocblas_diagonal_iiT6_lPT7_lllS5_lllPT8_llli.num_vgpr, 94
	.set _ZL30rocblas_trmm_outofplace_kernelIfLi32ELi2ELb1ELb1ELb1ELb0EPKfS0_fEv17rocblas_diagonal_iiT6_lPT7_lllS5_lllPT8_llli.num_agpr, 0
	.set _ZL30rocblas_trmm_outofplace_kernelIfLi32ELi2ELb1ELb1ELb1ELb0EPKfS0_fEv17rocblas_diagonal_iiT6_lPT7_lllS5_lllPT8_llli.numbered_sgpr, 57
	.set _ZL30rocblas_trmm_outofplace_kernelIfLi32ELi2ELb1ELb1ELb1ELb0EPKfS0_fEv17rocblas_diagonal_iiT6_lPT7_lllS5_lllPT8_llli.num_named_barrier, 0
	.set _ZL30rocblas_trmm_outofplace_kernelIfLi32ELi2ELb1ELb1ELb1ELb0EPKfS0_fEv17rocblas_diagonal_iiT6_lPT7_lllS5_lllPT8_llli.private_seg_size, 0
	.set _ZL30rocblas_trmm_outofplace_kernelIfLi32ELi2ELb1ELb1ELb1ELb0EPKfS0_fEv17rocblas_diagonal_iiT6_lPT7_lllS5_lllPT8_llli.uses_vcc, 1
	.set _ZL30rocblas_trmm_outofplace_kernelIfLi32ELi2ELb1ELb1ELb1ELb0EPKfS0_fEv17rocblas_diagonal_iiT6_lPT7_lllS5_lllPT8_llli.uses_flat_scratch, 0
	.set _ZL30rocblas_trmm_outofplace_kernelIfLi32ELi2ELb1ELb1ELb1ELb0EPKfS0_fEv17rocblas_diagonal_iiT6_lPT7_lllS5_lllPT8_llli.has_dyn_sized_stack, 0
	.set _ZL30rocblas_trmm_outofplace_kernelIfLi32ELi2ELb1ELb1ELb1ELb0EPKfS0_fEv17rocblas_diagonal_iiT6_lPT7_lllS5_lllPT8_llli.has_recursion, 0
	.set _ZL30rocblas_trmm_outofplace_kernelIfLi32ELi2ELb1ELb1ELb1ELb0EPKfS0_fEv17rocblas_diagonal_iiT6_lPT7_lllS5_lllPT8_llli.has_indirect_call, 0
	.section	.AMDGPU.csdata,"",@progbits
; Kernel info:
; codeLenInByte = 3672
; TotalNumSgprs: 59
; NumVgprs: 94
; ScratchSize: 0
; MemoryBound: 0
; FloatMode: 240
; IeeeMode: 1
; LDSByteSize: 8192 bytes/workgroup (compile time only)
; SGPRBlocks: 0
; VGPRBlocks: 11
; NumSGPRsForWavesPerEU: 59
; NumVGPRsForWavesPerEU: 94
; Occupancy: 16
; WaveLimiterHint : 0
; COMPUTE_PGM_RSRC2:SCRATCH_EN: 0
; COMPUTE_PGM_RSRC2:USER_SGPR: 2
; COMPUTE_PGM_RSRC2:TRAP_HANDLER: 0
; COMPUTE_PGM_RSRC2:TGID_X_EN: 1
; COMPUTE_PGM_RSRC2:TGID_Y_EN: 1
; COMPUTE_PGM_RSRC2:TGID_Z_EN: 1
; COMPUTE_PGM_RSRC2:TIDIG_COMP_CNT: 1
	.section	.text._ZL30rocblas_trmm_outofplace_kernelIfLi32ELi2ELb1ELb1ELb1ELb0EfKffEv17rocblas_diagonal_iiT6_lPT7_lllS4_lllPT8_llli,"axG",@progbits,_ZL30rocblas_trmm_outofplace_kernelIfLi32ELi2ELb1ELb1ELb1ELb0EfKffEv17rocblas_diagonal_iiT6_lPT7_lllS4_lllPT8_llli,comdat
	.globl	_ZL30rocblas_trmm_outofplace_kernelIfLi32ELi2ELb1ELb1ELb1ELb0EfKffEv17rocblas_diagonal_iiT6_lPT7_lllS4_lllPT8_llli ; -- Begin function _ZL30rocblas_trmm_outofplace_kernelIfLi32ELi2ELb1ELb1ELb1ELb0EfKffEv17rocblas_diagonal_iiT6_lPT7_lllS4_lllPT8_llli
	.p2align	8
	.type	_ZL30rocblas_trmm_outofplace_kernelIfLi32ELi2ELb1ELb1ELb1ELb0EfKffEv17rocblas_diagonal_iiT6_lPT7_lllS4_lllPT8_llli,@function
_ZL30rocblas_trmm_outofplace_kernelIfLi32ELi2ELb1ELb1ELb1ELb0EfKffEv17rocblas_diagonal_iiT6_lPT7_lllS4_lllPT8_llli: ; @_ZL30rocblas_trmm_outofplace_kernelIfLi32ELi2ELb1ELb1ELb1ELb0EfKffEv17rocblas_diagonal_iiT6_lPT7_lllS4_lllPT8_llli
; %bb.0:
	s_load_b32 s33, s[0:1], 0x78
	s_lshr_b32 s34, ttmp7, 16
	s_wait_kmcnt 0x0
	s_cmp_ge_u32 s34, s33
	s_cbranch_scc1 .LBB7_54
; %bb.1:
	s_load_b128 s[28:31], s[0:1], 0x0
	s_mov_b32 s35, 0
	s_wait_kmcnt 0x0
	s_cmp_eq_f32 s31, 0
	s_cbranch_scc1 .LBB7_54
; %bb.2:
	s_add_co_i32 s2, s30, -1
	s_and_b32 s42, ttmp7, 0xffff
	s_ashr_i32 s3, s2, 31
	v_dual_mov_b32 v38, 0 :: v_dual_and_b32 v37, 0x3ff, v0
	s_lshr_b32 s3, s3, 27
	s_load_b512 s[4:19], s[0:1], 0x18
	s_add_co_i32 s2, s2, s3
	v_bfe_u32 v36, v0, 10, 10
	s_ashr_i32 s43, s2, 5
	v_dual_mov_b32 v44, 1.0 :: v_dual_lshlrev_b32 v39, 2, v37
	s_cmp_le_i32 s42, s43
	s_delay_alu instid0(VALU_DEP_2)
	v_lshlrev_b32_e32 v2, 7, v36
	s_cselect_b32 s44, -1, 0
	s_lshl_b32 s45, ttmp9, 5
	s_cmp_gt_i32 ttmp9, -1
	v_add_nc_u32_e32 v0, s45, v37
	v_add_nc_u32_e32 v40, 0x1000, v2
	;; [unrolled: 1-line block ×3, first 2 shown]
	s_cselect_b32 s46, -1, 0
	s_cmp_eq_u32 s28, 0x84
	v_ashrrev_i32_e32 v1, 31, v0
	v_add_co_u32 v2, vcc_lo, v0, 16
	s_cselect_b32 s47, -1, 0
	s_wait_kmcnt 0x0
	v_mul_lo_u32 v17, s9, v0
	v_add_co_ci_u32_e64 v3, null, 0, v1, vcc_lo
	v_sub_co_u32 v4, vcc_lo, v0, v36
	v_lshlrev_b64_e32 v[6:7], 2, v[0:1]
	s_wait_alu 0xfffd
	v_subrev_co_ci_u32_e64 v5, null, 0, v1, vcc_lo
	s_delay_alu instid0(VALU_DEP_3)
	v_add_co_u32 v8, vcc_lo, v4, 16
	v_mul_lo_u32 v16, s8, v1
	v_mad_co_u64_u32 v[12:13], null, s8, v0, 0
	s_wait_alu 0xfffd
	v_add_co_ci_u32_e64 v9, null, 0, v5, vcc_lo
	v_add_co_u32 v14, vcc_lo, v6, 64
	s_wait_alu 0xfffd
	v_add_co_ci_u32_e64 v15, null, 0, v7, vcc_lo
	s_lshl_b64 s[6:7], s[6:7], 2
	s_load_b256 s[20:27], s[0:1], 0x58
	s_lshl_b64 s[14:15], s[14:15], 2
	v_add3_u32 v13, v13, v16, v17
	v_mul_lo_u32 v20, s8, v15
	v_mul_lo_u32 v21, s9, v14
	v_mad_co_u64_u32 v[14:15], null, s8, v14, s[6:7]
	s_add_nc_u64 s[12:13], s[12:13], s[14:15]
	v_lshlrev_b64_e32 v[16:17], 2, v[12:13]
	v_add_co_u32 v22, s8, s12, v39
	s_wait_alu 0xf1ff
	v_add_co_ci_u32_e64 v23, null, s13, 0, s8
	v_add_co_u32 v10, vcc_lo, v4, -16
	s_wait_alu 0xfffd
	v_add_co_ci_u32_e64 v11, null, -1, v5, vcc_lo
	v_add_co_u32 v12, vcc_lo, v22, 64
	v_add3_u32 v15, v21, v15, v20
	v_lshlrev_b32_e32 v20, 2, v36
	s_wait_alu 0xfffd
	v_add_co_ci_u32_e64 v13, null, 0, v23, vcc_lo
	v_add_co_u32 v16, vcc_lo, v16, s6
	v_add_nc_u32_e32 v18, 16, v0
	s_wait_alu 0xfffd
	v_add_co_ci_u32_e64 v17, null, s7, v17, vcc_lo
	v_add_co_u32 v14, vcc_lo, v14, v20
	s_wait_alu 0xfffd
	v_add_co_ci_u32_e64 v15, null, 0, v15, vcc_lo
	v_add_co_u32 v16, vcc_lo, v16, v20
	v_ashrrev_i32_e32 v19, 31, v18
	s_wait_alu 0xfffd
	v_add_co_ci_u32_e64 v17, null, 0, v17, vcc_lo
	v_add_co_u32 v14, vcc_lo, s4, v14
	s_ashr_i32 s37, s29, 31
	s_mov_b32 s36, s29
	s_wait_kmcnt 0x0
	s_lshl_b64 s[2:3], s[22:23], 2
	s_wait_alu 0xfffd
	v_add_co_ci_u32_e64 v15, null, s5, v15, vcc_lo
	v_add_co_u32 v16, vcc_lo, s4, v16
	s_add_nc_u64 s[22:23], s[0:1], 0x80
	s_add_nc_u64 s[20:21], s[20:21], s[2:3]
	v_cmp_le_i64_e64 s1, s[36:37], v[2:3]
	v_cmp_gt_i32_e64 s3, s29, v18
	v_lshlrev_b64_e32 v[18:19], 2, v[18:19]
	v_add_nc_u32_e32 v42, v40, v39
	v_cmp_le_i32_e64 s0, s29, v0
	v_cmp_gt_i32_e64 s2, s29, v0
	v_lshl_add_u32 v43, s42, 5, v36
	s_wait_alu 0xfffd
	v_add_co_ci_u32_e64 v17, null, s5, v17, vcc_lo
	v_add_nc_u32_e32 v45, 0x400, v39
	v_add_nc_u32_e32 v46, 0x800, v39
	;; [unrolled: 1-line block ×3, first 2 shown]
	s_ashr_i32 s48, s30, 31
	s_mov_b32 s49, s30
	s_add_nc_u64 s[38:39], s[36:37], -16
	s_lshl_b64 s[12:13], s[18:19], 2
	s_lshl_b64 s[14:15], s[16:17], 2
	;; [unrolled: 1-line block ×3, first 2 shown]
	s_branch .LBB7_4
.LBB7_3:                                ;   in Loop: Header=BB7_4 Depth=1
	s_add_co_i32 s34, s34, 0x10000
	s_wait_alu 0xfffe
	s_cmp_ge_u32 s34, s33
	s_cbranch_scc1 .LBB7_54
.LBB7_4:                                ; =>This Loop Header: Depth=1
                                        ;     Child Loop BB7_7 Depth 2
                                        ;       Child Loop BB7_10 Depth 3
	s_and_not1_b32 vcc_lo, exec_lo, s44
	s_wait_alu 0xfffe
	s_cbranch_vccnz .LBB7_3
; %bb.5:                                ;   in Loop: Header=BB7_4 Depth=1
	s_load_b32 s9, s[22:23], 0x4
	v_mad_co_u64_u32 v[20:21], null, s12, s34, v[12:13]
	v_mad_co_u64_u32 v[22:23], null, s10, s34, v[14:15]
	;; [unrolled: 1-line block ×3, first 2 shown]
	s_mul_i32 s6, s11, s34
	s_mul_u64 s[4:5], s[26:27], s[34:35]
	s_mov_b32 s51, s42
	s_wait_alu 0xfffe
	s_lshl_b64 s[4:5], s[4:5], 2
	v_mad_co_u64_u32 v[26:27], null, s13, s34, v[21:22]
	v_add_nc_u32_e32 v23, s6, v23
	v_add_nc_u32_e32 v25, s6, v25
	s_wait_alu 0xfffe
	s_add_nc_u64 s[18:19], s[20:21], s[4:5]
	s_delay_alu instid0(VALU_DEP_3)
	v_dual_mov_b32 v21, v26 :: v_dual_mov_b32 v26, v43
	s_wait_kmcnt 0x0
	s_lshl_b32 s50, s9, 5
	s_branch .LBB7_7
.LBB7_6:                                ;   in Loop: Header=BB7_7 Depth=2
	s_wait_alu 0xfffe
	s_or_b32 exec_lo, exec_lo, s4
	v_add_nc_u32_e32 v26, s50, v26
	s_add_co_i32 s51, s9, s51
	s_wait_alu 0xfffe
	s_cmp_gt_i32 s51, s43
	s_cbranch_scc1 .LBB7_3
.LBB7_7:                                ;   Parent Loop BB7_4 Depth=1
                                        ; =>  This Loop Header: Depth=2
                                        ;       Child Loop BB7_10 Depth 3
	v_lshl_add_u32 v48, s51, 5, v36
	v_dual_mov_b32 v52, 0 :: v_dual_mov_b32 v49, 0
	v_dual_mov_b32 v50, 0 :: v_dual_mov_b32 v27, 0
	s_delay_alu instid0(VALU_DEP_3)
	v_ashrrev_i32_e32 v51, 31, v48
	s_and_not1_b32 vcc_lo, exec_lo, s46
	s_wait_alu 0xfffe
	s_cbranch_vccnz .LBB7_46
; %bb.8:                                ;   in Loop: Header=BB7_7 Depth=2
	v_ashrrev_i32_e32 v27, 31, v26
	v_mad_co_u64_u32 v[28:29], null, s14, v26, v[20:21]
	v_mul_lo_u32 v34, s15, v26
	v_mov_b32_e32 v49, 0
	s_delay_alu instid0(VALU_DEP_4) | instskip(SKIP_4) | instid1(VALU_DEP_3)
	v_lshlrev_b64_e32 v[30:31], 2, v[26:27]
	v_mul_lo_u32 v35, s14, v27
	v_dual_mov_b32 v27, 0 :: v_dual_mov_b32 v50, 0
	s_mov_b64 s[28:29], 0
	s_mov_b64 s[40:41], 0
	v_add_co_u32 v30, vcc_lo, v30, 64
	s_wait_alu 0xfffd
	v_add_co_ci_u32_e64 v31, null, 0, v31, vcc_lo
	v_sub_co_u32 v32, vcc_lo, s49, v48
	s_delay_alu instid0(VALU_DEP_3) | instskip(NEXT) | instid1(VALU_DEP_3)
	v_mul_lo_u32 v53, s17, v30
	v_mul_lo_u32 v52, s16, v31
	v_mad_co_u64_u32 v[30:31], null, s16, v30, v[20:21]
	s_wait_alu 0xfffd
	v_sub_co_ci_u32_e64 v33, null, s48, v51, vcc_lo
	v_add3_u32 v29, v34, v29, v35
	s_delay_alu instid0(VALU_DEP_2) | instskip(NEXT) | instid1(VALU_DEP_4)
	v_cmp_lt_i64_e64 s4, 16, v[32:33]
	v_add3_u32 v31, v53, v31, v52
	v_mov_b32_e32 v52, 0
	v_cmp_lt_i64_e32 vcc_lo, 0, v[32:33]
	s_branch .LBB7_10
.LBB7_9:                                ;   in Loop: Header=BB7_10 Depth=3
	s_wait_alu 0xfffe
	s_or_b32 exec_lo, exec_lo, s5
	s_wait_dscnt 0x0
	s_barrier_signal -1
	s_barrier_wait -1
	global_inv scope:SCOPE_SE
	ds_load_b128 v[32:35], v40
	ds_load_2addr_b32 v[73:74], v39 offset1:16
	ds_load_b128 v[53:56], v40 offset:2048
	ds_load_2addr_b32 v[75:76], v39 offset0:32 offset1:48
	ds_load_b128 v[57:60], v40 offset:16
	ds_load_2addr_b32 v[77:78], v39 offset0:64 offset1:80
	ds_load_b128 v[61:64], v40 offset:32
	ds_load_b128 v[65:68], v40 offset:48
	ds_load_2addr_b32 v[79:80], v39 offset0:96 offset1:112
	ds_load_2addr_b32 v[81:82], v39 offset0:128 offset1:144
	ds_load_b128 v[69:72], v40 offset:2064
	ds_load_2addr_b32 v[83:84], v39 offset0:160 offset1:176
	ds_load_2addr_b32 v[85:86], v39 offset0:192 offset1:208
	;; [unrolled: 1-line block ×3, first 2 shown]
	ds_load_2addr_b32 v[89:90], v45 offset1:16
	ds_load_2addr_b32 v[91:92], v45 offset0:32 offset1:48
	s_add_nc_u64 s[40:41], s[40:41], 32
	s_add_nc_u64 s[28:29], s[28:29], 0x80
	s_wait_alu 0xfffe
	s_sub_co_i32 s5, s40, 32
	s_wait_alu 0xfffe
	s_cmp_ge_i32 s5, s45
	s_wait_dscnt 0xd
	v_dual_fmac_f32 v52, v73, v32 :: v_dual_fmac_f32 v27, v74, v53
	v_dual_fmac_f32 v50, v74, v32 :: v_dual_fmac_f32 v49, v73, v53
	ds_load_2addr_b32 v[73:74], v45 offset0:64 offset1:80
	s_wait_dscnt 0xd
	v_dual_fmac_f32 v52, v75, v33 :: v_dual_fmac_f32 v27, v76, v54
	v_dual_fmac_f32 v50, v76, v33 :: v_dual_fmac_f32 v49, v75, v54
	ds_load_2addr_b32 v[75:76], v45 offset0:96 offset1:112
	;; [unrolled: 4-line block ×3, first 2 shown]
	s_wait_dscnt 0xa
	v_dual_fmac_f32 v52, v79, v35 :: v_dual_fmac_f32 v27, v80, v56
	v_dual_fmac_f32 v50, v80, v35 :: v_dual_fmac_f32 v49, v79, v56
	ds_load_b128 v[32:35], v40 offset:2080
	ds_load_b128 v[53:56], v40 offset:2096
	ds_load_2addr_b32 v[79:80], v45 offset0:160 offset1:176
	s_wait_dscnt 0xb
	v_fmac_f32_e32 v27, v82, v69
	v_fmac_f32_e32 v50, v82, v57
	v_fmac_f32_e32 v49, v81, v69
	v_fmac_f32_e32 v52, v81, v57
	ds_load_2addr_b32 v[81:82], v45 offset0:192 offset1:208
	s_wait_dscnt 0xb
	v_fmac_f32_e32 v27, v84, v70
	v_fmac_f32_e32 v50, v84, v58
	v_fmac_f32_e32 v49, v83, v70
	v_fmac_f32_e32 v52, v83, v58
	;; [unrolled: 6-line block ×3, first 2 shown]
	ds_load_2addr_b32 v[85:86], v46 offset1:16
	s_wait_dscnt 0xb
	v_fmac_f32_e32 v27, v88, v72
	v_fmac_f32_e32 v50, v88, v60
	;; [unrolled: 1-line block ×4, first 2 shown]
	ds_load_b128 v[57:60], v40 offset:64
	s_wait_dscnt 0x6
	v_fmac_f32_e32 v27, v90, v32
	v_dual_fmac_f32 v50, v90, v61 :: v_dual_fmac_f32 v49, v89, v32
	v_fmac_f32_e32 v52, v89, v61
	ds_load_b128 v[69:72], v40 offset:2112
	v_fmac_f32_e32 v27, v92, v33
	v_dual_fmac_f32 v50, v92, v62 :: v_dual_fmac_f32 v49, v91, v33
	v_fmac_f32_e32 v52, v91, v62
	ds_load_2addr_b32 v[61:62], v46 offset0:32 offset1:48
	v_fmac_f32_e32 v27, v74, v34
	v_dual_fmac_f32 v50, v74, v63 :: v_dual_fmac_f32 v49, v73, v34
	v_fmac_f32_e32 v52, v73, v63
	ds_load_2addr_b32 v[73:74], v46 offset0:96 offset1:112
	;; [unrolled: 4-line block ×3, first 2 shown]
	s_wait_dscnt 0x9
	v_fmac_f32_e32 v27, v78, v53
	v_fmac_f32_e32 v50, v78, v65
	;; [unrolled: 1-line block ×4, first 2 shown]
	ds_load_b128 v[32:35], v40 offset:80
	s_wait_dscnt 0x9
	v_fmac_f32_e32 v27, v80, v54
	v_fmac_f32_e32 v50, v80, v66
	;; [unrolled: 1-line block ×4, first 2 shown]
	ds_load_2addr_b32 v[65:66], v46 offset0:128 offset1:144
	s_wait_dscnt 0x9
	v_fmac_f32_e32 v27, v82, v55
	v_fmac_f32_e32 v50, v82, v67
	;; [unrolled: 1-line block ×4, first 2 shown]
	ds_load_2addr_b32 v[75:76], v46 offset0:224 offset1:240
	s_wait_dscnt 0x9
	v_fmac_f32_e32 v27, v84, v56
	v_fmac_f32_e32 v50, v84, v68
	;; [unrolled: 1-line block ×4, first 2 shown]
	ds_load_b128 v[53:56], v40 offset:2128
	s_wait_dscnt 0x7
	v_fmac_f32_e32 v27, v86, v69
	ds_load_2addr_b32 v[67:68], v46 offset0:160 offset1:176
	v_fmac_f32_e32 v49, v85, v69
	v_fmac_f32_e32 v52, v85, v57
	;; [unrolled: 1-line block ×3, first 2 shown]
	s_wait_dscnt 0x7
	v_fmac_f32_e32 v27, v62, v70
	v_fmac_f32_e32 v49, v61, v70
	;; [unrolled: 1-line block ×4, first 2 shown]
	ds_load_2addr_b32 v[69:70], v46 offset0:192 offset1:208
	s_wait_dscnt 0x6
	v_fmac_f32_e32 v27, v64, v71
	v_fmac_f32_e32 v49, v63, v71
	;; [unrolled: 1-line block ×3, first 2 shown]
	s_delay_alu instid0(VALU_DEP_3) | instskip(NEXT) | instid1(VALU_DEP_3)
	v_dual_fmac_f32 v50, v64, v59 :: v_dual_fmac_f32 v27, v74, v72
	v_fmac_f32_e32 v49, v73, v72
	s_delay_alu instid0(VALU_DEP_3) | instskip(NEXT) | instid1(VALU_DEP_3)
	v_fmac_f32_e32 v52, v73, v60
	v_fmac_f32_e32 v50, v74, v60
	ds_load_b128 v[57:60], v40 offset:96
	ds_load_2addr_b32 v[71:72], v47 offset1:16
	s_wait_dscnt 0x4
	v_fmac_f32_e32 v27, v66, v53
	v_fmac_f32_e32 v49, v65, v53
	;; [unrolled: 1-line block ×4, first 2 shown]
	ds_load_b128 v[61:64], v40 offset:2144
	ds_load_2addr_b32 v[65:66], v47 offset0:32 offset1:48
	s_wait_dscnt 0x5
	v_fmac_f32_e32 v49, v67, v54
	v_dual_fmac_f32 v52, v67, v33 :: v_dual_fmac_f32 v27, v68, v54
	v_fmac_f32_e32 v50, v68, v33
	ds_load_2addr_b32 v[67:68], v47 offset0:64 offset1:80
	s_wait_dscnt 0x5
	v_fmac_f32_e32 v49, v69, v55
	v_dual_fmac_f32 v52, v69, v34 :: v_dual_fmac_f32 v27, v70, v55
	v_fmac_f32_e32 v50, v70, v34
	ds_load_2addr_b32 v[69:70], v47 offset0:96 offset1:112
	v_fmac_f32_e32 v49, v75, v56
	v_dual_fmac_f32 v52, v75, v35 :: v_dual_fmac_f32 v27, v76, v56
	v_fmac_f32_e32 v50, v76, v35
	ds_load_b128 v[32:35], v40 offset:112
	ds_load_2addr_b32 v[73:74], v47 offset0:128 offset1:144
	ds_load_b128 v[53:56], v40 offset:2160
	s_wait_dscnt 0x6
	v_fmac_f32_e32 v49, v71, v61
	v_fmac_f32_e32 v52, v71, v57
	v_fmac_f32_e32 v27, v72, v61
	v_fmac_f32_e32 v50, v72, v57
	ds_load_2addr_b32 v[71:72], v47 offset0:160 offset1:176
	s_wait_dscnt 0x6
	v_fmac_f32_e32 v49, v65, v62
	v_fmac_f32_e32 v52, v65, v58
	v_fmac_f32_e32 v27, v66, v62
	v_fmac_f32_e32 v50, v66, v58
	ds_load_2addr_b32 v[57:58], v47 offset0:192 offset1:208
	;; [unrolled: 6-line block ×3, first 2 shown]
	s_wait_dscnt 0x6
	v_fmac_f32_e32 v49, v69, v64
	v_fmac_f32_e32 v52, v69, v60
	;; [unrolled: 1-line block ×4, first 2 shown]
	s_wait_loadcnt_dscnt 0x0
	v_fmac_f32_e32 v49, v73, v53
	s_delay_alu instid0(VALU_DEP_3) | instskip(NEXT) | instid1(VALU_DEP_3)
	v_dual_fmac_f32 v52, v73, v32 :: v_dual_fmac_f32 v27, v74, v53
	v_fmac_f32_e32 v50, v74, v32
	s_barrier_signal -1
	s_delay_alu instid0(VALU_DEP_3) | instskip(NEXT) | instid1(VALU_DEP_3)
	v_fmac_f32_e32 v49, v71, v54
	v_dual_fmac_f32 v52, v71, v33 :: v_dual_fmac_f32 v27, v72, v54
	s_delay_alu instid0(VALU_DEP_3) | instskip(SKIP_1) | instid1(VALU_DEP_3)
	v_fmac_f32_e32 v50, v72, v33
	s_barrier_wait -1
	v_fmac_f32_e32 v49, v57, v55
	s_delay_alu instid0(VALU_DEP_3) | instskip(NEXT) | instid1(VALU_DEP_3)
	v_dual_fmac_f32 v52, v57, v34 :: v_dual_fmac_f32 v27, v58, v55
	v_fmac_f32_e32 v50, v58, v34
	global_inv scope:SCOPE_SE
	v_fmac_f32_e32 v49, v61, v56
	v_dual_fmac_f32 v52, v61, v35 :: v_dual_fmac_f32 v27, v62, v56
	v_fmac_f32_e32 v50, v62, v35
	s_cbranch_scc1 .LBB7_46
.LBB7_10:                               ;   Parent Loop BB7_4 Depth=1
                                        ;     Parent Loop BB7_7 Depth=2
                                        ; =>    This Inner Loop Header: Depth=3
	s_wait_alu 0xfffe
	v_add_co_u32 v34, s5, v36, s40
	s_wait_alu 0xf1ff
	v_add_co_ci_u32_e64 v35, null, 0, s41, s5
	v_cmp_eq_u64_e64 s7, s[40:41], v[4:5]
                                        ; implicit-def: $vgpr53
	s_delay_alu instid0(VALU_DEP_2)
	v_cmp_le_i64_e64 s6, s[36:37], v[34:35]
	v_cmp_gt_i64_e64 s5, v[34:35], v[0:1]
	s_and_b32 s52, s47, s7
	v_add_co_u32 v32, s7, v24, s28
	s_wait_alu 0xf1ff
	v_add_co_ci_u32_e64 v33, null, s29, v25, s7
	s_or_b32 s8, s6, s5
	s_wait_alu 0xfffe
	s_or_b32 s7, s8, s52
	s_wait_alu 0xfffe
	s_nor_b32 s7, s0, s7
	s_wait_alu 0xfffe
	s_and_saveexec_b32 s8, s7
	s_wait_alu 0xfffe
	s_xor_b32 s7, exec_lo, s8
	s_cbranch_execz .LBB7_12
; %bb.11:                               ;   in Loop: Header=BB7_10 Depth=3
	global_load_b32 v53, v[32:33], off
.LBB7_12:                               ;   in Loop: Header=BB7_10 Depth=3
	s_wait_alu 0xfffe
	s_and_not1_saveexec_b32 s7, s7
	s_cbranch_execz .LBB7_14
; %bb.13:                               ;   in Loop: Header=BB7_10 Depth=3
	s_wait_loadcnt 0x0
	v_cndmask_b32_e64 v53, 0, 1.0, s52
.LBB7_14:                               ;   in Loop: Header=BB7_10 Depth=3
	s_wait_alu 0xfffe
	s_or_b32 exec_lo, exec_lo, s7
	v_cmp_eq_u64_e64 s7, s[40:41], v[8:9]
	v_cmp_lt_i64_e64 s8, v[2:3], v[34:35]
	s_wait_loadcnt 0x0
	ds_store_b32 v41, v53
	s_and_b32 s7, s47, s7
	s_or_b32 s6, s6, s8
	s_wait_alu 0xfffe
	s_or_b32 s6, s6, s7
	s_wait_alu 0xfffe
	s_nor_b32 s6, s1, s6
	s_wait_alu 0xfffe
	s_and_saveexec_b32 s8, s6
	s_wait_alu 0xfffe
	s_xor_b32 s8, exec_lo, s8
	s_cbranch_execz .LBB7_16
; %bb.15:                               ;   in Loop: Header=BB7_10 Depth=3
	v_add_co_u32 v53, s6, v22, s28
	s_wait_alu 0xf1ff
	v_add_co_ci_u32_e64 v54, null, s29, v23, s6
	global_load_b32 v53, v[53:54], off
	s_wait_loadcnt 0x0
	ds_store_b32 v41, v53 offset:64
.LBB7_16:                               ;   in Loop: Header=BB7_10 Depth=3
	s_wait_alu 0xfffe
	s_and_not1_saveexec_b32 s6, s8
	s_cbranch_execz .LBB7_22
; %bb.17:                               ;   in Loop: Header=BB7_10 Depth=3
	s_xor_b32 s7, s7, -1
	s_wait_alu 0xfffe
	s_and_saveexec_b32 s8, s7
	s_wait_alu 0xfffe
	s_xor_b32 s7, exec_lo, s8
; %bb.18:                               ;   in Loop: Header=BB7_10 Depth=3
	ds_store_b32 v41, v38 offset:64
; %bb.19:                               ;   in Loop: Header=BB7_10 Depth=3
	s_wait_alu 0xfffe
	s_and_not1_saveexec_b32 s7, s7
; %bb.20:                               ;   in Loop: Header=BB7_10 Depth=3
	ds_store_b32 v41, v44 offset:64
; %bb.21:                               ;   in Loop: Header=BB7_10 Depth=3
	s_wait_alu 0xfffe
	s_or_b32 exec_lo, exec_lo, s7
.LBB7_22:                               ;   in Loop: Header=BB7_10 Depth=3
	s_wait_alu 0xfffe
	s_or_b32 exec_lo, exec_lo, s6
	v_add_co_u32 v34, s6, v34, 16
	s_wait_alu 0xf1ff
	v_add_co_ci_u32_e64 v35, null, 0, v35, s6
	v_cmp_eq_u64_e64 s7, s[40:41], v[10:11]
	s_delay_alu instid0(VALU_DEP_2)
	v_cmp_le_i64_e64 s6, s[36:37], v[34:35]
	v_cmp_gt_i64_e64 s8, v[34:35], v[0:1]
                                        ; implicit-def: $vgpr34
	s_and_b32 s7, s47, s7
	s_or_b32 s8, s6, s8
	s_wait_alu 0xfffe
	s_or_b32 s8, s8, s7
	s_wait_alu 0xfffe
	s_nor_b32 s8, s0, s8
	s_wait_alu 0xfffe
	s_and_saveexec_b32 s53, s8
	s_wait_alu 0xfffe
	s_xor_b32 s8, exec_lo, s53
	s_cbranch_execz .LBB7_24
; %bb.23:                               ;   in Loop: Header=BB7_10 Depth=3
	global_load_b32 v34, v[32:33], off offset:64
.LBB7_24:                               ;   in Loop: Header=BB7_10 Depth=3
	s_wait_alu 0xfffe
	s_and_not1_saveexec_b32 s8, s8
	s_cbranch_execz .LBB7_26
; %bb.25:                               ;   in Loop: Header=BB7_10 Depth=3
	s_wait_loadcnt 0x0
	v_cndmask_b32_e64 v34, 0, 1.0, s7
.LBB7_26:                               ;   in Loop: Header=BB7_10 Depth=3
	s_wait_alu 0xfffe
	s_or_b32 exec_lo, exec_lo, s8
	s_or_b32 s5, s6, s5
	s_wait_loadcnt 0x0
	ds_store_b32 v41, v34 offset:2048
	s_wait_alu 0xfffe
	s_or_b32 s5, s5, s52
	s_wait_alu 0xfffe
	s_nor_b32 s5, s1, s5
	s_wait_alu 0xfffe
	s_and_saveexec_b32 s6, s5
	s_wait_alu 0xfffe
	s_xor_b32 s6, exec_lo, s6
	s_cbranch_execz .LBB7_28
; %bb.27:                               ;   in Loop: Header=BB7_10 Depth=3
	v_add_co_u32 v32, s5, v22, s28
	s_wait_alu 0xf1ff
	v_add_co_ci_u32_e64 v33, null, s29, v23, s5
	global_load_b32 v32, v[32:33], off offset:64
	s_wait_loadcnt 0x0
	ds_store_b32 v41, v32 offset:2112
.LBB7_28:                               ;   in Loop: Header=BB7_10 Depth=3
	s_wait_alu 0xfffe
	s_and_not1_saveexec_b32 s5, s6
	s_cbranch_execz .LBB7_34
; %bb.29:                               ;   in Loop: Header=BB7_10 Depth=3
	s_xor_b32 s6, s52, -1
	s_wait_alu 0xfffe
	s_and_saveexec_b32 s7, s6
	s_wait_alu 0xfffe
	s_xor_b32 s6, exec_lo, s7
; %bb.30:                               ;   in Loop: Header=BB7_10 Depth=3
	ds_store_b32 v41, v38 offset:2112
; %bb.31:                               ;   in Loop: Header=BB7_10 Depth=3
	s_wait_alu 0xfffe
	s_and_not1_saveexec_b32 s6, s6
; %bb.32:                               ;   in Loop: Header=BB7_10 Depth=3
	ds_store_b32 v41, v44 offset:2112
; %bb.33:                               ;   in Loop: Header=BB7_10 Depth=3
	s_wait_alu 0xfffe
	s_or_b32 exec_lo, exec_lo, s6
.LBB7_34:                               ;   in Loop: Header=BB7_10 Depth=3
	s_wait_alu 0xfffe
	s_or_b32 exec_lo, exec_lo, s5
	v_add_co_u32 v34, s5, v37, s40
	s_wait_alu 0xf1ff
	v_add_co_ci_u32_e64 v35, null, 0, s41, s5
	v_add_co_u32 v32, s6, v28, s28
	s_wait_alu 0xf1ff
	v_add_co_ci_u32_e64 v33, null, s29, v29, s6
	s_delay_alu instid0(VALU_DEP_3)
	v_cmp_gt_i64_e64 s5, s[36:37], v[34:35]
	v_mov_b32_e32 v53, 0
	s_and_b32 s7, vcc_lo, s5
	s_wait_alu 0xfffe
	s_and_saveexec_b32 s6, s7
	s_cbranch_execz .LBB7_36
; %bb.35:                               ;   in Loop: Header=BB7_10 Depth=3
	global_load_b32 v53, v[32:33], off offset:-64
.LBB7_36:                               ;   in Loop: Header=BB7_10 Depth=3
	s_wait_alu 0xfffe
	s_or_b32 exec_lo, exec_lo, s6
	v_cmp_gt_i64_e64 s6, s[38:39], v[34:35]
	s_wait_loadcnt 0x0
	ds_store_b32 v42, v53
	s_and_b32 s7, vcc_lo, s6
	s_wait_alu 0xfffe
	s_xor_b32 s7, s7, -1
	s_wait_alu 0xfffe
	s_and_saveexec_b32 s8, s7
	s_wait_alu 0xfffe
	s_xor_b32 s7, exec_lo, s8
; %bb.37:                               ;   in Loop: Header=BB7_10 Depth=3
	ds_store_b32 v42, v38 offset:64
                                        ; implicit-def: $vgpr32_vgpr33
; %bb.38:                               ;   in Loop: Header=BB7_10 Depth=3
	s_wait_alu 0xfffe
	s_and_not1_saveexec_b32 s7, s7
	s_cbranch_execz .LBB7_40
; %bb.39:                               ;   in Loop: Header=BB7_10 Depth=3
	global_load_b32 v32, v[32:33], off
	s_wait_loadcnt 0x0
	ds_store_b32 v42, v32 offset:64
.LBB7_40:                               ;   in Loop: Header=BB7_10 Depth=3
	s_wait_alu 0xfffe
	s_or_b32 exec_lo, exec_lo, s7
	v_add_co_u32 v32, s7, v30, s28
	s_wait_alu 0xf1ff
	v_add_co_ci_u32_e64 v33, null, s29, v31, s7
	v_mov_b32_e32 v34, 0
	s_and_b32 s7, s4, s5
	s_wait_alu 0xfffe
	s_and_saveexec_b32 s5, s7
	s_cbranch_execz .LBB7_42
; %bb.41:                               ;   in Loop: Header=BB7_10 Depth=3
	global_load_b32 v34, v[32:33], off offset:-64
.LBB7_42:                               ;   in Loop: Header=BB7_10 Depth=3
	s_wait_alu 0xfffe
	s_or_b32 exec_lo, exec_lo, s5
	s_and_b32 s5, s4, s6
	s_wait_loadcnt 0x0
	ds_store_b32 v42, v34 offset:2048
	s_wait_alu 0xfffe
	s_xor_b32 s5, s5, -1
	s_wait_alu 0xfffe
	s_and_saveexec_b32 s6, s5
	s_wait_alu 0xfffe
	s_xor_b32 s5, exec_lo, s6
; %bb.43:                               ;   in Loop: Header=BB7_10 Depth=3
	ds_store_b32 v42, v38 offset:2112
                                        ; implicit-def: $vgpr32_vgpr33
; %bb.44:                               ;   in Loop: Header=BB7_10 Depth=3
	s_wait_alu 0xfffe
	s_and_not1_saveexec_b32 s5, s5
	s_cbranch_execz .LBB7_9
; %bb.45:                               ;   in Loop: Header=BB7_10 Depth=3
	global_load_b32 v32, v[32:33], off
	s_wait_loadcnt 0x0
	ds_store_b32 v42, v32 offset:2112
	s_branch .LBB7_9
.LBB7_46:                               ;   in Loop: Header=BB7_7 Depth=2
	v_mul_lo_u32 v30, s25, v48
	v_mul_lo_u32 v31, s24, v51
	v_mad_co_u64_u32 v[28:29], null, s24, v48, 0
	v_cmp_gt_i32_e32 vcc_lo, s30, v48
	s_delay_alu instid0(VALU_DEP_2) | instskip(NEXT) | instid1(VALU_DEP_1)
	v_add3_u32 v29, v29, v31, v30
	v_lshlrev_b64_e32 v[28:29], 2, v[28:29]
	s_delay_alu instid0(VALU_DEP_1) | instskip(SKIP_1) | instid1(VALU_DEP_2)
	v_add_co_u32 v28, s4, s18, v28
	s_wait_alu 0xf1ff
	v_add_co_ci_u32_e64 v29, null, s19, v29, s4
	s_and_b32 s4, s2, vcc_lo
	s_wait_alu 0xfffe
	s_and_saveexec_b32 s5, s4
	s_cbranch_execz .LBB7_48
; %bb.47:                               ;   in Loop: Header=BB7_7 Depth=2
	v_add_co_u32 v30, s4, v28, v6
	s_wait_alu 0xf1ff
	v_add_co_ci_u32_e64 v31, null, v29, v7, s4
	global_load_b32 v32, v[30:31], off
	s_wait_loadcnt 0x0
	v_fmac_f32_e32 v32, s31, v52
	global_store_b32 v[30:31], v32, off
.LBB7_48:                               ;   in Loop: Header=BB7_7 Depth=2
	s_wait_alu 0xfffe
	s_or_b32 exec_lo, exec_lo, s5
	s_and_b32 s5, s3, vcc_lo
	s_wait_alu 0xfffe
	s_and_saveexec_b32 s4, s5
	s_cbranch_execz .LBB7_50
; %bb.49:                               ;   in Loop: Header=BB7_7 Depth=2
	v_add_co_u32 v28, vcc_lo, v28, v18
	s_wait_alu 0xfffd
	v_add_co_ci_u32_e64 v29, null, v29, v19, vcc_lo
	global_load_b32 v30, v[28:29], off
	s_wait_loadcnt 0x0
	v_fmac_f32_e32 v30, s31, v50
	global_store_b32 v[28:29], v30, off
.LBB7_50:                               ;   in Loop: Header=BB7_7 Depth=2
	s_wait_alu 0xfffe
	s_or_b32 exec_lo, exec_lo, s4
	v_add_nc_u32_e32 v30, 16, v48
	s_delay_alu instid0(VALU_DEP_1) | instskip(SKIP_3) | instid1(VALU_DEP_4)
	v_ashrrev_i32_e32 v31, 31, v30
	v_mul_lo_u32 v32, s25, v30
	v_mad_co_u64_u32 v[28:29], null, s24, v30, 0
	v_cmp_gt_i32_e32 vcc_lo, s30, v30
	v_mul_lo_u32 v31, s24, v31
	s_delay_alu instid0(VALU_DEP_1) | instskip(NEXT) | instid1(VALU_DEP_1)
	v_add3_u32 v29, v29, v31, v32
	v_lshlrev_b64_e32 v[28:29], 2, v[28:29]
	s_delay_alu instid0(VALU_DEP_1) | instskip(SKIP_1) | instid1(VALU_DEP_2)
	v_add_co_u32 v28, s4, s18, v28
	s_wait_alu 0xf1ff
	v_add_co_ci_u32_e64 v29, null, s19, v29, s4
	s_and_b32 s4, s2, vcc_lo
	s_wait_alu 0xfffe
	s_and_saveexec_b32 s5, s4
	s_cbranch_execz .LBB7_52
; %bb.51:                               ;   in Loop: Header=BB7_7 Depth=2
	v_add_co_u32 v30, s4, v28, v6
	s_wait_alu 0xf1ff
	v_add_co_ci_u32_e64 v31, null, v29, v7, s4
	global_load_b32 v32, v[30:31], off
	s_wait_loadcnt 0x0
	v_fmac_f32_e32 v32, s31, v49
	global_store_b32 v[30:31], v32, off
.LBB7_52:                               ;   in Loop: Header=BB7_7 Depth=2
	s_wait_alu 0xfffe
	s_or_b32 exec_lo, exec_lo, s5
	s_and_b32 s5, s3, vcc_lo
	s_wait_alu 0xfffe
	s_and_saveexec_b32 s4, s5
	s_cbranch_execz .LBB7_6
; %bb.53:                               ;   in Loop: Header=BB7_7 Depth=2
	v_add_co_u32 v28, vcc_lo, v28, v18
	s_wait_alu 0xfffd
	v_add_co_ci_u32_e64 v29, null, v29, v19, vcc_lo
	global_load_b32 v30, v[28:29], off
	s_wait_loadcnt 0x0
	v_fmac_f32_e32 v30, s31, v27
	global_store_b32 v[28:29], v30, off
	s_branch .LBB7_6
.LBB7_54:
	s_endpgm
	.section	.rodata,"a",@progbits
	.p2align	6, 0x0
	.amdhsa_kernel _ZL30rocblas_trmm_outofplace_kernelIfLi32ELi2ELb1ELb1ELb1ELb0EfKffEv17rocblas_diagonal_iiT6_lPT7_lllS4_lllPT8_llli
		.amdhsa_group_segment_fixed_size 8192
		.amdhsa_private_segment_fixed_size 0
		.amdhsa_kernarg_size 384
		.amdhsa_user_sgpr_count 2
		.amdhsa_user_sgpr_dispatch_ptr 0
		.amdhsa_user_sgpr_queue_ptr 0
		.amdhsa_user_sgpr_kernarg_segment_ptr 1
		.amdhsa_user_sgpr_dispatch_id 0
		.amdhsa_user_sgpr_private_segment_size 0
		.amdhsa_wavefront_size32 1
		.amdhsa_uses_dynamic_stack 0
		.amdhsa_enable_private_segment 0
		.amdhsa_system_sgpr_workgroup_id_x 1
		.amdhsa_system_sgpr_workgroup_id_y 1
		.amdhsa_system_sgpr_workgroup_id_z 1
		.amdhsa_system_sgpr_workgroup_info 0
		.amdhsa_system_vgpr_workitem_id 1
		.amdhsa_next_free_vgpr 93
		.amdhsa_next_free_sgpr 54
		.amdhsa_reserve_vcc 1
		.amdhsa_float_round_mode_32 0
		.amdhsa_float_round_mode_16_64 0
		.amdhsa_float_denorm_mode_32 3
		.amdhsa_float_denorm_mode_16_64 3
		.amdhsa_fp16_overflow 0
		.amdhsa_workgroup_processor_mode 1
		.amdhsa_memory_ordered 1
		.amdhsa_forward_progress 1
		.amdhsa_inst_pref_size 28
		.amdhsa_round_robin_scheduling 0
		.amdhsa_exception_fp_ieee_invalid_op 0
		.amdhsa_exception_fp_denorm_src 0
		.amdhsa_exception_fp_ieee_div_zero 0
		.amdhsa_exception_fp_ieee_overflow 0
		.amdhsa_exception_fp_ieee_underflow 0
		.amdhsa_exception_fp_ieee_inexact 0
		.amdhsa_exception_int_div_zero 0
	.end_amdhsa_kernel
	.section	.text._ZL30rocblas_trmm_outofplace_kernelIfLi32ELi2ELb1ELb1ELb1ELb0EfKffEv17rocblas_diagonal_iiT6_lPT7_lllS4_lllPT8_llli,"axG",@progbits,_ZL30rocblas_trmm_outofplace_kernelIfLi32ELi2ELb1ELb1ELb1ELb0EfKffEv17rocblas_diagonal_iiT6_lPT7_lllS4_lllPT8_llli,comdat
.Lfunc_end7:
	.size	_ZL30rocblas_trmm_outofplace_kernelIfLi32ELi2ELb1ELb1ELb1ELb0EfKffEv17rocblas_diagonal_iiT6_lPT7_lllS4_lllPT8_llli, .Lfunc_end7-_ZL30rocblas_trmm_outofplace_kernelIfLi32ELi2ELb1ELb1ELb1ELb0EfKffEv17rocblas_diagonal_iiT6_lPT7_lllS4_lllPT8_llli
                                        ; -- End function
	.set _ZL30rocblas_trmm_outofplace_kernelIfLi32ELi2ELb1ELb1ELb1ELb0EfKffEv17rocblas_diagonal_iiT6_lPT7_lllS4_lllPT8_llli.num_vgpr, 93
	.set _ZL30rocblas_trmm_outofplace_kernelIfLi32ELi2ELb1ELb1ELb1ELb0EfKffEv17rocblas_diagonal_iiT6_lPT7_lllS4_lllPT8_llli.num_agpr, 0
	.set _ZL30rocblas_trmm_outofplace_kernelIfLi32ELi2ELb1ELb1ELb1ELb0EfKffEv17rocblas_diagonal_iiT6_lPT7_lllS4_lllPT8_llli.numbered_sgpr, 54
	.set _ZL30rocblas_trmm_outofplace_kernelIfLi32ELi2ELb1ELb1ELb1ELb0EfKffEv17rocblas_diagonal_iiT6_lPT7_lllS4_lllPT8_llli.num_named_barrier, 0
	.set _ZL30rocblas_trmm_outofplace_kernelIfLi32ELi2ELb1ELb1ELb1ELb0EfKffEv17rocblas_diagonal_iiT6_lPT7_lllS4_lllPT8_llli.private_seg_size, 0
	.set _ZL30rocblas_trmm_outofplace_kernelIfLi32ELi2ELb1ELb1ELb1ELb0EfKffEv17rocblas_diagonal_iiT6_lPT7_lllS4_lllPT8_llli.uses_vcc, 1
	.set _ZL30rocblas_trmm_outofplace_kernelIfLi32ELi2ELb1ELb1ELb1ELb0EfKffEv17rocblas_diagonal_iiT6_lPT7_lllS4_lllPT8_llli.uses_flat_scratch, 0
	.set _ZL30rocblas_trmm_outofplace_kernelIfLi32ELi2ELb1ELb1ELb1ELb0EfKffEv17rocblas_diagonal_iiT6_lPT7_lllS4_lllPT8_llli.has_dyn_sized_stack, 0
	.set _ZL30rocblas_trmm_outofplace_kernelIfLi32ELi2ELb1ELb1ELb1ELb0EfKffEv17rocblas_diagonal_iiT6_lPT7_lllS4_lllPT8_llli.has_recursion, 0
	.set _ZL30rocblas_trmm_outofplace_kernelIfLi32ELi2ELb1ELb1ELb1ELb0EfKffEv17rocblas_diagonal_iiT6_lPT7_lllS4_lllPT8_llli.has_indirect_call, 0
	.section	.AMDGPU.csdata,"",@progbits
; Kernel info:
; codeLenInByte = 3560
; TotalNumSgprs: 56
; NumVgprs: 93
; ScratchSize: 0
; MemoryBound: 0
; FloatMode: 240
; IeeeMode: 1
; LDSByteSize: 8192 bytes/workgroup (compile time only)
; SGPRBlocks: 0
; VGPRBlocks: 11
; NumSGPRsForWavesPerEU: 56
; NumVGPRsForWavesPerEU: 93
; Occupancy: 16
; WaveLimiterHint : 0
; COMPUTE_PGM_RSRC2:SCRATCH_EN: 0
; COMPUTE_PGM_RSRC2:USER_SGPR: 2
; COMPUTE_PGM_RSRC2:TRAP_HANDLER: 0
; COMPUTE_PGM_RSRC2:TGID_X_EN: 1
; COMPUTE_PGM_RSRC2:TGID_Y_EN: 1
; COMPUTE_PGM_RSRC2:TGID_Z_EN: 1
; COMPUTE_PGM_RSRC2:TIDIG_COMP_CNT: 1
	.section	.text._ZL30rocblas_trmm_outofplace_kernelIfLi32ELi2ELb1ELb0ELb1ELb1EPKfS0_fEv17rocblas_diagonal_iiT6_lPT7_lllS5_lllPT8_llli,"axG",@progbits,_ZL30rocblas_trmm_outofplace_kernelIfLi32ELi2ELb1ELb0ELb1ELb1EPKfS0_fEv17rocblas_diagonal_iiT6_lPT7_lllS5_lllPT8_llli,comdat
	.globl	_ZL30rocblas_trmm_outofplace_kernelIfLi32ELi2ELb1ELb0ELb1ELb1EPKfS0_fEv17rocblas_diagonal_iiT6_lPT7_lllS5_lllPT8_llli ; -- Begin function _ZL30rocblas_trmm_outofplace_kernelIfLi32ELi2ELb1ELb0ELb1ELb1EPKfS0_fEv17rocblas_diagonal_iiT6_lPT7_lllS5_lllPT8_llli
	.p2align	8
	.type	_ZL30rocblas_trmm_outofplace_kernelIfLi32ELi2ELb1ELb0ELb1ELb1EPKfS0_fEv17rocblas_diagonal_iiT6_lPT7_lllS5_lllPT8_llli,@function
_ZL30rocblas_trmm_outofplace_kernelIfLi32ELi2ELb1ELb0ELb1ELb1EPKfS0_fEv17rocblas_diagonal_iiT6_lPT7_lllS5_lllPT8_llli: ; @_ZL30rocblas_trmm_outofplace_kernelIfLi32ELi2ELb1ELb0ELb1ELb1EPKfS0_fEv17rocblas_diagonal_iiT6_lPT7_lllS5_lllPT8_llli
; %bb.0:
	s_load_b32 s11, s[0:1], 0x80
	s_lshr_b32 s34, ttmp7, 16
	s_wait_kmcnt 0x0
	s_cmp_ge_u32 s34, s11
	s_cbranch_scc1 .LBB8_56
; %bb.1:
	s_clause 0x3
	s_load_b96 s[8:10], s[0:1], 0x0
	s_load_b256 s[36:43], s[0:1], 0x50
	s_load_b512 s[12:27], s[0:1], 0x10
	s_load_b128 s[28:31], s[0:1], 0x70
	s_add_nc_u64 s[44:45], s[0:1], 0x88
	v_bfe_u32 v38, v0, 10, 10
	v_dual_mov_b32 v44, 0 :: v_dual_and_b32 v1, 0x3ff, v0
	s_and_b32 s33, ttmp7, 0xffff
	s_delay_alu instid0(VALU_DEP_2) | instskip(NEXT) | instid1(VALU_DEP_2)
	v_dual_mov_b32 v45, 1.0 :: v_dual_lshlrev_b32 v0, 7, v38
	v_lshlrev_b32_e32 v39, 2, v1
	v_lshl_add_u32 v43, s33, 5, v38
	s_mov_b32 s35, 0
	s_delay_alu instid0(VALU_DEP_3) | instskip(NEXT) | instid1(VALU_DEP_3)
	v_add_nc_u32_e32 v40, 0x1000, v0
	v_add_nc_u32_e32 v41, v39, v0
	;; [unrolled: 1-line block ×5, first 2 shown]
	s_wait_kmcnt 0x0
	s_add_co_i32 s2, s10, -1
	v_add_nc_u32_e32 v42, v40, v39
	s_ashr_i32 s3, s2, 31
	s_mov_b32 s50, s10
	s_lshr_b32 s0, s3, 27
	s_delay_alu instid0(SALU_CYCLE_1)
	s_add_co_i32 s2, s2, s0
	s_lshl_b64 s[0:1], s[42:43], 2
	s_ashr_i32 s48, s2, 5
	s_mov_b32 s42, s9
	s_cmp_le_i32 s33, s48
	s_add_nc_u64 s[40:41], s[40:41], s[0:1]
	s_cselect_b32 s49, -1, 0
	s_lshl_b32 s2, ttmp9, 5
	s_delay_alu instid0(SALU_CYCLE_1) | instskip(SKIP_2) | instid1(SALU_CYCLE_1)
	v_add_nc_u32_e32 v2, s2, v1
	v_add_nc_u32_e32 v0, s2, v38
	s_sub_co_i32 s51, s9, s2
	s_cmp_gt_i32 s51, 0
	s_delay_alu instid0(VALU_DEP_2) | instskip(NEXT) | instid1(VALU_DEP_2)
	v_ashrrev_i32_e32 v3, 31, v2
	v_ashrrev_i32_e32 v1, 31, v0
	v_add_co_u32 v6, vcc_lo, v2, 16
	v_mul_lo_u32 v21, s21, v2
	s_delay_alu instid0(VALU_DEP_4) | instskip(SKIP_4) | instid1(VALU_DEP_3)
	v_add_co_ci_u32_e64 v7, null, 0, v3, vcc_lo
	v_sub_co_u32 v8, vcc_lo, v2, v0
	v_lshlrev_b64_e32 v[10:11], 2, v[2:3]
	s_wait_alu 0xfffd
	v_sub_co_ci_u32_e64 v9, null, v3, v1, vcc_lo
	v_add_co_u32 v12, vcc_lo, v8, 16
	v_mul_lo_u32 v20, s20, v3
	v_mad_co_u64_u32 v[16:17], null, s20, v2, 0
	s_wait_alu 0xfffd
	v_add_co_ci_u32_e64 v13, null, 0, v9, vcc_lo
	v_add_co_u32 v18, vcc_lo, v10, 64
	s_wait_alu 0xfffd
	v_add_co_ci_u32_e64 v19, null, 0, v11, vcc_lo
	s_cselect_b32 s52, -1, 0
	s_cmp_eq_u32 s8, 0x84
	v_mul_lo_u32 v23, s21, v18
	s_cselect_b32 s53, -1, 0
	s_lshl_b64 s[6:7], s[18:19], 2
	s_lshl_b64 s[4:5], s[26:27], 2
	v_mul_lo_u32 v22, s20, v19
	v_mad_co_u64_u32 v[18:19], null, s20, v18, s[6:7]
	v_add3_u32 v17, v17, v20, v21
	v_add_co_u32 v14, vcc_lo, v8, -16
	s_add_nc_u64 s[4:5], s[24:25], s[4:5]
	s_wait_alu 0xfffd
	v_add_co_ci_u32_e64 v15, null, -1, v9, vcc_lo
	v_add_co_u32 v24, vcc_lo, s4, v10
	v_lshlrev_b64_e32 v[20:21], 2, v[16:17]
	s_wait_alu 0xfffd
	v_add_co_ci_u32_e64 v25, null, s5, v11, vcc_lo
	v_add3_u32 v19, v23, v19, v22
	v_lshlrev_b64_e32 v[22:23], 2, v[0:1]
	v_add_co_u32 v16, vcc_lo, v24, 64
	s_wait_alu 0xfffd
	v_add_co_ci_u32_e64 v17, null, 0, v25, vcc_lo
	v_add_co_u32 v20, vcc_lo, v20, s6
	s_wait_alu 0xfffd
	v_add_co_ci_u32_e64 v21, null, s7, v21, vcc_lo
	;; [unrolled: 3-line block ×3, first 2 shown]
	v_add_co_u32 v20, vcc_lo, v20, v22
	v_add_nc_u32_e32 v4, 16, v2
	s_wait_alu 0xfffd
	v_add_co_ci_u32_e64 v21, null, v21, v23, vcc_lo
	v_add_co_u32 v18, vcc_lo, s16, v18
	s_ashr_i32 s43, s9, 31
	s_wait_alu 0xfffd
	v_add_co_ci_u32_e64 v19, null, s17, v19, vcc_lo
	v_add_co_u32 v20, vcc_lo, s16, v20
	v_cmp_le_i64_e64 s3, s[42:43], v[6:7]
	v_cmp_le_i32_e64 s0, s9, v2
	v_cmp_gt_i32_e64 s1, s9, v2
	v_cmp_gt_i32_e64 s2, s9, v4
	v_ashrrev_i32_e32 v5, 31, v4
	s_wait_alu 0xfffd
	v_add_co_ci_u32_e64 v21, null, s17, v21, vcc_lo
	s_ashr_i32 s54, s10, 31
	s_add_nc_u64 s[46:47], s[42:43], -16
	s_lshl_b64 s[16:17], s[38:39], 2
	s_lshl_b64 s[18:19], s[36:37], 2
	;; [unrolled: 1-line block ×3, first 2 shown]
	s_branch .LBB8_4
.LBB8_2:                                ;   in Loop: Header=BB8_4 Depth=1
	s_add_co_i32 s34, s34, 0x10000
	s_wait_alu 0xfffe
	s_cmp_ge_u32 s34, s11
	s_cselect_b32 s4, -1, 0
.LBB8_3:                                ;   in Loop: Header=BB8_4 Depth=1
	s_wait_alu 0xfffe
	s_and_b32 vcc_lo, exec_lo, s4
	s_wait_alu 0xfffe
	s_cbranch_vccnz .LBB8_56
.LBB8_4:                                ; =>This Loop Header: Depth=1
                                        ;     Child Loop BB8_8 Depth 2
                                        ;       Child Loop BB8_11 Depth 3
	s_mul_u64 s[4:5], s[14:15], s[34:35]
	s_wait_alu 0xfffe
	s_lshl_b64 s[4:5], s[4:5], 2
	s_wait_alu 0xfffe
	s_add_nc_u64 s[4:5], s[12:13], s[4:5]
	global_load_b32 v49, v44, s[4:5]
	s_mov_b32 s4, -1
	s_wait_loadcnt 0x0
	v_cmp_eq_f32_e32 vcc_lo, 0, v49
	s_cbranch_vccnz .LBB8_3
; %bb.5:                                ;   in Loop: Header=BB8_4 Depth=1
	s_and_not1_b32 vcc_lo, exec_lo, s49
	s_wait_alu 0xfffe
	s_cbranch_vccnz .LBB8_2
; %bb.6:                                ;   in Loop: Header=BB8_4 Depth=1
	s_load_b32 s9, s[44:45], 0x4
	v_mad_co_u64_u32 v[22:23], null, s16, s34, v[16:17]
	v_mad_co_u64_u32 v[24:25], null, s20, s34, v[18:19]
	;; [unrolled: 1-line block ×3, first 2 shown]
	s_mul_i32 s6, s21, s34
	s_mul_u64 s[4:5], s[30:31], s[34:35]
	s_mov_b32 s39, s33
	s_wait_alu 0xfffe
	s_lshl_b64 s[4:5], s[4:5], 2
	v_mad_co_u64_u32 v[28:29], null, s17, s34, v[23:24]
	v_add_nc_u32_e32 v25, s6, v25
	v_add_nc_u32_e32 v27, s6, v27
	s_wait_alu 0xfffe
	s_add_nc_u64 s[22:23], s[40:41], s[4:5]
	s_delay_alu instid0(VALU_DEP_3)
	v_dual_mov_b32 v23, v28 :: v_dual_mov_b32 v28, v43
	s_wait_kmcnt 0x0
	s_lshl_b32 s38, s9, 5
	s_branch .LBB8_8
.LBB8_7:                                ;   in Loop: Header=BB8_8 Depth=2
	s_wait_alu 0xfffe
	s_or_b32 exec_lo, exec_lo, s4
	v_add_nc_u32_e32 v28, s38, v28
	s_add_co_i32 s39, s9, s39
	s_wait_alu 0xfffe
	s_cmp_gt_i32 s39, s48
	s_cbranch_scc1 .LBB8_2
.LBB8_8:                                ;   Parent Loop BB8_4 Depth=1
                                        ; =>  This Loop Header: Depth=2
                                        ;       Child Loop BB8_11 Depth 3
	v_lshl_add_u32 v50, s39, 5, v38
	s_and_not1_b32 vcc_lo, exec_lo, s52
	s_delay_alu instid0(VALU_DEP_1)
	v_ashrrev_i32_e32 v52, 31, v50
	s_wait_alu 0xfffe
	s_cbranch_vccnz .LBB8_47
; %bb.9:                                ;   in Loop: Header=BB8_8 Depth=2
	v_ashrrev_i32_e32 v29, 31, v28
	v_mad_co_u64_u32 v[30:31], null, s18, v28, v[22:23]
	v_mul_lo_u32 v36, s19, v28
	v_mov_b32_e32 v51, 0
	s_delay_alu instid0(VALU_DEP_4)
	v_lshlrev_b64_e32 v[32:33], 2, v[28:29]
	v_mul_lo_u32 v37, s18, v29
	v_mov_b32_e32 v29, 0
	v_mov_b32_e32 v53, 0
	s_mov_b64 s[24:25], 0
	s_mov_b64 s[26:27], 0
	v_add_co_u32 v32, vcc_lo, v32, 64
	s_wait_alu 0xfffd
	v_add_co_ci_u32_e64 v33, null, 0, v33, vcc_lo
	v_sub_co_u32 v34, vcc_lo, s50, v50
	s_delay_alu instid0(VALU_DEP_3) | instskip(NEXT) | instid1(VALU_DEP_3)
	v_mul_lo_u32 v55, s37, v32
	v_mul_lo_u32 v54, s36, v33
	v_mad_co_u64_u32 v[32:33], null, s36, v32, v[22:23]
	s_wait_alu 0xfffd
	v_sub_co_ci_u32_e64 v35, null, s54, v52, vcc_lo
	v_add3_u32 v31, v36, v31, v37
	s_delay_alu instid0(VALU_DEP_2) | instskip(NEXT) | instid1(VALU_DEP_4)
	v_cmp_lt_i64_e64 s4, 16, v[34:35]
	v_add3_u32 v33, v55, v33, v54
	v_mov_b32_e32 v54, 0
	v_cmp_lt_i64_e32 vcc_lo, 0, v[34:35]
	s_branch .LBB8_11
.LBB8_10:                               ;   in Loop: Header=BB8_11 Depth=3
	s_wait_alu 0xfffe
	s_or_b32 exec_lo, exec_lo, s5
	s_wait_dscnt 0x0
	s_barrier_signal -1
	s_barrier_wait -1
	global_inv scope:SCOPE_SE
	ds_load_b128 v[34:37], v40
	ds_load_b128 v[55:58], v40 offset:16
	ds_load_b128 v[59:62], v40 offset:32
	ds_load_b128 v[63:66], v40 offset:48
	ds_load_2addr_b32 v[71:72], v39 offset1:16
	ds_load_b128 v[67:70], v40 offset:2048
	s_add_nc_u64 s[26:27], s[26:27], 32
	s_add_nc_u64 s[24:25], s[24:25], 0x80
	s_wait_alu 0xfffe
	s_cmp_ge_i32 s26, s51
	s_wait_dscnt 0x0
	v_dual_fmac_f32 v54, v71, v34 :: v_dual_fmac_f32 v29, v72, v67
	v_fmac_f32_e32 v53, v72, v34
	v_fmac_f32_e32 v51, v71, v67
	ds_load_2addr_b32 v[71:72], v39 offset0:32 offset1:48
	s_wait_dscnt 0x0
	v_fmac_f32_e32 v54, v71, v35
	v_fmac_f32_e32 v53, v72, v35
	ds_load_2addr_b32 v[34:35], v39 offset0:64 offset1:80
	v_fmac_f32_e32 v29, v72, v68
	s_wait_dscnt 0x0
	v_fmac_f32_e32 v54, v34, v36
	v_fmac_f32_e32 v51, v71, v68
	;; [unrolled: 1-line block ×4, first 2 shown]
	ds_load_2addr_b32 v[67:68], v39 offset0:128 offset1:144
	v_fmac_f32_e32 v51, v34, v69
	ds_load_2addr_b32 v[34:35], v39 offset0:96 offset1:112
	s_wait_dscnt 0x0
	v_fmac_f32_e32 v54, v34, v37
	v_fmac_f32_e32 v53, v35, v37
	;; [unrolled: 1-line block ×4, first 2 shown]
	ds_load_b128 v[34:37], v40 offset:2064
	v_fmac_f32_e32 v54, v67, v55
	v_fmac_f32_e32 v53, v68, v55
	s_wait_dscnt 0x0
	v_fmac_f32_e32 v51, v67, v34
	v_fmac_f32_e32 v29, v68, v34
	ds_load_2addr_b32 v[67:68], v39 offset0:160 offset1:176
	s_wait_dscnt 0x0
	v_fmac_f32_e32 v51, v67, v35
	v_fmac_f32_e32 v29, v68, v35
	ds_load_2addr_b32 v[34:35], v39 offset0:192 offset1:208
	v_fmac_f32_e32 v54, v67, v56
	v_fmac_f32_e32 v53, v68, v56
	ds_load_2addr_b32 v[55:56], v46 offset1:16
	s_wait_dscnt 0x1
	v_fmac_f32_e32 v54, v34, v57
	v_fmac_f32_e32 v53, v35, v57
	;; [unrolled: 1-line block ×4, first 2 shown]
	ds_load_2addr_b32 v[34:35], v39 offset0:224 offset1:240
	s_wait_dscnt 0x0
	v_fmac_f32_e32 v54, v34, v58
	v_fmac_f32_e32 v53, v35, v58
	;; [unrolled: 1-line block ×4, first 2 shown]
	ds_load_b128 v[34:37], v40 offset:2080
	v_fmac_f32_e32 v54, v55, v59
	v_fmac_f32_e32 v53, v56, v59
	s_wait_dscnt 0x0
	v_fmac_f32_e32 v51, v55, v34
	v_fmac_f32_e32 v29, v56, v34
	ds_load_2addr_b32 v[55:56], v46 offset0:32 offset1:48
	s_wait_dscnt 0x0
	v_fmac_f32_e32 v51, v55, v35
	v_fmac_f32_e32 v29, v56, v35
	ds_load_2addr_b32 v[34:35], v46 offset0:64 offset1:80
	v_fmac_f32_e32 v54, v55, v60
	v_fmac_f32_e32 v53, v56, v60
	ds_load_2addr_b32 v[55:56], v46 offset0:128 offset1:144
	s_wait_dscnt 0x1
	v_fmac_f32_e32 v54, v34, v61
	v_fmac_f32_e32 v53, v35, v61
	;; [unrolled: 1-line block ×4, first 2 shown]
	ds_load_2addr_b32 v[34:35], v46 offset0:96 offset1:112
	s_wait_dscnt 0x0
	v_fmac_f32_e32 v54, v34, v62
	v_fmac_f32_e32 v53, v35, v62
	v_fmac_f32_e32 v51, v34, v37
	v_fmac_f32_e32 v29, v35, v37
	ds_load_b128 v[34:37], v40 offset:2096
	v_fmac_f32_e32 v54, v55, v63
	v_fmac_f32_e32 v53, v56, v63
	s_wait_dscnt 0x0
	v_fmac_f32_e32 v51, v55, v34
	v_fmac_f32_e32 v29, v56, v34
	ds_load_2addr_b32 v[55:56], v46 offset0:160 offset1:176
	s_wait_dscnt 0x0
	v_fmac_f32_e32 v51, v55, v35
	v_fmac_f32_e32 v29, v56, v35
	ds_load_2addr_b32 v[34:35], v46 offset0:192 offset1:208
	v_fmac_f32_e32 v54, v55, v64
	s_wait_dscnt 0x0
	s_delay_alu instid0(VALU_DEP_1) | instskip(NEXT) | instid1(VALU_DEP_1)
	v_dual_fmac_f32 v53, v56, v64 :: v_dual_fmac_f32 v54, v34, v65
	v_fmac_f32_e32 v53, v35, v65
	v_fmac_f32_e32 v51, v34, v36
	;; [unrolled: 1-line block ×3, first 2 shown]
	ds_load_2addr_b32 v[34:35], v46 offset0:224 offset1:240
	s_wait_dscnt 0x0
	v_fmac_f32_e32 v54, v34, v66
	v_fmac_f32_e32 v53, v35, v66
	;; [unrolled: 1-line block ×4, first 2 shown]
	ds_load_b128 v[34:37], v40 offset:64
	ds_load_2addr_b32 v[59:60], v47 offset1:16
	ds_load_b128 v[55:58], v40 offset:2112
	s_wait_dscnt 0x1
	v_fmac_f32_e32 v54, v59, v34
	v_fmac_f32_e32 v53, v60, v34
	s_wait_dscnt 0x0
	v_fmac_f32_e32 v51, v59, v55
	v_fmac_f32_e32 v29, v60, v55
	ds_load_2addr_b32 v[59:60], v47 offset0:32 offset1:48
	s_wait_dscnt 0x0
	v_fmac_f32_e32 v54, v59, v35
	v_fmac_f32_e32 v53, v60, v35
	ds_load_2addr_b32 v[34:35], v47 offset0:64 offset1:80
	v_fmac_f32_e32 v51, v59, v56
	v_fmac_f32_e32 v29, v60, v56
	s_wait_dscnt 0x0
	v_fmac_f32_e32 v54, v34, v36
	v_fmac_f32_e32 v53, v35, v36
	;; [unrolled: 1-line block ×4, first 2 shown]
	ds_load_2addr_b32 v[34:35], v47 offset0:96 offset1:112
	s_wait_dscnt 0x0
	v_fmac_f32_e32 v54, v34, v37
	v_fmac_f32_e32 v53, v35, v37
	;; [unrolled: 1-line block ×4, first 2 shown]
	ds_load_b128 v[34:37], v40 offset:80
	ds_load_2addr_b32 v[59:60], v47 offset0:128 offset1:144
	ds_load_b128 v[55:58], v40 offset:2128
	s_wait_dscnt 0x1
	v_fmac_f32_e32 v54, v59, v34
	v_fmac_f32_e32 v53, v60, v34
	s_wait_dscnt 0x0
	v_fmac_f32_e32 v51, v59, v55
	v_fmac_f32_e32 v29, v60, v55
	ds_load_2addr_b32 v[59:60], v47 offset0:160 offset1:176
	s_wait_dscnt 0x0
	v_fmac_f32_e32 v54, v59, v35
	v_fmac_f32_e32 v53, v60, v35
	ds_load_2addr_b32 v[34:35], v47 offset0:192 offset1:208
	v_fmac_f32_e32 v51, v59, v56
	v_fmac_f32_e32 v29, v60, v56
	s_wait_dscnt 0x0
	v_fmac_f32_e32 v54, v34, v36
	v_fmac_f32_e32 v53, v35, v36
	;; [unrolled: 1-line block ×4, first 2 shown]
	ds_load_2addr_b32 v[34:35], v47 offset0:224 offset1:240
	s_wait_dscnt 0x0
	v_fmac_f32_e32 v54, v34, v37
	v_fmac_f32_e32 v53, v35, v37
	;; [unrolled: 1-line block ×4, first 2 shown]
	ds_load_b128 v[34:37], v40 offset:96
	ds_load_2addr_b32 v[59:60], v48 offset1:16
	ds_load_b128 v[55:58], v40 offset:2144
	s_wait_dscnt 0x1
	v_fmac_f32_e32 v54, v59, v34
	v_fmac_f32_e32 v53, v60, v34
	s_wait_dscnt 0x0
	v_fmac_f32_e32 v51, v59, v55
	v_fmac_f32_e32 v29, v60, v55
	ds_load_2addr_b32 v[59:60], v48 offset0:32 offset1:48
	s_wait_dscnt 0x0
	v_fmac_f32_e32 v54, v59, v35
	v_fmac_f32_e32 v53, v60, v35
	ds_load_2addr_b32 v[34:35], v48 offset0:64 offset1:80
	v_fmac_f32_e32 v51, v59, v56
	v_fmac_f32_e32 v29, v60, v56
	s_wait_dscnt 0x0
	v_fmac_f32_e32 v54, v34, v36
	v_fmac_f32_e32 v53, v35, v36
	;; [unrolled: 1-line block ×4, first 2 shown]
	ds_load_2addr_b32 v[34:35], v48 offset0:96 offset1:112
	s_wait_dscnt 0x0
	v_fmac_f32_e32 v54, v34, v37
	v_fmac_f32_e32 v53, v35, v37
	;; [unrolled: 1-line block ×4, first 2 shown]
	ds_load_b128 v[34:37], v40 offset:112
	ds_load_2addr_b32 v[59:60], v48 offset0:128 offset1:144
	ds_load_b128 v[55:58], v40 offset:2160
	s_wait_dscnt 0x1
	v_fmac_f32_e32 v54, v59, v34
	v_fmac_f32_e32 v53, v60, v34
	s_wait_dscnt 0x0
	v_fmac_f32_e32 v51, v59, v55
	v_fmac_f32_e32 v29, v60, v55
	ds_load_2addr_b32 v[59:60], v48 offset0:160 offset1:176
	s_wait_dscnt 0x0
	v_fmac_f32_e32 v54, v59, v35
	v_fmac_f32_e32 v53, v60, v35
	ds_load_2addr_b32 v[34:35], v48 offset0:192 offset1:208
	v_fmac_f32_e32 v51, v59, v56
	v_fmac_f32_e32 v29, v60, v56
	s_wait_dscnt 0x0
	v_fmac_f32_e32 v54, v34, v36
	v_fmac_f32_e32 v53, v35, v36
	v_fmac_f32_e32 v51, v34, v57
	v_fmac_f32_e32 v29, v35, v57
	ds_load_2addr_b32 v[34:35], v48 offset0:224 offset1:240
	s_wait_loadcnt_dscnt 0x0
	s_barrier_signal -1
	s_barrier_wait -1
	global_inv scope:SCOPE_SE
	v_fmac_f32_e32 v54, v34, v37
	v_fmac_f32_e32 v53, v35, v37
	;; [unrolled: 1-line block ×4, first 2 shown]
	s_cbranch_scc1 .LBB8_48
.LBB8_11:                               ;   Parent Loop BB8_4 Depth=1
                                        ;     Parent Loop BB8_8 Depth=2
                                        ; =>    This Inner Loop Header: Depth=3
	s_wait_alu 0xfffe
	v_add_co_u32 v36, s5, v0, s26
	s_wait_alu 0xf1ff
	v_add_co_ci_u32_e64 v37, null, s27, v1, s5
	v_cmp_eq_u64_e64 s7, s[26:27], v[8:9]
                                        ; implicit-def: $vgpr55
	s_delay_alu instid0(VALU_DEP_2)
	v_cmp_le_i64_e64 s6, s[42:43], v[36:37]
	v_cmp_lt_i64_e64 s5, v[36:37], v[2:3]
	s_and_b32 s55, s53, s7
	v_add_co_u32 v34, s7, v26, s24
	s_wait_alu 0xf1ff
	v_add_co_ci_u32_e64 v35, null, s25, v27, s7
	s_or_b32 s8, s6, s5
	s_wait_alu 0xfffe
	s_or_b32 s7, s8, s55
	s_wait_alu 0xfffe
	s_nor_b32 s7, s0, s7
	s_wait_alu 0xfffe
	s_and_saveexec_b32 s8, s7
	s_wait_alu 0xfffe
	s_xor_b32 s7, exec_lo, s8
	s_cbranch_execz .LBB8_13
; %bb.12:                               ;   in Loop: Header=BB8_11 Depth=3
	global_load_b32 v55, v[34:35], off
.LBB8_13:                               ;   in Loop: Header=BB8_11 Depth=3
	s_wait_alu 0xfffe
	s_and_not1_saveexec_b32 s7, s7
	s_cbranch_execz .LBB8_15
; %bb.14:                               ;   in Loop: Header=BB8_11 Depth=3
	s_wait_loadcnt 0x0
	v_cndmask_b32_e64 v55, 0, 1.0, s55
.LBB8_15:                               ;   in Loop: Header=BB8_11 Depth=3
	s_wait_alu 0xfffe
	s_or_b32 exec_lo, exec_lo, s7
	v_cmp_eq_u64_e64 s7, s[26:27], v[12:13]
	v_cmp_gt_i64_e64 s8, v[6:7], v[36:37]
	s_wait_loadcnt 0x0
	ds_store_b32 v41, v55
	s_and_b32 s7, s53, s7
	s_or_b32 s6, s6, s8
	s_wait_alu 0xfffe
	s_or_b32 s6, s6, s7
	s_wait_alu 0xfffe
	s_nor_b32 s6, s3, s6
	s_wait_alu 0xfffe
	s_and_saveexec_b32 s8, s6
	s_wait_alu 0xfffe
	s_xor_b32 s8, exec_lo, s8
	s_cbranch_execz .LBB8_17
; %bb.16:                               ;   in Loop: Header=BB8_11 Depth=3
	v_add_co_u32 v55, s6, v24, s24
	s_wait_alu 0xf1ff
	v_add_co_ci_u32_e64 v56, null, s25, v25, s6
	global_load_b32 v55, v[55:56], off
	s_wait_loadcnt 0x0
	ds_store_b32 v41, v55 offset:64
.LBB8_17:                               ;   in Loop: Header=BB8_11 Depth=3
	s_wait_alu 0xfffe
	s_and_not1_saveexec_b32 s6, s8
	s_cbranch_execz .LBB8_23
; %bb.18:                               ;   in Loop: Header=BB8_11 Depth=3
	s_xor_b32 s7, s7, -1
	s_wait_alu 0xfffe
	s_and_saveexec_b32 s8, s7
	s_wait_alu 0xfffe
	s_xor_b32 s7, exec_lo, s8
; %bb.19:                               ;   in Loop: Header=BB8_11 Depth=3
	ds_store_b32 v41, v44 offset:64
; %bb.20:                               ;   in Loop: Header=BB8_11 Depth=3
	s_wait_alu 0xfffe
	s_and_not1_saveexec_b32 s7, s7
; %bb.21:                               ;   in Loop: Header=BB8_11 Depth=3
	ds_store_b32 v41, v45 offset:64
; %bb.22:                               ;   in Loop: Header=BB8_11 Depth=3
	s_wait_alu 0xfffe
	s_or_b32 exec_lo, exec_lo, s7
.LBB8_23:                               ;   in Loop: Header=BB8_11 Depth=3
	s_wait_alu 0xfffe
	s_or_b32 exec_lo, exec_lo, s6
	v_add_co_u32 v36, s6, v36, 16
	s_wait_alu 0xf1ff
	v_add_co_ci_u32_e64 v37, null, 0, v37, s6
	v_cmp_eq_u64_e64 s7, s[26:27], v[14:15]
	s_delay_alu instid0(VALU_DEP_2)
	v_cmp_le_i64_e64 s6, s[42:43], v[36:37]
	v_cmp_lt_i64_e64 s8, v[36:37], v[2:3]
                                        ; implicit-def: $vgpr36
	s_and_b32 s7, s53, s7
	s_or_b32 s8, s6, s8
	s_wait_alu 0xfffe
	s_or_b32 s8, s8, s7
	s_wait_alu 0xfffe
	s_nor_b32 s8, s0, s8
	s_wait_alu 0xfffe
	s_and_saveexec_b32 s56, s8
	s_delay_alu instid0(SALU_CYCLE_1)
	s_xor_b32 s8, exec_lo, s56
	s_cbranch_execz .LBB8_25
; %bb.24:                               ;   in Loop: Header=BB8_11 Depth=3
	global_load_b32 v36, v[34:35], off offset:64
.LBB8_25:                               ;   in Loop: Header=BB8_11 Depth=3
	s_wait_alu 0xfffe
	s_and_not1_saveexec_b32 s8, s8
	s_cbranch_execz .LBB8_27
; %bb.26:                               ;   in Loop: Header=BB8_11 Depth=3
	s_wait_loadcnt 0x0
	v_cndmask_b32_e64 v36, 0, 1.0, s7
.LBB8_27:                               ;   in Loop: Header=BB8_11 Depth=3
	s_wait_alu 0xfffe
	s_or_b32 exec_lo, exec_lo, s8
	s_or_b32 s5, s6, s5
	s_wait_loadcnt 0x0
	ds_store_b32 v41, v36 offset:2048
	s_wait_alu 0xfffe
	s_or_b32 s5, s5, s55
	s_wait_alu 0xfffe
	s_nor_b32 s5, s3, s5
	s_wait_alu 0xfffe
	s_and_saveexec_b32 s6, s5
	s_wait_alu 0xfffe
	s_xor_b32 s6, exec_lo, s6
	s_cbranch_execz .LBB8_29
; %bb.28:                               ;   in Loop: Header=BB8_11 Depth=3
	v_add_co_u32 v34, s5, v24, s24
	s_wait_alu 0xf1ff
	v_add_co_ci_u32_e64 v35, null, s25, v25, s5
	global_load_b32 v34, v[34:35], off offset:64
	s_wait_loadcnt 0x0
	ds_store_b32 v41, v34 offset:2112
.LBB8_29:                               ;   in Loop: Header=BB8_11 Depth=3
	s_wait_alu 0xfffe
	s_and_not1_saveexec_b32 s5, s6
	s_cbranch_execz .LBB8_35
; %bb.30:                               ;   in Loop: Header=BB8_11 Depth=3
	s_xor_b32 s6, s55, -1
	s_wait_alu 0xfffe
	s_and_saveexec_b32 s7, s6
	s_wait_alu 0xfffe
	s_xor_b32 s6, exec_lo, s7
; %bb.31:                               ;   in Loop: Header=BB8_11 Depth=3
	ds_store_b32 v41, v44 offset:2112
; %bb.32:                               ;   in Loop: Header=BB8_11 Depth=3
	s_wait_alu 0xfffe
	s_and_not1_saveexec_b32 s6, s6
; %bb.33:                               ;   in Loop: Header=BB8_11 Depth=3
	ds_store_b32 v41, v45 offset:2112
; %bb.34:                               ;   in Loop: Header=BB8_11 Depth=3
	s_wait_alu 0xfffe
	s_or_b32 exec_lo, exec_lo, s6
.LBB8_35:                               ;   in Loop: Header=BB8_11 Depth=3
	s_wait_alu 0xfffe
	s_or_b32 exec_lo, exec_lo, s5
	v_add_co_u32 v36, s5, v2, s26
	s_wait_alu 0xf1ff
	v_add_co_ci_u32_e64 v37, null, s27, v3, s5
	v_add_co_u32 v34, s6, v30, s24
	s_wait_alu 0xf1ff
	v_add_co_ci_u32_e64 v35, null, s25, v31, s6
	s_delay_alu instid0(VALU_DEP_3)
	v_cmp_gt_i64_e64 s5, s[42:43], v[36:37]
	v_mov_b32_e32 v55, 0
	s_and_b32 s7, vcc_lo, s5
	s_wait_alu 0xfffe
	s_and_saveexec_b32 s6, s7
	s_cbranch_execz .LBB8_37
; %bb.36:                               ;   in Loop: Header=BB8_11 Depth=3
	global_load_b32 v55, v[34:35], off offset:-64
.LBB8_37:                               ;   in Loop: Header=BB8_11 Depth=3
	s_wait_alu 0xfffe
	s_or_b32 exec_lo, exec_lo, s6
	v_cmp_gt_i64_e64 s6, s[46:47], v[36:37]
	s_wait_loadcnt 0x0
	ds_store_b32 v42, v55
	s_and_b32 s7, vcc_lo, s6
	s_wait_alu 0xfffe
	s_xor_b32 s7, s7, -1
	s_wait_alu 0xfffe
	s_and_saveexec_b32 s8, s7
	s_wait_alu 0xfffe
	s_xor_b32 s7, exec_lo, s8
; %bb.38:                               ;   in Loop: Header=BB8_11 Depth=3
	ds_store_b32 v42, v44 offset:64
                                        ; implicit-def: $vgpr34_vgpr35
; %bb.39:                               ;   in Loop: Header=BB8_11 Depth=3
	s_wait_alu 0xfffe
	s_and_not1_saveexec_b32 s7, s7
	s_cbranch_execz .LBB8_41
; %bb.40:                               ;   in Loop: Header=BB8_11 Depth=3
	global_load_b32 v34, v[34:35], off
	s_wait_loadcnt 0x0
	ds_store_b32 v42, v34 offset:64
.LBB8_41:                               ;   in Loop: Header=BB8_11 Depth=3
	s_wait_alu 0xfffe
	s_or_b32 exec_lo, exec_lo, s7
	v_add_co_u32 v34, s7, v32, s24
	s_wait_alu 0xf1ff
	v_add_co_ci_u32_e64 v35, null, s25, v33, s7
	v_mov_b32_e32 v36, 0
	s_and_b32 s7, s4, s5
	s_wait_alu 0xfffe
	s_and_saveexec_b32 s5, s7
	s_cbranch_execz .LBB8_43
; %bb.42:                               ;   in Loop: Header=BB8_11 Depth=3
	global_load_b32 v36, v[34:35], off offset:-64
.LBB8_43:                               ;   in Loop: Header=BB8_11 Depth=3
	s_wait_alu 0xfffe
	s_or_b32 exec_lo, exec_lo, s5
	s_and_b32 s5, s4, s6
	s_wait_loadcnt 0x0
	ds_store_b32 v42, v36 offset:2048
	s_wait_alu 0xfffe
	s_xor_b32 s5, s5, -1
	s_wait_alu 0xfffe
	s_and_saveexec_b32 s6, s5
	s_wait_alu 0xfffe
	s_xor_b32 s5, exec_lo, s6
; %bb.44:                               ;   in Loop: Header=BB8_11 Depth=3
	ds_store_b32 v42, v44 offset:2112
                                        ; implicit-def: $vgpr34_vgpr35
; %bb.45:                               ;   in Loop: Header=BB8_11 Depth=3
	s_wait_alu 0xfffe
	s_and_not1_saveexec_b32 s5, s5
	s_cbranch_execz .LBB8_10
; %bb.46:                               ;   in Loop: Header=BB8_11 Depth=3
	global_load_b32 v34, v[34:35], off
	s_wait_loadcnt 0x0
	ds_store_b32 v42, v34 offset:2112
	s_branch .LBB8_10
.LBB8_47:                               ;   in Loop: Header=BB8_8 Depth=2
	v_dual_mov_b32 v54, 0 :: v_dual_mov_b32 v53, 0
	v_mov_b32_e32 v51, 0
	v_mov_b32_e32 v29, 0
.LBB8_48:                               ;   in Loop: Header=BB8_8 Depth=2
	v_mul_lo_u32 v32, s29, v50
	v_mul_lo_u32 v33, s28, v52
	v_mad_co_u64_u32 v[30:31], null, s28, v50, 0
	v_cmp_gt_i32_e32 vcc_lo, s10, v50
	s_delay_alu instid0(VALU_DEP_2) | instskip(NEXT) | instid1(VALU_DEP_1)
	v_add3_u32 v31, v31, v33, v32
	v_lshlrev_b64_e32 v[30:31], 2, v[30:31]
	s_delay_alu instid0(VALU_DEP_1) | instskip(SKIP_1) | instid1(VALU_DEP_2)
	v_add_co_u32 v30, s4, s22, v30
	s_wait_alu 0xf1ff
	v_add_co_ci_u32_e64 v31, null, s23, v31, s4
	s_and_b32 s4, s1, vcc_lo
	s_wait_alu 0xfffe
	s_and_saveexec_b32 s5, s4
	s_cbranch_execz .LBB8_50
; %bb.49:                               ;   in Loop: Header=BB8_8 Depth=2
	v_add_co_u32 v32, s4, v30, v10
	s_wait_alu 0xf1ff
	v_add_co_ci_u32_e64 v33, null, v31, v11, s4
	global_load_b32 v34, v[32:33], off
	s_wait_loadcnt 0x0
	v_fmac_f32_e32 v34, v49, v54
	global_store_b32 v[32:33], v34, off
.LBB8_50:                               ;   in Loop: Header=BB8_8 Depth=2
	s_wait_alu 0xfffe
	s_or_b32 exec_lo, exec_lo, s5
	s_and_b32 s5, s2, vcc_lo
	s_wait_alu 0xfffe
	s_and_saveexec_b32 s4, s5
	s_cbranch_execz .LBB8_52
; %bb.51:                               ;   in Loop: Header=BB8_8 Depth=2
	v_lshlrev_b64_e32 v[32:33], 2, v[4:5]
	s_delay_alu instid0(VALU_DEP_1) | instskip(SKIP_1) | instid1(VALU_DEP_2)
	v_add_co_u32 v30, vcc_lo, v30, v32
	s_wait_alu 0xfffd
	v_add_co_ci_u32_e64 v31, null, v31, v33, vcc_lo
	global_load_b32 v32, v[30:31], off
	s_wait_loadcnt 0x0
	v_fmac_f32_e32 v32, v49, v53
	global_store_b32 v[30:31], v32, off
.LBB8_52:                               ;   in Loop: Header=BB8_8 Depth=2
	s_wait_alu 0xfffe
	s_or_b32 exec_lo, exec_lo, s4
	v_add_nc_u32_e32 v32, 16, v50
	s_delay_alu instid0(VALU_DEP_1) | instskip(SKIP_3) | instid1(VALU_DEP_4)
	v_ashrrev_i32_e32 v33, 31, v32
	v_mul_lo_u32 v34, s29, v32
	v_mad_co_u64_u32 v[30:31], null, s28, v32, 0
	v_cmp_gt_i32_e32 vcc_lo, s10, v32
	v_mul_lo_u32 v33, s28, v33
	s_delay_alu instid0(VALU_DEP_1) | instskip(NEXT) | instid1(VALU_DEP_1)
	v_add3_u32 v31, v31, v33, v34
	v_lshlrev_b64_e32 v[30:31], 2, v[30:31]
	s_delay_alu instid0(VALU_DEP_1) | instskip(SKIP_1) | instid1(VALU_DEP_2)
	v_add_co_u32 v30, s4, s22, v30
	s_wait_alu 0xf1ff
	v_add_co_ci_u32_e64 v31, null, s23, v31, s4
	s_and_b32 s4, s1, vcc_lo
	s_wait_alu 0xfffe
	s_and_saveexec_b32 s5, s4
	s_cbranch_execz .LBB8_54
; %bb.53:                               ;   in Loop: Header=BB8_8 Depth=2
	v_add_co_u32 v32, s4, v30, v10
	s_wait_alu 0xf1ff
	v_add_co_ci_u32_e64 v33, null, v31, v11, s4
	global_load_b32 v34, v[32:33], off
	s_wait_loadcnt 0x0
	v_fmac_f32_e32 v34, v49, v51
	global_store_b32 v[32:33], v34, off
.LBB8_54:                               ;   in Loop: Header=BB8_8 Depth=2
	s_wait_alu 0xfffe
	s_or_b32 exec_lo, exec_lo, s5
	s_and_b32 s5, s2, vcc_lo
	s_wait_alu 0xfffe
	s_and_saveexec_b32 s4, s5
	s_cbranch_execz .LBB8_7
; %bb.55:                               ;   in Loop: Header=BB8_8 Depth=2
	v_lshlrev_b64_e32 v[32:33], 2, v[4:5]
	s_delay_alu instid0(VALU_DEP_1) | instskip(SKIP_1) | instid1(VALU_DEP_2)
	v_add_co_u32 v30, vcc_lo, v30, v32
	s_wait_alu 0xfffd
	v_add_co_ci_u32_e64 v31, null, v31, v33, vcc_lo
	global_load_b32 v32, v[30:31], off
	s_wait_loadcnt 0x0
	v_fmac_f32_e32 v32, v49, v29
	global_store_b32 v[30:31], v32, off
	s_branch .LBB8_7
.LBB8_56:
	s_endpgm
	.section	.rodata,"a",@progbits
	.p2align	6, 0x0
	.amdhsa_kernel _ZL30rocblas_trmm_outofplace_kernelIfLi32ELi2ELb1ELb0ELb1ELb1EPKfS0_fEv17rocblas_diagonal_iiT6_lPT7_lllS5_lllPT8_llli
		.amdhsa_group_segment_fixed_size 8192
		.amdhsa_private_segment_fixed_size 0
		.amdhsa_kernarg_size 392
		.amdhsa_user_sgpr_count 2
		.amdhsa_user_sgpr_dispatch_ptr 0
		.amdhsa_user_sgpr_queue_ptr 0
		.amdhsa_user_sgpr_kernarg_segment_ptr 1
		.amdhsa_user_sgpr_dispatch_id 0
		.amdhsa_user_sgpr_private_segment_size 0
		.amdhsa_wavefront_size32 1
		.amdhsa_uses_dynamic_stack 0
		.amdhsa_enable_private_segment 0
		.amdhsa_system_sgpr_workgroup_id_x 1
		.amdhsa_system_sgpr_workgroup_id_y 1
		.amdhsa_system_sgpr_workgroup_id_z 1
		.amdhsa_system_sgpr_workgroup_info 0
		.amdhsa_system_vgpr_workitem_id 1
		.amdhsa_next_free_vgpr 73
		.amdhsa_next_free_sgpr 57
		.amdhsa_reserve_vcc 1
		.amdhsa_float_round_mode_32 0
		.amdhsa_float_round_mode_16_64 0
		.amdhsa_float_denorm_mode_32 3
		.amdhsa_float_denorm_mode_16_64 3
		.amdhsa_fp16_overflow 0
		.amdhsa_workgroup_processor_mode 1
		.amdhsa_memory_ordered 1
		.amdhsa_forward_progress 1
		.amdhsa_inst_pref_size 29
		.amdhsa_round_robin_scheduling 0
		.amdhsa_exception_fp_ieee_invalid_op 0
		.amdhsa_exception_fp_denorm_src 0
		.amdhsa_exception_fp_ieee_div_zero 0
		.amdhsa_exception_fp_ieee_overflow 0
		.amdhsa_exception_fp_ieee_underflow 0
		.amdhsa_exception_fp_ieee_inexact 0
		.amdhsa_exception_int_div_zero 0
	.end_amdhsa_kernel
	.section	.text._ZL30rocblas_trmm_outofplace_kernelIfLi32ELi2ELb1ELb0ELb1ELb1EPKfS0_fEv17rocblas_diagonal_iiT6_lPT7_lllS5_lllPT8_llli,"axG",@progbits,_ZL30rocblas_trmm_outofplace_kernelIfLi32ELi2ELb1ELb0ELb1ELb1EPKfS0_fEv17rocblas_diagonal_iiT6_lPT7_lllS5_lllPT8_llli,comdat
.Lfunc_end8:
	.size	_ZL30rocblas_trmm_outofplace_kernelIfLi32ELi2ELb1ELb0ELb1ELb1EPKfS0_fEv17rocblas_diagonal_iiT6_lPT7_lllS5_lllPT8_llli, .Lfunc_end8-_ZL30rocblas_trmm_outofplace_kernelIfLi32ELi2ELb1ELb0ELb1ELb1EPKfS0_fEv17rocblas_diagonal_iiT6_lPT7_lllS5_lllPT8_llli
                                        ; -- End function
	.set _ZL30rocblas_trmm_outofplace_kernelIfLi32ELi2ELb1ELb0ELb1ELb1EPKfS0_fEv17rocblas_diagonal_iiT6_lPT7_lllS5_lllPT8_llli.num_vgpr, 73
	.set _ZL30rocblas_trmm_outofplace_kernelIfLi32ELi2ELb1ELb0ELb1ELb1EPKfS0_fEv17rocblas_diagonal_iiT6_lPT7_lllS5_lllPT8_llli.num_agpr, 0
	.set _ZL30rocblas_trmm_outofplace_kernelIfLi32ELi2ELb1ELb0ELb1ELb1EPKfS0_fEv17rocblas_diagonal_iiT6_lPT7_lllS5_lllPT8_llli.numbered_sgpr, 57
	.set _ZL30rocblas_trmm_outofplace_kernelIfLi32ELi2ELb1ELb0ELb1ELb1EPKfS0_fEv17rocblas_diagonal_iiT6_lPT7_lllS5_lllPT8_llli.num_named_barrier, 0
	.set _ZL30rocblas_trmm_outofplace_kernelIfLi32ELi2ELb1ELb0ELb1ELb1EPKfS0_fEv17rocblas_diagonal_iiT6_lPT7_lllS5_lllPT8_llli.private_seg_size, 0
	.set _ZL30rocblas_trmm_outofplace_kernelIfLi32ELi2ELb1ELb0ELb1ELb1EPKfS0_fEv17rocblas_diagonal_iiT6_lPT7_lllS5_lllPT8_llli.uses_vcc, 1
	.set _ZL30rocblas_trmm_outofplace_kernelIfLi32ELi2ELb1ELb0ELb1ELb1EPKfS0_fEv17rocblas_diagonal_iiT6_lPT7_lllS5_lllPT8_llli.uses_flat_scratch, 0
	.set _ZL30rocblas_trmm_outofplace_kernelIfLi32ELi2ELb1ELb0ELb1ELb1EPKfS0_fEv17rocblas_diagonal_iiT6_lPT7_lllS5_lllPT8_llli.has_dyn_sized_stack, 0
	.set _ZL30rocblas_trmm_outofplace_kernelIfLi32ELi2ELb1ELb0ELb1ELb1EPKfS0_fEv17rocblas_diagonal_iiT6_lPT7_lllS5_lllPT8_llli.has_recursion, 0
	.set _ZL30rocblas_trmm_outofplace_kernelIfLi32ELi2ELb1ELb0ELb1ELb1EPKfS0_fEv17rocblas_diagonal_iiT6_lPT7_lllS5_lllPT8_llli.has_indirect_call, 0
	.section	.AMDGPU.csdata,"",@progbits
; Kernel info:
; codeLenInByte = 3680
; TotalNumSgprs: 59
; NumVgprs: 73
; ScratchSize: 0
; MemoryBound: 0
; FloatMode: 240
; IeeeMode: 1
; LDSByteSize: 8192 bytes/workgroup (compile time only)
; SGPRBlocks: 0
; VGPRBlocks: 9
; NumSGPRsForWavesPerEU: 59
; NumVGPRsForWavesPerEU: 73
; Occupancy: 16
; WaveLimiterHint : 0
; COMPUTE_PGM_RSRC2:SCRATCH_EN: 0
; COMPUTE_PGM_RSRC2:USER_SGPR: 2
; COMPUTE_PGM_RSRC2:TRAP_HANDLER: 0
; COMPUTE_PGM_RSRC2:TGID_X_EN: 1
; COMPUTE_PGM_RSRC2:TGID_Y_EN: 1
; COMPUTE_PGM_RSRC2:TGID_Z_EN: 1
; COMPUTE_PGM_RSRC2:TIDIG_COMP_CNT: 1
	.section	.text._ZL30rocblas_trmm_outofplace_kernelIfLi32ELi2ELb1ELb0ELb1ELb1EfKffEv17rocblas_diagonal_iiT6_lPT7_lllS4_lllPT8_llli,"axG",@progbits,_ZL30rocblas_trmm_outofplace_kernelIfLi32ELi2ELb1ELb0ELb1ELb1EfKffEv17rocblas_diagonal_iiT6_lPT7_lllS4_lllPT8_llli,comdat
	.globl	_ZL30rocblas_trmm_outofplace_kernelIfLi32ELi2ELb1ELb0ELb1ELb1EfKffEv17rocblas_diagonal_iiT6_lPT7_lllS4_lllPT8_llli ; -- Begin function _ZL30rocblas_trmm_outofplace_kernelIfLi32ELi2ELb1ELb0ELb1ELb1EfKffEv17rocblas_diagonal_iiT6_lPT7_lllS4_lllPT8_llli
	.p2align	8
	.type	_ZL30rocblas_trmm_outofplace_kernelIfLi32ELi2ELb1ELb0ELb1ELb1EfKffEv17rocblas_diagonal_iiT6_lPT7_lllS4_lllPT8_llli,@function
_ZL30rocblas_trmm_outofplace_kernelIfLi32ELi2ELb1ELb0ELb1ELb1EfKffEv17rocblas_diagonal_iiT6_lPT7_lllS4_lllPT8_llli: ; @_ZL30rocblas_trmm_outofplace_kernelIfLi32ELi2ELb1ELb0ELb1ELb1EfKffEv17rocblas_diagonal_iiT6_lPT7_lllS4_lllPT8_llli
; %bb.0:
	s_load_b32 s33, s[0:1], 0x78
	s_lshr_b32 s34, ttmp7, 16
	s_wait_kmcnt 0x0
	s_cmp_ge_u32 s34, s33
	s_cbranch_scc1 .LBB9_55
; %bb.1:
	s_load_b128 s[28:31], s[0:1], 0x0
	s_mov_b32 s35, 0
	s_wait_kmcnt 0x0
	s_cmp_eq_f32 s31, 0
	s_cbranch_scc1 .LBB9_55
; %bb.2:
	s_add_co_i32 s2, s30, -1
	s_and_b32 s42, ttmp7, 0xffff
	s_ashr_i32 s3, s2, 31
	v_dual_mov_b32 v45, 1.0 :: v_dual_and_b32 v4, 0x3ff, v0
	s_lshr_b32 s3, s3, 27
	s_load_b512 s[4:19], s[0:1], 0x18
	s_add_co_i32 s2, s2, s3
	v_bfe_u32 v38, v0, 10, 10
	s_ashr_i32 s43, s2, 5
	v_lshlrev_b32_e32 v39, 2, v4
	s_cmp_le_i32 s42, s43
	s_delay_alu instid0(VALU_DEP_2)
	v_dual_mov_b32 v44, 0 :: v_dual_lshlrev_b32 v5, 7, v38
	s_cselect_b32 s44, -1, 0
	s_lshl_b32 s2, ttmp9, 5
	s_load_b256 s[20:27], s[0:1], 0x58
	v_add_nc_u32_e32 v2, s2, v4
	v_add_nc_u32_e32 v0, s2, v38
	;; [unrolled: 1-line block ×4, first 2 shown]
	s_sub_co_i32 s45, s29, s2
	v_ashrrev_i32_e32 v3, 31, v2
	v_ashrrev_i32_e32 v1, 31, v0
	v_add_co_u32 v4, vcc_lo, v2, 16
	s_wait_kmcnt 0x0
	v_mul_lo_u32 v21, s9, v2
	v_add_co_ci_u32_e64 v5, null, 0, v3, vcc_lo
	v_sub_co_u32 v8, vcc_lo, v2, v0
	v_lshlrev_b64_e32 v[10:11], 2, v[2:3]
	s_wait_alu 0xfffd
	v_sub_co_ci_u32_e64 v9, null, v3, v1, vcc_lo
	s_delay_alu instid0(VALU_DEP_3)
	v_add_co_u32 v12, vcc_lo, v8, 16
	v_mul_lo_u32 v20, s8, v3
	v_mad_co_u64_u32 v[16:17], null, s8, v2, 0
	s_wait_alu 0xfffd
	v_add_co_ci_u32_e64 v13, null, 0, v9, vcc_lo
	v_add_co_u32 v18, vcc_lo, v10, 64
	s_cmp_gt_i32 s45, 0
	s_wait_alu 0xfffd
	v_add_co_ci_u32_e64 v19, null, 0, v11, vcc_lo
	s_cselect_b32 s46, -1, 0
	s_cmp_eq_u32 s28, 0x84
	v_mul_lo_u32 v23, s9, v18
	s_cselect_b32 s47, -1, 0
	s_lshl_b64 s[6:7], s[6:7], 2
	s_lshl_b64 s[14:15], s[14:15], 2
	v_mul_lo_u32 v22, s8, v19
	v_mad_co_u64_u32 v[18:19], null, s8, v18, s[6:7]
	v_add3_u32 v17, v17, v20, v21
	v_add_co_u32 v14, vcc_lo, v8, -16
	s_add_nc_u64 s[12:13], s[12:13], s[14:15]
	s_wait_alu 0xfffd
	v_add_co_ci_u32_e64 v15, null, -1, v9, vcc_lo
	v_add_co_u32 v24, vcc_lo, s12, v10
	v_lshlrev_b64_e32 v[20:21], 2, v[16:17]
	s_wait_alu 0xfffd
	v_add_co_ci_u32_e64 v25, null, s13, v11, vcc_lo
	v_add3_u32 v19, v23, v19, v22
	v_lshlrev_b64_e32 v[22:23], 2, v[0:1]
	v_add_co_u32 v16, vcc_lo, v24, 64
	s_wait_alu 0xfffd
	v_add_co_ci_u32_e64 v17, null, 0, v25, vcc_lo
	v_add_co_u32 v20, vcc_lo, v20, s6
	s_wait_alu 0xfffd
	v_add_co_ci_u32_e64 v21, null, s7, v21, vcc_lo
	;; [unrolled: 3-line block ×3, first 2 shown]
	v_add_co_u32 v20, vcc_lo, v20, v22
	v_add_nc_u32_e32 v6, 16, v2
	s_wait_alu 0xfffd
	v_add_co_ci_u32_e64 v21, null, v21, v23, vcc_lo
	v_add_co_u32 v18, vcc_lo, s4, v18
	s_ashr_i32 s37, s29, 31
	s_mov_b32 s36, s29
	s_lshl_b64 s[2:3], s[22:23], 2
	s_wait_alu 0xfffd
	v_add_co_ci_u32_e64 v19, null, s5, v19, vcc_lo
	v_add_co_u32 v20, vcc_lo, s4, v20
	s_add_nc_u64 s[22:23], s[0:1], 0x80
	v_cmp_le_i64_e64 s1, s[36:37], v[4:5]
	v_add_nc_u32_e32 v42, v40, v39
	s_wait_alu 0xfffe
	s_add_nc_u64 s[20:21], s[20:21], s[2:3]
	v_cmp_le_i32_e64 s0, s29, v2
	v_cmp_gt_i32_e64 s2, s29, v2
	v_cmp_gt_i32_e64 s3, s29, v6
	v_ashrrev_i32_e32 v7, 31, v6
	v_lshl_add_u32 v43, s42, 5, v38
	s_wait_alu 0xfffd
	v_add_co_ci_u32_e64 v21, null, s5, v21, vcc_lo
	v_add_nc_u32_e32 v46, 0x400, v39
	v_add_nc_u32_e32 v47, 0x800, v39
	;; [unrolled: 1-line block ×3, first 2 shown]
	s_ashr_i32 s48, s30, 31
	s_mov_b32 s49, s30
	s_add_nc_u64 s[38:39], s[36:37], -16
	s_lshl_b64 s[12:13], s[18:19], 2
	s_lshl_b64 s[14:15], s[16:17], 2
	;; [unrolled: 1-line block ×3, first 2 shown]
	s_branch .LBB9_4
.LBB9_3:                                ;   in Loop: Header=BB9_4 Depth=1
	s_add_co_i32 s34, s34, 0x10000
	s_wait_alu 0xfffe
	s_cmp_ge_u32 s34, s33
	s_cbranch_scc1 .LBB9_55
.LBB9_4:                                ; =>This Loop Header: Depth=1
                                        ;     Child Loop BB9_7 Depth 2
                                        ;       Child Loop BB9_10 Depth 3
	s_and_not1_b32 vcc_lo, exec_lo, s44
	s_wait_alu 0xfffe
	s_cbranch_vccnz .LBB9_3
; %bb.5:                                ;   in Loop: Header=BB9_4 Depth=1
	s_load_b32 s9, s[22:23], 0x4
	v_mad_co_u64_u32 v[22:23], null, s12, s34, v[16:17]
	v_mad_co_u64_u32 v[24:25], null, s10, s34, v[18:19]
	;; [unrolled: 1-line block ×3, first 2 shown]
	s_mul_i32 s6, s11, s34
	s_mul_u64 s[4:5], s[26:27], s[34:35]
	s_mov_b32 s51, s42
	s_wait_alu 0xfffe
	s_lshl_b64 s[4:5], s[4:5], 2
	v_mad_co_u64_u32 v[28:29], null, s13, s34, v[23:24]
	v_add_nc_u32_e32 v25, s6, v25
	v_add_nc_u32_e32 v27, s6, v27
	s_wait_alu 0xfffe
	s_add_nc_u64 s[18:19], s[20:21], s[4:5]
	s_delay_alu instid0(VALU_DEP_3)
	v_dual_mov_b32 v23, v28 :: v_dual_mov_b32 v28, v43
	s_wait_kmcnt 0x0
	s_lshl_b32 s50, s9, 5
	s_branch .LBB9_7
.LBB9_6:                                ;   in Loop: Header=BB9_7 Depth=2
	s_wait_alu 0xfffe
	s_or_b32 exec_lo, exec_lo, s4
	v_add_nc_u32_e32 v28, s50, v28
	s_add_co_i32 s51, s9, s51
	s_wait_alu 0xfffe
	s_cmp_gt_i32 s51, s43
	s_cbranch_scc1 .LBB9_3
.LBB9_7:                                ;   Parent Loop BB9_4 Depth=1
                                        ; =>  This Loop Header: Depth=2
                                        ;       Child Loop BB9_10 Depth 3
	v_lshl_add_u32 v49, s51, 5, v38
	s_and_not1_b32 vcc_lo, exec_lo, s46
	s_delay_alu instid0(VALU_DEP_1)
	v_ashrrev_i32_e32 v51, 31, v49
	s_wait_alu 0xfffe
	s_cbranch_vccnz .LBB9_46
; %bb.8:                                ;   in Loop: Header=BB9_7 Depth=2
	v_ashrrev_i32_e32 v29, 31, v28
	v_mad_co_u64_u32 v[30:31], null, s14, v28, v[22:23]
	v_mul_lo_u32 v36, s15, v28
	v_mov_b32_e32 v52, 0
	s_delay_alu instid0(VALU_DEP_4) | instskip(SKIP_4) | instid1(VALU_DEP_3)
	v_lshlrev_b64_e32 v[32:33], 2, v[28:29]
	v_mul_lo_u32 v37, s14, v29
	v_dual_mov_b32 v29, 0 :: v_dual_mov_b32 v50, 0
	s_mov_b64 s[28:29], 0
	s_mov_b64 s[40:41], 0
	v_add_co_u32 v32, vcc_lo, v32, 64
	s_wait_alu 0xfffd
	v_add_co_ci_u32_e64 v33, null, 0, v33, vcc_lo
	v_sub_co_u32 v34, vcc_lo, s49, v49
	s_delay_alu instid0(VALU_DEP_3) | instskip(NEXT) | instid1(VALU_DEP_3)
	v_mul_lo_u32 v54, s17, v32
	v_mul_lo_u32 v53, s16, v33
	v_mad_co_u64_u32 v[32:33], null, s16, v32, v[22:23]
	s_wait_alu 0xfffd
	v_sub_co_ci_u32_e64 v35, null, s48, v51, vcc_lo
	v_add3_u32 v31, v36, v31, v37
	s_delay_alu instid0(VALU_DEP_2) | instskip(NEXT) | instid1(VALU_DEP_4)
	v_cmp_lt_i64_e64 s4, 16, v[34:35]
	v_add3_u32 v33, v54, v33, v53
	v_mov_b32_e32 v53, 0
	v_cmp_lt_i64_e32 vcc_lo, 0, v[34:35]
	s_branch .LBB9_10
.LBB9_9:                                ;   in Loop: Header=BB9_10 Depth=3
	s_wait_alu 0xfffe
	s_or_b32 exec_lo, exec_lo, s5
	s_wait_dscnt 0x0
	s_barrier_signal -1
	s_barrier_wait -1
	global_inv scope:SCOPE_SE
	ds_load_b128 v[34:37], v40
	ds_load_2addr_b32 v[74:75], v39 offset1:16
	ds_load_b128 v[54:57], v40 offset:2048
	ds_load_2addr_b32 v[76:77], v39 offset0:32 offset1:48
	ds_load_b128 v[58:61], v40 offset:16
	ds_load_2addr_b32 v[78:79], v39 offset0:64 offset1:80
	ds_load_b128 v[62:65], v40 offset:32
	ds_load_b128 v[66:69], v40 offset:48
	ds_load_2addr_b32 v[80:81], v39 offset0:96 offset1:112
	ds_load_2addr_b32 v[82:83], v39 offset0:128 offset1:144
	ds_load_b128 v[70:73], v40 offset:2064
	ds_load_2addr_b32 v[84:85], v39 offset0:160 offset1:176
	ds_load_2addr_b32 v[86:87], v39 offset0:192 offset1:208
	;; [unrolled: 1-line block ×3, first 2 shown]
	ds_load_2addr_b32 v[90:91], v46 offset1:16
	ds_load_2addr_b32 v[92:93], v46 offset0:32 offset1:48
	s_add_nc_u64 s[40:41], s[40:41], 32
	s_add_nc_u64 s[28:29], s[28:29], 0x80
	s_wait_alu 0xfffe
	s_cmp_ge_i32 s40, s45
	s_wait_dscnt 0xe
	v_fmac_f32_e32 v52, v75, v34
	v_fmac_f32_e32 v53, v74, v34
	s_wait_dscnt 0xd
	v_fmac_f32_e32 v29, v75, v54
	v_fmac_f32_e32 v50, v74, v54
	ds_load_2addr_b32 v[74:75], v46 offset0:64 offset1:80
	s_wait_dscnt 0xd
	v_fmac_f32_e32 v52, v77, v35
	v_fmac_f32_e32 v53, v76, v35
	v_fmac_f32_e32 v29, v77, v55
	v_fmac_f32_e32 v50, v76, v55
	ds_load_2addr_b32 v[76:77], v46 offset0:96 offset1:112
	s_wait_dscnt 0xc
	v_fmac_f32_e32 v52, v79, v36
	v_fmac_f32_e32 v53, v78, v36
	;; [unrolled: 6-line block ×3, first 2 shown]
	v_fmac_f32_e32 v29, v81, v57
	v_fmac_f32_e32 v50, v80, v57
	ds_load_b128 v[34:37], v40 offset:2080
	ds_load_b128 v[54:57], v40 offset:2096
	s_wait_dscnt 0xb
	v_fmac_f32_e32 v52, v83, v58
	v_fmac_f32_e32 v53, v82, v58
	s_wait_dscnt 0xa
	v_fmac_f32_e32 v29, v83, v70
	v_fmac_f32_e32 v50, v82, v70
	ds_load_2addr_b32 v[80:81], v46 offset0:160 offset1:176
	s_wait_dscnt 0xa
	v_fmac_f32_e32 v52, v85, v59
	v_fmac_f32_e32 v53, v84, v59
	v_fmac_f32_e32 v29, v85, v71
	v_fmac_f32_e32 v50, v84, v71
	ds_load_2addr_b32 v[82:83], v46 offset0:192 offset1:208
	s_wait_dscnt 0xa
	v_fmac_f32_e32 v52, v87, v60
	v_fmac_f32_e32 v53, v86, v60
	;; [unrolled: 6-line block ×3, first 2 shown]
	v_fmac_f32_e32 v29, v89, v73
	v_fmac_f32_e32 v50, v88, v73
	ds_load_b128 v[58:61], v40 offset:64
	s_wait_dscnt 0xa
	v_fmac_f32_e32 v52, v91, v62
	v_fmac_f32_e32 v53, v90, v62
	s_wait_dscnt 0x5
	v_fmac_f32_e32 v29, v91, v34
	v_fmac_f32_e32 v50, v90, v34
	ds_load_2addr_b32 v[86:87], v47 offset1:16
	v_fmac_f32_e32 v52, v93, v63
	v_fmac_f32_e32 v53, v92, v63
	;; [unrolled: 1-line block ×4, first 2 shown]
	ds_load_b128 v[70:73], v40 offset:2112
	v_fmac_f32_e32 v52, v75, v64
	v_fmac_f32_e32 v53, v74, v64
	;; [unrolled: 1-line block ×4, first 2 shown]
	ds_load_2addr_b32 v[62:63], v47 offset0:32 offset1:48
	v_fmac_f32_e32 v52, v77, v65
	v_fmac_f32_e32 v53, v76, v65
	;; [unrolled: 1-line block ×4, first 2 shown]
	ds_load_2addr_b32 v[64:65], v47 offset0:64 offset1:80
	v_fmac_f32_e32 v52, v79, v66
	v_fmac_f32_e32 v53, v78, v66
	s_wait_dscnt 0x8
	v_fmac_f32_e32 v29, v79, v54
	v_fmac_f32_e32 v50, v78, v54
	ds_load_2addr_b32 v[74:75], v47 offset0:96 offset1:112
	s_wait_dscnt 0x8
	v_fmac_f32_e32 v52, v81, v67
	v_fmac_f32_e32 v53, v80, v67
	;; [unrolled: 1-line block ×4, first 2 shown]
	ds_load_b128 v[34:37], v40 offset:80
	s_wait_dscnt 0x8
	v_fmac_f32_e32 v52, v83, v68
	v_fmac_f32_e32 v53, v82, v68
	;; [unrolled: 1-line block ×4, first 2 shown]
	ds_load_2addr_b32 v[66:67], v47 offset0:128 offset1:144
	s_wait_dscnt 0x8
	v_fmac_f32_e32 v52, v85, v69
	v_fmac_f32_e32 v53, v84, v69
	;; [unrolled: 1-line block ×4, first 2 shown]
	ds_load_b128 v[54:57], v40 offset:2128
	s_wait_dscnt 0x7
	v_fmac_f32_e32 v52, v87, v58
	v_fmac_f32_e32 v53, v86, v58
	s_wait_dscnt 0x6
	v_fmac_f32_e32 v29, v87, v70
	v_fmac_f32_e32 v50, v86, v70
	ds_load_2addr_b32 v[68:69], v47 offset0:160 offset1:176
	s_wait_dscnt 0x6
	v_fmac_f32_e32 v52, v63, v59
	v_fmac_f32_e32 v53, v62, v59
	v_fmac_f32_e32 v29, v63, v71
	v_fmac_f32_e32 v50, v62, v71
	ds_load_2addr_b32 v[70:71], v47 offset0:192 offset1:208
	s_wait_dscnt 0x6
	v_fmac_f32_e32 v52, v65, v60
	v_fmac_f32_e32 v53, v64, v60
	;; [unrolled: 6-line block ×3, first 2 shown]
	v_fmac_f32_e32 v29, v75, v73
	v_fmac_f32_e32 v50, v74, v73
	ds_load_b128 v[58:61], v40 offset:96
	ds_load_2addr_b32 v[72:73], v48 offset1:16
	s_wait_dscnt 0x6
	v_fmac_f32_e32 v52, v67, v34
	v_fmac_f32_e32 v53, v66, v34
	s_wait_dscnt 0x5
	v_fmac_f32_e32 v29, v67, v54
	v_fmac_f32_e32 v50, v66, v54
	ds_load_b128 v[62:65], v40 offset:2144
	s_wait_dscnt 0x5
	v_fmac_f32_e32 v52, v69, v35
	v_fmac_f32_e32 v53, v68, v35
	ds_load_2addr_b32 v[66:67], v48 offset0:32 offset1:48
	v_fmac_f32_e32 v29, v69, v55
	v_fmac_f32_e32 v50, v68, v55
	s_wait_dscnt 0x5
	v_fmac_f32_e32 v52, v71, v36
	v_fmac_f32_e32 v53, v70, v36
	ds_load_2addr_b32 v[68:69], v48 offset0:64 offset1:80
	v_fmac_f32_e32 v29, v71, v56
	v_fmac_f32_e32 v50, v70, v56
	;; [unrolled: 6-line block ×3, first 2 shown]
	ds_load_b128 v[34:37], v40 offset:112
	s_wait_dscnt 0x5
	v_fmac_f32_e32 v52, v73, v58
	v_fmac_f32_e32 v53, v72, v58
	ds_load_2addr_b32 v[74:75], v48 offset0:128 offset1:144
	ds_load_b128 v[54:57], v40 offset:2160
	s_wait_dscnt 0x6
	v_fmac_f32_e32 v29, v73, v62
	v_fmac_f32_e32 v50, v72, v62
	ds_load_2addr_b32 v[72:73], v48 offset0:160 offset1:176
	s_wait_dscnt 0x6
	v_fmac_f32_e32 v52, v67, v59
	v_fmac_f32_e32 v53, v66, v59
	v_fmac_f32_e32 v29, v67, v63
	v_fmac_f32_e32 v50, v66, v63
	ds_load_2addr_b32 v[58:59], v48 offset0:192 offset1:208
	s_wait_dscnt 0x6
	v_fmac_f32_e32 v52, v69, v60
	v_fmac_f32_e32 v53, v68, v60
	;; [unrolled: 6-line block ×3, first 2 shown]
	v_fmac_f32_e32 v29, v71, v65
	v_fmac_f32_e32 v50, v70, v65
	s_wait_loadcnt_dscnt 0x0
	v_fmac_f32_e32 v52, v75, v34
	v_fmac_f32_e32 v53, v74, v34
	;; [unrolled: 1-line block ×4, first 2 shown]
	s_barrier_signal -1
	v_fmac_f32_e32 v52, v73, v35
	v_fmac_f32_e32 v53, v72, v35
	;; [unrolled: 1-line block ×4, first 2 shown]
	s_barrier_wait -1
	v_fmac_f32_e32 v52, v59, v36
	v_fmac_f32_e32 v53, v58, v36
	;; [unrolled: 1-line block ×4, first 2 shown]
	global_inv scope:SCOPE_SE
	v_fmac_f32_e32 v52, v63, v37
	v_fmac_f32_e32 v53, v62, v37
	;; [unrolled: 1-line block ×4, first 2 shown]
	s_cbranch_scc1 .LBB9_47
.LBB9_10:                               ;   Parent Loop BB9_4 Depth=1
                                        ;     Parent Loop BB9_7 Depth=2
                                        ; =>    This Inner Loop Header: Depth=3
	s_wait_alu 0xfffe
	v_add_co_u32 v36, s5, v0, s40
	s_wait_alu 0xf1ff
	v_add_co_ci_u32_e64 v37, null, s41, v1, s5
	v_cmp_eq_u64_e64 s7, s[40:41], v[8:9]
                                        ; implicit-def: $vgpr54
	s_delay_alu instid0(VALU_DEP_2)
	v_cmp_le_i64_e64 s6, s[36:37], v[36:37]
	v_cmp_lt_i64_e64 s5, v[36:37], v[2:3]
	s_and_b32 s52, s47, s7
	v_add_co_u32 v34, s7, v26, s28
	s_wait_alu 0xf1ff
	v_add_co_ci_u32_e64 v35, null, s29, v27, s7
	s_or_b32 s8, s6, s5
	s_wait_alu 0xfffe
	s_or_b32 s7, s8, s52
	s_wait_alu 0xfffe
	s_nor_b32 s7, s0, s7
	s_wait_alu 0xfffe
	s_and_saveexec_b32 s8, s7
	s_wait_alu 0xfffe
	s_xor_b32 s7, exec_lo, s8
	s_cbranch_execz .LBB9_12
; %bb.11:                               ;   in Loop: Header=BB9_10 Depth=3
	global_load_b32 v54, v[34:35], off
.LBB9_12:                               ;   in Loop: Header=BB9_10 Depth=3
	s_wait_alu 0xfffe
	s_and_not1_saveexec_b32 s7, s7
	s_cbranch_execz .LBB9_14
; %bb.13:                               ;   in Loop: Header=BB9_10 Depth=3
	s_wait_loadcnt 0x0
	v_cndmask_b32_e64 v54, 0, 1.0, s52
.LBB9_14:                               ;   in Loop: Header=BB9_10 Depth=3
	s_wait_alu 0xfffe
	s_or_b32 exec_lo, exec_lo, s7
	v_cmp_eq_u64_e64 s7, s[40:41], v[12:13]
	v_cmp_gt_i64_e64 s8, v[4:5], v[36:37]
	s_wait_loadcnt 0x0
	ds_store_b32 v41, v54
	s_and_b32 s7, s47, s7
	s_or_b32 s6, s6, s8
	s_wait_alu 0xfffe
	s_or_b32 s6, s6, s7
	s_wait_alu 0xfffe
	s_nor_b32 s6, s1, s6
	s_wait_alu 0xfffe
	s_and_saveexec_b32 s8, s6
	s_wait_alu 0xfffe
	s_xor_b32 s8, exec_lo, s8
	s_cbranch_execz .LBB9_16
; %bb.15:                               ;   in Loop: Header=BB9_10 Depth=3
	v_add_co_u32 v54, s6, v24, s28
	s_wait_alu 0xf1ff
	v_add_co_ci_u32_e64 v55, null, s29, v25, s6
	global_load_b32 v54, v[54:55], off
	s_wait_loadcnt 0x0
	ds_store_b32 v41, v54 offset:64
.LBB9_16:                               ;   in Loop: Header=BB9_10 Depth=3
	s_wait_alu 0xfffe
	s_and_not1_saveexec_b32 s6, s8
	s_cbranch_execz .LBB9_22
; %bb.17:                               ;   in Loop: Header=BB9_10 Depth=3
	s_xor_b32 s7, s7, -1
	s_wait_alu 0xfffe
	s_and_saveexec_b32 s8, s7
	s_wait_alu 0xfffe
	s_xor_b32 s7, exec_lo, s8
; %bb.18:                               ;   in Loop: Header=BB9_10 Depth=3
	ds_store_b32 v41, v44 offset:64
; %bb.19:                               ;   in Loop: Header=BB9_10 Depth=3
	s_wait_alu 0xfffe
	s_and_not1_saveexec_b32 s7, s7
; %bb.20:                               ;   in Loop: Header=BB9_10 Depth=3
	ds_store_b32 v41, v45 offset:64
; %bb.21:                               ;   in Loop: Header=BB9_10 Depth=3
	s_wait_alu 0xfffe
	s_or_b32 exec_lo, exec_lo, s7
.LBB9_22:                               ;   in Loop: Header=BB9_10 Depth=3
	s_wait_alu 0xfffe
	s_or_b32 exec_lo, exec_lo, s6
	v_add_co_u32 v36, s6, v36, 16
	s_wait_alu 0xf1ff
	v_add_co_ci_u32_e64 v37, null, 0, v37, s6
	v_cmp_eq_u64_e64 s7, s[40:41], v[14:15]
	s_delay_alu instid0(VALU_DEP_2)
	v_cmp_le_i64_e64 s6, s[36:37], v[36:37]
	v_cmp_lt_i64_e64 s8, v[36:37], v[2:3]
                                        ; implicit-def: $vgpr36
	s_and_b32 s7, s47, s7
	s_or_b32 s8, s6, s8
	s_wait_alu 0xfffe
	s_or_b32 s8, s8, s7
	s_wait_alu 0xfffe
	s_nor_b32 s8, s0, s8
	s_wait_alu 0xfffe
	s_and_saveexec_b32 s53, s8
	s_wait_alu 0xfffe
	s_xor_b32 s8, exec_lo, s53
	s_cbranch_execz .LBB9_24
; %bb.23:                               ;   in Loop: Header=BB9_10 Depth=3
	global_load_b32 v36, v[34:35], off offset:64
.LBB9_24:                               ;   in Loop: Header=BB9_10 Depth=3
	s_wait_alu 0xfffe
	s_and_not1_saveexec_b32 s8, s8
	s_cbranch_execz .LBB9_26
; %bb.25:                               ;   in Loop: Header=BB9_10 Depth=3
	s_wait_loadcnt 0x0
	v_cndmask_b32_e64 v36, 0, 1.0, s7
.LBB9_26:                               ;   in Loop: Header=BB9_10 Depth=3
	s_wait_alu 0xfffe
	s_or_b32 exec_lo, exec_lo, s8
	s_or_b32 s5, s6, s5
	s_wait_loadcnt 0x0
	ds_store_b32 v41, v36 offset:2048
	s_wait_alu 0xfffe
	s_or_b32 s5, s5, s52
	s_wait_alu 0xfffe
	s_nor_b32 s5, s1, s5
	s_wait_alu 0xfffe
	s_and_saveexec_b32 s6, s5
	s_wait_alu 0xfffe
	s_xor_b32 s6, exec_lo, s6
	s_cbranch_execz .LBB9_28
; %bb.27:                               ;   in Loop: Header=BB9_10 Depth=3
	v_add_co_u32 v34, s5, v24, s28
	s_wait_alu 0xf1ff
	v_add_co_ci_u32_e64 v35, null, s29, v25, s5
	global_load_b32 v34, v[34:35], off offset:64
	s_wait_loadcnt 0x0
	ds_store_b32 v41, v34 offset:2112
.LBB9_28:                               ;   in Loop: Header=BB9_10 Depth=3
	s_wait_alu 0xfffe
	s_and_not1_saveexec_b32 s5, s6
	s_cbranch_execz .LBB9_34
; %bb.29:                               ;   in Loop: Header=BB9_10 Depth=3
	s_xor_b32 s6, s52, -1
	s_wait_alu 0xfffe
	s_and_saveexec_b32 s7, s6
	s_wait_alu 0xfffe
	s_xor_b32 s6, exec_lo, s7
; %bb.30:                               ;   in Loop: Header=BB9_10 Depth=3
	ds_store_b32 v41, v44 offset:2112
; %bb.31:                               ;   in Loop: Header=BB9_10 Depth=3
	s_wait_alu 0xfffe
	s_and_not1_saveexec_b32 s6, s6
; %bb.32:                               ;   in Loop: Header=BB9_10 Depth=3
	ds_store_b32 v41, v45 offset:2112
; %bb.33:                               ;   in Loop: Header=BB9_10 Depth=3
	s_wait_alu 0xfffe
	s_or_b32 exec_lo, exec_lo, s6
.LBB9_34:                               ;   in Loop: Header=BB9_10 Depth=3
	s_wait_alu 0xfffe
	s_or_b32 exec_lo, exec_lo, s5
	v_add_co_u32 v36, s5, v2, s40
	s_wait_alu 0xf1ff
	v_add_co_ci_u32_e64 v37, null, s41, v3, s5
	v_add_co_u32 v34, s6, v30, s28
	s_wait_alu 0xf1ff
	v_add_co_ci_u32_e64 v35, null, s29, v31, s6
	s_delay_alu instid0(VALU_DEP_3)
	v_cmp_gt_i64_e64 s5, s[36:37], v[36:37]
	v_mov_b32_e32 v54, 0
	s_and_b32 s7, vcc_lo, s5
	s_wait_alu 0xfffe
	s_and_saveexec_b32 s6, s7
	s_cbranch_execz .LBB9_36
; %bb.35:                               ;   in Loop: Header=BB9_10 Depth=3
	global_load_b32 v54, v[34:35], off offset:-64
.LBB9_36:                               ;   in Loop: Header=BB9_10 Depth=3
	s_wait_alu 0xfffe
	s_or_b32 exec_lo, exec_lo, s6
	v_cmp_gt_i64_e64 s6, s[38:39], v[36:37]
	s_wait_loadcnt 0x0
	ds_store_b32 v42, v54
	s_and_b32 s7, vcc_lo, s6
	s_wait_alu 0xfffe
	s_xor_b32 s7, s7, -1
	s_wait_alu 0xfffe
	s_and_saveexec_b32 s8, s7
	s_wait_alu 0xfffe
	s_xor_b32 s7, exec_lo, s8
; %bb.37:                               ;   in Loop: Header=BB9_10 Depth=3
	ds_store_b32 v42, v44 offset:64
                                        ; implicit-def: $vgpr34_vgpr35
; %bb.38:                               ;   in Loop: Header=BB9_10 Depth=3
	s_wait_alu 0xfffe
	s_and_not1_saveexec_b32 s7, s7
	s_cbranch_execz .LBB9_40
; %bb.39:                               ;   in Loop: Header=BB9_10 Depth=3
	global_load_b32 v34, v[34:35], off
	s_wait_loadcnt 0x0
	ds_store_b32 v42, v34 offset:64
.LBB9_40:                               ;   in Loop: Header=BB9_10 Depth=3
	s_wait_alu 0xfffe
	s_or_b32 exec_lo, exec_lo, s7
	v_add_co_u32 v34, s7, v32, s28
	s_wait_alu 0xf1ff
	v_add_co_ci_u32_e64 v35, null, s29, v33, s7
	v_mov_b32_e32 v36, 0
	s_and_b32 s7, s4, s5
	s_wait_alu 0xfffe
	s_and_saveexec_b32 s5, s7
	s_cbranch_execz .LBB9_42
; %bb.41:                               ;   in Loop: Header=BB9_10 Depth=3
	global_load_b32 v36, v[34:35], off offset:-64
.LBB9_42:                               ;   in Loop: Header=BB9_10 Depth=3
	s_wait_alu 0xfffe
	s_or_b32 exec_lo, exec_lo, s5
	s_and_b32 s5, s4, s6
	s_wait_loadcnt 0x0
	ds_store_b32 v42, v36 offset:2048
	s_wait_alu 0xfffe
	s_xor_b32 s5, s5, -1
	s_wait_alu 0xfffe
	s_and_saveexec_b32 s6, s5
	s_wait_alu 0xfffe
	s_xor_b32 s5, exec_lo, s6
; %bb.43:                               ;   in Loop: Header=BB9_10 Depth=3
	ds_store_b32 v42, v44 offset:2112
                                        ; implicit-def: $vgpr34_vgpr35
; %bb.44:                               ;   in Loop: Header=BB9_10 Depth=3
	s_wait_alu 0xfffe
	s_and_not1_saveexec_b32 s5, s5
	s_cbranch_execz .LBB9_9
; %bb.45:                               ;   in Loop: Header=BB9_10 Depth=3
	global_load_b32 v34, v[34:35], off
	s_wait_loadcnt 0x0
	ds_store_b32 v42, v34 offset:2112
	s_branch .LBB9_9
.LBB9_46:                               ;   in Loop: Header=BB9_7 Depth=2
	v_dual_mov_b32 v53, 0 :: v_dual_mov_b32 v52, 0
	v_dual_mov_b32 v50, 0 :: v_dual_mov_b32 v29, 0
.LBB9_47:                               ;   in Loop: Header=BB9_7 Depth=2
	v_mul_lo_u32 v32, s25, v49
	v_mul_lo_u32 v33, s24, v51
	v_mad_co_u64_u32 v[30:31], null, s24, v49, 0
	v_cmp_gt_i32_e32 vcc_lo, s30, v49
	s_delay_alu instid0(VALU_DEP_2) | instskip(NEXT) | instid1(VALU_DEP_1)
	v_add3_u32 v31, v31, v33, v32
	v_lshlrev_b64_e32 v[30:31], 2, v[30:31]
	s_delay_alu instid0(VALU_DEP_1) | instskip(SKIP_1) | instid1(VALU_DEP_2)
	v_add_co_u32 v30, s4, s18, v30
	s_wait_alu 0xf1ff
	v_add_co_ci_u32_e64 v31, null, s19, v31, s4
	s_and_b32 s4, s2, vcc_lo
	s_wait_alu 0xfffe
	s_and_saveexec_b32 s5, s4
	s_cbranch_execz .LBB9_49
; %bb.48:                               ;   in Loop: Header=BB9_7 Depth=2
	v_add_co_u32 v32, s4, v30, v10
	s_wait_alu 0xf1ff
	v_add_co_ci_u32_e64 v33, null, v31, v11, s4
	global_load_b32 v34, v[32:33], off
	s_wait_loadcnt 0x0
	v_fmac_f32_e32 v34, s31, v53
	global_store_b32 v[32:33], v34, off
.LBB9_49:                               ;   in Loop: Header=BB9_7 Depth=2
	s_wait_alu 0xfffe
	s_or_b32 exec_lo, exec_lo, s5
	s_and_b32 s5, s3, vcc_lo
	s_wait_alu 0xfffe
	s_and_saveexec_b32 s4, s5
	s_cbranch_execz .LBB9_51
; %bb.50:                               ;   in Loop: Header=BB9_7 Depth=2
	v_lshlrev_b64_e32 v[32:33], 2, v[6:7]
	s_delay_alu instid0(VALU_DEP_1) | instskip(SKIP_1) | instid1(VALU_DEP_2)
	v_add_co_u32 v30, vcc_lo, v30, v32
	s_wait_alu 0xfffd
	v_add_co_ci_u32_e64 v31, null, v31, v33, vcc_lo
	global_load_b32 v32, v[30:31], off
	s_wait_loadcnt 0x0
	v_fmac_f32_e32 v32, s31, v52
	global_store_b32 v[30:31], v32, off
.LBB9_51:                               ;   in Loop: Header=BB9_7 Depth=2
	s_wait_alu 0xfffe
	s_or_b32 exec_lo, exec_lo, s4
	v_add_nc_u32_e32 v32, 16, v49
	s_delay_alu instid0(VALU_DEP_1) | instskip(SKIP_3) | instid1(VALU_DEP_4)
	v_ashrrev_i32_e32 v33, 31, v32
	v_mul_lo_u32 v34, s25, v32
	v_mad_co_u64_u32 v[30:31], null, s24, v32, 0
	v_cmp_gt_i32_e32 vcc_lo, s30, v32
	v_mul_lo_u32 v33, s24, v33
	s_delay_alu instid0(VALU_DEP_1) | instskip(NEXT) | instid1(VALU_DEP_1)
	v_add3_u32 v31, v31, v33, v34
	v_lshlrev_b64_e32 v[30:31], 2, v[30:31]
	s_delay_alu instid0(VALU_DEP_1) | instskip(SKIP_1) | instid1(VALU_DEP_2)
	v_add_co_u32 v30, s4, s18, v30
	s_wait_alu 0xf1ff
	v_add_co_ci_u32_e64 v31, null, s19, v31, s4
	s_and_b32 s4, s2, vcc_lo
	s_wait_alu 0xfffe
	s_and_saveexec_b32 s5, s4
	s_cbranch_execz .LBB9_53
; %bb.52:                               ;   in Loop: Header=BB9_7 Depth=2
	v_add_co_u32 v32, s4, v30, v10
	s_wait_alu 0xf1ff
	v_add_co_ci_u32_e64 v33, null, v31, v11, s4
	global_load_b32 v34, v[32:33], off
	s_wait_loadcnt 0x0
	v_fmac_f32_e32 v34, s31, v50
	global_store_b32 v[32:33], v34, off
.LBB9_53:                               ;   in Loop: Header=BB9_7 Depth=2
	s_wait_alu 0xfffe
	s_or_b32 exec_lo, exec_lo, s5
	s_and_b32 s5, s3, vcc_lo
	s_wait_alu 0xfffe
	s_and_saveexec_b32 s4, s5
	s_cbranch_execz .LBB9_6
; %bb.54:                               ;   in Loop: Header=BB9_7 Depth=2
	v_lshlrev_b64_e32 v[32:33], 2, v[6:7]
	s_delay_alu instid0(VALU_DEP_1) | instskip(SKIP_1) | instid1(VALU_DEP_2)
	v_add_co_u32 v30, vcc_lo, v30, v32
	s_wait_alu 0xfffd
	v_add_co_ci_u32_e64 v31, null, v31, v33, vcc_lo
	global_load_b32 v32, v[30:31], off
	s_wait_loadcnt 0x0
	v_fmac_f32_e32 v32, s31, v29
	global_store_b32 v[30:31], v32, off
	s_branch .LBB9_6
.LBB9_55:
	s_endpgm
	.section	.rodata,"a",@progbits
	.p2align	6, 0x0
	.amdhsa_kernel _ZL30rocblas_trmm_outofplace_kernelIfLi32ELi2ELb1ELb0ELb1ELb1EfKffEv17rocblas_diagonal_iiT6_lPT7_lllS4_lllPT8_llli
		.amdhsa_group_segment_fixed_size 8192
		.amdhsa_private_segment_fixed_size 0
		.amdhsa_kernarg_size 384
		.amdhsa_user_sgpr_count 2
		.amdhsa_user_sgpr_dispatch_ptr 0
		.amdhsa_user_sgpr_queue_ptr 0
		.amdhsa_user_sgpr_kernarg_segment_ptr 1
		.amdhsa_user_sgpr_dispatch_id 0
		.amdhsa_user_sgpr_private_segment_size 0
		.amdhsa_wavefront_size32 1
		.amdhsa_uses_dynamic_stack 0
		.amdhsa_enable_private_segment 0
		.amdhsa_system_sgpr_workgroup_id_x 1
		.amdhsa_system_sgpr_workgroup_id_y 1
		.amdhsa_system_sgpr_workgroup_id_z 1
		.amdhsa_system_sgpr_workgroup_info 0
		.amdhsa_system_vgpr_workitem_id 1
		.amdhsa_next_free_vgpr 94
		.amdhsa_next_free_sgpr 54
		.amdhsa_reserve_vcc 1
		.amdhsa_float_round_mode_32 0
		.amdhsa_float_round_mode_16_64 0
		.amdhsa_float_denorm_mode_32 3
		.amdhsa_float_denorm_mode_16_64 3
		.amdhsa_fp16_overflow 0
		.amdhsa_workgroup_processor_mode 1
		.amdhsa_memory_ordered 1
		.amdhsa_forward_progress 1
		.amdhsa_inst_pref_size 28
		.amdhsa_round_robin_scheduling 0
		.amdhsa_exception_fp_ieee_invalid_op 0
		.amdhsa_exception_fp_denorm_src 0
		.amdhsa_exception_fp_ieee_div_zero 0
		.amdhsa_exception_fp_ieee_overflow 0
		.amdhsa_exception_fp_ieee_underflow 0
		.amdhsa_exception_fp_ieee_inexact 0
		.amdhsa_exception_int_div_zero 0
	.end_amdhsa_kernel
	.section	.text._ZL30rocblas_trmm_outofplace_kernelIfLi32ELi2ELb1ELb0ELb1ELb1EfKffEv17rocblas_diagonal_iiT6_lPT7_lllS4_lllPT8_llli,"axG",@progbits,_ZL30rocblas_trmm_outofplace_kernelIfLi32ELi2ELb1ELb0ELb1ELb1EfKffEv17rocblas_diagonal_iiT6_lPT7_lllS4_lllPT8_llli,comdat
.Lfunc_end9:
	.size	_ZL30rocblas_trmm_outofplace_kernelIfLi32ELi2ELb1ELb0ELb1ELb1EfKffEv17rocblas_diagonal_iiT6_lPT7_lllS4_lllPT8_llli, .Lfunc_end9-_ZL30rocblas_trmm_outofplace_kernelIfLi32ELi2ELb1ELb0ELb1ELb1EfKffEv17rocblas_diagonal_iiT6_lPT7_lllS4_lllPT8_llli
                                        ; -- End function
	.set _ZL30rocblas_trmm_outofplace_kernelIfLi32ELi2ELb1ELb0ELb1ELb1EfKffEv17rocblas_diagonal_iiT6_lPT7_lllS4_lllPT8_llli.num_vgpr, 94
	.set _ZL30rocblas_trmm_outofplace_kernelIfLi32ELi2ELb1ELb0ELb1ELb1EfKffEv17rocblas_diagonal_iiT6_lPT7_lllS4_lllPT8_llli.num_agpr, 0
	.set _ZL30rocblas_trmm_outofplace_kernelIfLi32ELi2ELb1ELb0ELb1ELb1EfKffEv17rocblas_diagonal_iiT6_lPT7_lllS4_lllPT8_llli.numbered_sgpr, 54
	.set _ZL30rocblas_trmm_outofplace_kernelIfLi32ELi2ELb1ELb0ELb1ELb1EfKffEv17rocblas_diagonal_iiT6_lPT7_lllS4_lllPT8_llli.num_named_barrier, 0
	.set _ZL30rocblas_trmm_outofplace_kernelIfLi32ELi2ELb1ELb0ELb1ELb1EfKffEv17rocblas_diagonal_iiT6_lPT7_lllS4_lllPT8_llli.private_seg_size, 0
	.set _ZL30rocblas_trmm_outofplace_kernelIfLi32ELi2ELb1ELb0ELb1ELb1EfKffEv17rocblas_diagonal_iiT6_lPT7_lllS4_lllPT8_llli.uses_vcc, 1
	.set _ZL30rocblas_trmm_outofplace_kernelIfLi32ELi2ELb1ELb0ELb1ELb1EfKffEv17rocblas_diagonal_iiT6_lPT7_lllS4_lllPT8_llli.uses_flat_scratch, 0
	.set _ZL30rocblas_trmm_outofplace_kernelIfLi32ELi2ELb1ELb0ELb1ELb1EfKffEv17rocblas_diagonal_iiT6_lPT7_lllS4_lllPT8_llli.has_dyn_sized_stack, 0
	.set _ZL30rocblas_trmm_outofplace_kernelIfLi32ELi2ELb1ELb0ELb1ELb1EfKffEv17rocblas_diagonal_iiT6_lPT7_lllS4_lllPT8_llli.has_recursion, 0
	.set _ZL30rocblas_trmm_outofplace_kernelIfLi32ELi2ELb1ELb0ELb1ELb1EfKffEv17rocblas_diagonal_iiT6_lPT7_lllS4_lllPT8_llli.has_indirect_call, 0
	.section	.AMDGPU.csdata,"",@progbits
; Kernel info:
; codeLenInByte = 3584
; TotalNumSgprs: 56
; NumVgprs: 94
; ScratchSize: 0
; MemoryBound: 0
; FloatMode: 240
; IeeeMode: 1
; LDSByteSize: 8192 bytes/workgroup (compile time only)
; SGPRBlocks: 0
; VGPRBlocks: 11
; NumSGPRsForWavesPerEU: 56
; NumVGPRsForWavesPerEU: 94
; Occupancy: 16
; WaveLimiterHint : 0
; COMPUTE_PGM_RSRC2:SCRATCH_EN: 0
; COMPUTE_PGM_RSRC2:USER_SGPR: 2
; COMPUTE_PGM_RSRC2:TRAP_HANDLER: 0
; COMPUTE_PGM_RSRC2:TGID_X_EN: 1
; COMPUTE_PGM_RSRC2:TGID_Y_EN: 1
; COMPUTE_PGM_RSRC2:TGID_Z_EN: 1
; COMPUTE_PGM_RSRC2:TIDIG_COMP_CNT: 1
	.section	.text._ZL30rocblas_trmm_outofplace_kernelIfLi32ELi2ELb1ELb1ELb1ELb1EPKfS0_fEv17rocblas_diagonal_iiT6_lPT7_lllS5_lllPT8_llli,"axG",@progbits,_ZL30rocblas_trmm_outofplace_kernelIfLi32ELi2ELb1ELb1ELb1ELb1EPKfS0_fEv17rocblas_diagonal_iiT6_lPT7_lllS5_lllPT8_llli,comdat
	.globl	_ZL30rocblas_trmm_outofplace_kernelIfLi32ELi2ELb1ELb1ELb1ELb1EPKfS0_fEv17rocblas_diagonal_iiT6_lPT7_lllS5_lllPT8_llli ; -- Begin function _ZL30rocblas_trmm_outofplace_kernelIfLi32ELi2ELb1ELb1ELb1ELb1EPKfS0_fEv17rocblas_diagonal_iiT6_lPT7_lllS5_lllPT8_llli
	.p2align	8
	.type	_ZL30rocblas_trmm_outofplace_kernelIfLi32ELi2ELb1ELb1ELb1ELb1EPKfS0_fEv17rocblas_diagonal_iiT6_lPT7_lllS5_lllPT8_llli,@function
_ZL30rocblas_trmm_outofplace_kernelIfLi32ELi2ELb1ELb1ELb1ELb1EPKfS0_fEv17rocblas_diagonal_iiT6_lPT7_lllS5_lllPT8_llli: ; @_ZL30rocblas_trmm_outofplace_kernelIfLi32ELi2ELb1ELb1ELb1ELb1EPKfS0_fEv17rocblas_diagonal_iiT6_lPT7_lllS5_lllPT8_llli
; %bb.0:
	s_load_b32 s11, s[0:1], 0x80
	s_lshr_b32 s34, ttmp7, 16
	s_wait_kmcnt 0x0
	s_cmp_ge_u32 s34, s11
	s_cbranch_scc1 .LBB10_55
; %bb.1:
	s_clause 0x3
	s_load_b96 s[8:10], s[0:1], 0x0
	s_load_b256 s[36:43], s[0:1], 0x50
	s_load_b512 s[12:27], s[0:1], 0x10
	s_load_b128 s[28:31], s[0:1], 0x70
	s_add_nc_u64 s[44:45], s[0:1], 0x88
	v_bfe_u32 v36, v0, 10, 10
	v_dual_mov_b32 v38, 0 :: v_dual_and_b32 v37, 0x3ff, v0
	s_and_b32 s33, ttmp7, 0xffff
	v_mov_b32_e32 v44, 1.0
	s_delay_alu instid0(VALU_DEP_3) | instskip(NEXT) | instid1(VALU_DEP_3)
	v_lshlrev_b32_e32 v0, 7, v36
	v_lshlrev_b32_e32 v39, 2, v37
	v_lshl_add_u32 v43, s33, 5, v36
	s_mov_b32 s35, 0
	s_delay_alu instid0(VALU_DEP_3) | instskip(NEXT) | instid1(VALU_DEP_3)
	v_add_nc_u32_e32 v40, 0x1000, v0
	v_add_nc_u32_e32 v41, v39, v0
	v_add_nc_u32_e32 v45, 0x400, v39
	v_add_nc_u32_e32 v46, 0x800, v39
	v_add_nc_u32_e32 v47, 0xc00, v39
	s_wait_kmcnt 0x0
	s_add_co_i32 s2, s10, -1
	v_add_nc_u32_e32 v42, v40, v39
	s_ashr_i32 s0, s2, 31
	s_mov_b32 s49, s10
	s_lshr_b32 s0, s0, 27
	s_delay_alu instid0(SALU_CYCLE_1)
	s_add_co_i32 s2, s2, s0
	s_lshl_b64 s[0:1], s[42:43], 2
	s_ashr_i32 s48, s2, 5
	s_mov_b32 s42, s9
	s_cmp_le_i32 s33, s48
	s_add_nc_u64 s[40:41], s[40:41], s[0:1]
	s_cselect_b32 s50, -1, 0
	s_lshl_b32 s51, ttmp9, 5
	s_cmp_gt_i32 ttmp9, -1
	v_add_nc_u32_e32 v0, s51, v37
	s_cselect_b32 s52, -1, 0
	s_cmp_eq_u32 s8, 0x84
	s_cselect_b32 s53, -1, 0
	s_delay_alu instid0(VALU_DEP_1) | instskip(SKIP_3) | instid1(VALU_DEP_4)
	v_ashrrev_i32_e32 v1, 31, v0
	v_add_co_u32 v2, vcc_lo, v0, 16
	v_mul_lo_u32 v21, s21, v0
	v_mad_co_u64_u32 v[14:15], null, s20, v0, 0
	v_add_co_ci_u32_e64 v3, null, 0, v1, vcc_lo
	v_sub_co_u32 v4, vcc_lo, v0, v36
	s_wait_alu 0xfffd
	v_subrev_co_ci_u32_e64 v5, null, 0, v1, vcc_lo
	v_lshlrev_b64_e32 v[8:9], 2, v[0:1]
	s_delay_alu instid0(VALU_DEP_3)
	v_add_co_u32 v6, vcc_lo, v4, 16
	v_mul_lo_u32 v20, s20, v1
	s_wait_alu 0xfffd
	v_add_co_ci_u32_e64 v7, null, 0, v5, vcc_lo
	v_add_co_u32 v10, vcc_lo, v4, -16
	s_lshl_b64 s[4:5], s[26:27], 2
	s_wait_alu 0xfffd
	v_add_co_ci_u32_e64 v11, null, -1, v5, vcc_lo
	v_add_co_u32 v12, vcc_lo, v8, 64
	s_add_nc_u64 s[4:5], s[24:25], s[4:5]
	s_wait_alu 0xfffd
	v_add_co_ci_u32_e64 v13, null, 0, v9, vcc_lo
	v_add_co_u32 v22, s4, s4, v39
	v_add3_u32 v15, v15, v20, v21
	s_wait_alu 0xf1ff
	v_add_co_ci_u32_e64 v23, null, s5, 0, s4
	s_lshl_b64 s[4:5], s[18:19], 2
	v_mul_lo_u32 v24, s20, v13
	v_mul_lo_u32 v25, s21, v12
	s_wait_alu 0xfffe
	v_mad_co_u64_u32 v[16:17], null, s20, v12, s[4:5]
	v_lshlrev_b64_e32 v[14:15], 2, v[14:15]
	v_add_co_u32 v12, vcc_lo, v22, 64
	v_lshlrev_b32_e32 v20, 2, v36
	s_wait_alu 0xfffd
	v_add_co_ci_u32_e64 v13, null, 0, v23, vcc_lo
	v_add3_u32 v17, v25, v17, v24
	v_add_co_u32 v14, vcc_lo, v14, s4
	v_add_nc_u32_e32 v18, 16, v0
	s_wait_alu 0xfffd
	v_add_co_ci_u32_e64 v15, null, s5, v15, vcc_lo
	v_add_co_u32 v16, vcc_lo, v16, v20
	s_wait_alu 0xfffd
	v_add_co_ci_u32_e64 v17, null, 0, v17, vcc_lo
	v_add_co_u32 v20, vcc_lo, v14, v20
	v_ashrrev_i32_e32 v19, 31, v18
	s_wait_alu 0xfffd
	v_add_co_ci_u32_e64 v21, null, 0, v15, vcc_lo
	v_add_co_u32 v14, vcc_lo, s16, v16
	s_ashr_i32 s43, s9, 31
	s_wait_alu 0xfffd
	v_add_co_ci_u32_e64 v15, null, s17, v17, vcc_lo
	v_add_co_u32 v16, vcc_lo, s16, v20
	v_cmp_gt_i32_e64 s2, s9, v18
	v_cmp_le_i64_e64 s3, s[42:43], v[2:3]
	v_lshlrev_b64_e32 v[18:19], 2, v[18:19]
	v_cmp_le_i32_e64 s0, s9, v0
	v_cmp_gt_i32_e64 s1, s9, v0
	s_wait_alu 0xfffd
	v_add_co_ci_u32_e64 v17, null, s17, v21, vcc_lo
	s_ashr_i32 s54, s10, 31
	s_add_nc_u64 s[46:47], s[42:43], -16
	s_lshl_b64 s[18:19], s[38:39], 2
	s_lshl_b64 s[16:17], s[36:37], 2
	;; [unrolled: 1-line block ×3, first 2 shown]
	s_branch .LBB10_4
.LBB10_2:                               ;   in Loop: Header=BB10_4 Depth=1
	s_add_co_i32 s34, s34, 0x10000
	s_wait_alu 0xfffe
	s_cmp_ge_u32 s34, s11
	s_cselect_b32 s4, -1, 0
.LBB10_3:                               ;   in Loop: Header=BB10_4 Depth=1
	s_wait_alu 0xfffe
	s_and_b32 vcc_lo, exec_lo, s4
	s_wait_alu 0xfffe
	s_cbranch_vccnz .LBB10_55
.LBB10_4:                               ; =>This Loop Header: Depth=1
                                        ;     Child Loop BB10_8 Depth 2
                                        ;       Child Loop BB10_11 Depth 3
	s_mul_u64 s[4:5], s[14:15], s[34:35]
	s_wait_alu 0xfffe
	s_lshl_b64 s[4:5], s[4:5], 2
	s_wait_alu 0xfffe
	s_add_nc_u64 s[4:5], s[12:13], s[4:5]
	global_load_b32 v48, v38, s[4:5]
	s_mov_b32 s4, -1
	s_wait_loadcnt 0x0
	v_cmp_eq_f32_e32 vcc_lo, 0, v48
	s_cbranch_vccnz .LBB10_3
; %bb.5:                                ;   in Loop: Header=BB10_4 Depth=1
	s_and_not1_b32 vcc_lo, exec_lo, s50
	s_wait_alu 0xfffe
	s_cbranch_vccnz .LBB10_2
; %bb.6:                                ;   in Loop: Header=BB10_4 Depth=1
	s_load_b32 s9, s[44:45], 0x4
	v_mad_co_u64_u32 v[20:21], null, s18, s34, v[12:13]
	v_mad_co_u64_u32 v[22:23], null, s20, s34, v[14:15]
	;; [unrolled: 1-line block ×3, first 2 shown]
	s_mul_i32 s6, s21, s34
	s_mul_u64 s[4:5], s[30:31], s[34:35]
	s_mov_b32 s39, s33
	s_wait_alu 0xfffe
	s_lshl_b64 s[4:5], s[4:5], 2
	v_mad_co_u64_u32 v[26:27], null, s19, s34, v[21:22]
	v_add_nc_u32_e32 v23, s6, v23
	v_add_nc_u32_e32 v25, s6, v25
	s_wait_alu 0xfffe
	s_add_nc_u64 s[22:23], s[40:41], s[4:5]
	s_delay_alu instid0(VALU_DEP_3)
	v_dual_mov_b32 v21, v26 :: v_dual_mov_b32 v26, v43
	s_wait_kmcnt 0x0
	s_lshl_b32 s38, s9, 5
	s_branch .LBB10_8
.LBB10_7:                               ;   in Loop: Header=BB10_8 Depth=2
	s_wait_alu 0xfffe
	s_or_b32 exec_lo, exec_lo, s4
	v_add_nc_u32_e32 v26, s38, v26
	s_add_co_i32 s39, s9, s39
	s_wait_alu 0xfffe
	s_cmp_gt_i32 s39, s48
	s_cbranch_scc1 .LBB10_2
.LBB10_8:                               ;   Parent Loop BB10_4 Depth=1
                                        ; =>  This Loop Header: Depth=2
                                        ;       Child Loop BB10_11 Depth 3
	v_lshl_add_u32 v49, s39, 5, v36
	v_dual_mov_b32 v53, 0 :: v_dual_mov_b32 v50, 0
	v_mov_b32_e32 v51, 0
	v_mov_b32_e32 v27, 0
	s_delay_alu instid0(VALU_DEP_4)
	v_ashrrev_i32_e32 v52, 31, v49
	s_and_not1_b32 vcc_lo, exec_lo, s52
	s_wait_alu 0xfffe
	s_cbranch_vccnz .LBB10_47
; %bb.9:                                ;   in Loop: Header=BB10_8 Depth=2
	v_ashrrev_i32_e32 v27, 31, v26
	v_mad_co_u64_u32 v[28:29], null, s16, v26, v[20:21]
	v_mul_lo_u32 v34, s17, v26
	v_mov_b32_e32 v51, 0
	s_delay_alu instid0(VALU_DEP_4) | instskip(SKIP_4) | instid1(VALU_DEP_3)
	v_lshlrev_b64_e32 v[30:31], 2, v[26:27]
	v_mul_lo_u32 v35, s16, v27
	v_dual_mov_b32 v27, 0 :: v_dual_mov_b32 v50, 0
	s_mov_b64 s[24:25], 0
	s_mov_b64 s[26:27], 0
	v_add_co_u32 v30, vcc_lo, v30, 64
	s_wait_alu 0xfffd
	v_add_co_ci_u32_e64 v31, null, 0, v31, vcc_lo
	v_sub_co_u32 v32, vcc_lo, s49, v49
	s_delay_alu instid0(VALU_DEP_3) | instskip(NEXT) | instid1(VALU_DEP_3)
	v_mul_lo_u32 v54, s37, v30
	v_mul_lo_u32 v53, s36, v31
	v_mad_co_u64_u32 v[30:31], null, s36, v30, v[20:21]
	s_wait_alu 0xfffd
	v_sub_co_ci_u32_e64 v33, null, s54, v52, vcc_lo
	v_add3_u32 v29, v34, v29, v35
	s_delay_alu instid0(VALU_DEP_2) | instskip(NEXT) | instid1(VALU_DEP_4)
	v_cmp_lt_i64_e64 s4, 16, v[32:33]
	v_add3_u32 v31, v54, v31, v53
	v_mov_b32_e32 v53, 0
	v_cmp_lt_i64_e32 vcc_lo, 0, v[32:33]
	s_branch .LBB10_11
.LBB10_10:                              ;   in Loop: Header=BB10_11 Depth=3
	s_wait_alu 0xfffe
	s_or_b32 exec_lo, exec_lo, s5
	s_wait_dscnt 0x0
	s_barrier_signal -1
	s_barrier_wait -1
	global_inv scope:SCOPE_SE
	ds_load_b128 v[32:35], v40
	ds_load_2addr_b32 v[74:75], v39 offset1:16
	ds_load_b128 v[54:57], v40 offset:2048
	ds_load_2addr_b32 v[76:77], v39 offset0:32 offset1:48
	ds_load_b128 v[58:61], v40 offset:16
	ds_load_2addr_b32 v[78:79], v39 offset0:64 offset1:80
	ds_load_b128 v[62:65], v40 offset:32
	ds_load_b128 v[66:69], v40 offset:48
	ds_load_2addr_b32 v[80:81], v39 offset0:96 offset1:112
	ds_load_2addr_b32 v[82:83], v39 offset0:128 offset1:144
	ds_load_b128 v[70:73], v40 offset:2064
	ds_load_2addr_b32 v[84:85], v39 offset0:160 offset1:176
	ds_load_2addr_b32 v[86:87], v39 offset0:192 offset1:208
	;; [unrolled: 1-line block ×3, first 2 shown]
	ds_load_2addr_b32 v[90:91], v45 offset1:16
	ds_load_2addr_b32 v[92:93], v45 offset0:32 offset1:48
	s_add_nc_u64 s[26:27], s[26:27], 32
	s_add_nc_u64 s[24:25], s[24:25], 0x80
	s_wait_alu 0xfffe
	s_sub_co_i32 s5, s26, 32
	s_wait_alu 0xfffe
	s_cmp_ge_i32 s5, s51
	s_wait_dscnt 0xd
	v_dual_fmac_f32 v51, v75, v32 :: v_dual_fmac_f32 v50, v74, v54
	s_wait_dscnt 0xc
	s_delay_alu instid0(VALU_DEP_1)
	v_dual_fmac_f32 v53, v74, v32 :: v_dual_fmac_f32 v50, v76, v55
	v_fmac_f32_e32 v27, v75, v54
	ds_load_2addr_b32 v[74:75], v45 offset0:64 offset1:80
	s_wait_dscnt 0xb
	v_dual_fmac_f32 v50, v78, v56 :: v_dual_fmac_f32 v27, v77, v55
	s_wait_dscnt 0x8
	s_delay_alu instid0(VALU_DEP_1) | instskip(SKIP_2) | instid1(VALU_DEP_2)
	v_fmac_f32_e32 v50, v80, v57
	v_fmac_f32_e32 v53, v76, v33
	s_wait_dscnt 0x6
	v_dual_fmac_f32 v27, v79, v56 :: v_dual_fmac_f32 v50, v82, v70
	v_fmac_f32_e32 v51, v77, v33
	ds_load_2addr_b32 v[76:77], v45 offset0:96 offset1:112
	s_wait_dscnt 0x6
	v_dual_fmac_f32 v27, v81, v57 :: v_dual_fmac_f32 v50, v84, v71
	s_wait_dscnt 0x5
	s_delay_alu instid0(VALU_DEP_1)
	v_dual_fmac_f32 v51, v79, v34 :: v_dual_fmac_f32 v50, v86, v72
	v_fmac_f32_e32 v53, v78, v34
	ds_load_2addr_b32 v[78:79], v45 offset0:128 offset1:144
	s_wait_dscnt 0x5
	v_dual_fmac_f32 v51, v81, v35 :: v_dual_fmac_f32 v50, v88, v73
	v_fmac_f32_e32 v53, v80, v35
	ds_load_b128 v[32:35], v40 offset:2080
	ds_load_b128 v[54:57], v40 offset:2096
	ds_load_2addr_b32 v[80:81], v45 offset0:160 offset1:176
	s_wait_dscnt 0x2
	v_fmac_f32_e32 v50, v90, v32
	s_delay_alu instid0(VALU_DEP_1) | instskip(NEXT) | instid1(VALU_DEP_1)
	v_fmac_f32_e32 v50, v92, v33
	v_fmac_f32_e32 v50, v74, v34
	s_delay_alu instid0(VALU_DEP_1) | instskip(SKIP_1) | instid1(VALU_DEP_1)
	v_dual_fmac_f32 v50, v76, v35 :: v_dual_fmac_f32 v27, v83, v70
	s_wait_dscnt 0x1
	v_dual_fmac_f32 v50, v78, v54 :: v_dual_fmac_f32 v27, v85, v71
	s_wait_dscnt 0x0
	s_delay_alu instid0(VALU_DEP_1) | instskip(NEXT) | instid1(VALU_DEP_2)
	v_dual_fmac_f32 v53, v82, v58 :: v_dual_fmac_f32 v50, v80, v55
	v_fmac_f32_e32 v27, v87, v72
	v_fmac_f32_e32 v51, v83, v58
	ds_load_2addr_b32 v[82:83], v45 offset0:192 offset1:208
	v_fmac_f32_e32 v27, v89, v73
	ds_load_b128 v[70:73], v40 offset:2112
	v_fmac_f32_e32 v53, v84, v59
	v_fmac_f32_e32 v27, v91, v32
	s_delay_alu instid0(VALU_DEP_1) | instskip(SKIP_1) | instid1(VALU_DEP_1)
	v_fmac_f32_e32 v27, v93, v33
	s_wait_dscnt 0x1
	v_dual_fmac_f32 v27, v75, v34 :: v_dual_fmac_f32 v50, v82, v56
	v_fmac_f32_e32 v51, v85, v59
	ds_load_2addr_b32 v[84:85], v45 offset0:224 offset1:240
	v_fmac_f32_e32 v27, v77, v35
	ds_load_b128 v[32:35], v40 offset:80
	v_fmac_f32_e32 v27, v79, v54
	s_delay_alu instid0(VALU_DEP_1) | instskip(SKIP_1) | instid1(VALU_DEP_1)
	v_fmac_f32_e32 v27, v81, v55
	s_wait_dscnt 0x1
	v_dual_fmac_f32 v27, v83, v56 :: v_dual_fmac_f32 v50, v84, v57
	s_delay_alu instid0(VALU_DEP_1)
	v_fmac_f32_e32 v27, v85, v57
	ds_load_b128 v[54:57], v40 offset:2128
	v_fmac_f32_e32 v53, v86, v60
	v_fmac_f32_e32 v51, v87, v60
	ds_load_2addr_b32 v[86:87], v46 offset1:16
	v_fmac_f32_e32 v53, v88, v61
	v_fmac_f32_e32 v51, v89, v61
	ds_load_b128 v[58:61], v40 offset:64
	v_fmac_f32_e32 v53, v90, v62
	v_fmac_f32_e32 v51, v91, v62
	s_delay_alu instid0(VALU_DEP_2) | instskip(NEXT) | instid1(VALU_DEP_2)
	v_fmac_f32_e32 v53, v92, v63
	v_fmac_f32_e32 v51, v93, v63
	ds_load_2addr_b32 v[62:63], v46 offset0:32 offset1:48
	v_fmac_f32_e32 v53, v74, v64
	v_fmac_f32_e32 v51, v75, v64
	ds_load_2addr_b32 v[74:75], v46 offset0:96 offset1:112
	s_wait_dscnt 0x3
	v_fmac_f32_e32 v50, v86, v70
	v_fmac_f32_e32 v27, v87, v70
	;; [unrolled: 1-line block ×4, first 2 shown]
	ds_load_2addr_b32 v[64:65], v46 offset0:64 offset1:80
	ds_load_2addr_b32 v[76:77], v46 offset0:224 offset1:240
	v_fmac_f32_e32 v53, v78, v66
	v_fmac_f32_e32 v51, v79, v66
	s_delay_alu instid0(VALU_DEP_2) | instskip(NEXT) | instid1(VALU_DEP_2)
	v_fmac_f32_e32 v53, v80, v67
	v_fmac_f32_e32 v51, v81, v67
	ds_load_2addr_b32 v[66:67], v46 offset0:128 offset1:144
	s_wait_dscnt 0x4
	v_fmac_f32_e32 v50, v62, v71
	v_fmac_f32_e32 v27, v63, v71
	;; [unrolled: 1-line block ×4, first 2 shown]
	ds_load_2addr_b32 v[70:71], v46 offset0:192 offset1:208
	v_fmac_f32_e32 v53, v84, v69
	v_fmac_f32_e32 v51, v85, v69
	ds_load_2addr_b32 v[68:69], v46 offset0:160 offset1:176
	s_wait_dscnt 0x4
	v_fmac_f32_e32 v50, v64, v72
	v_fmac_f32_e32 v27, v65, v72
	;; [unrolled: 1-line block ×3, first 2 shown]
	s_delay_alu instid0(VALU_DEP_3) | instskip(NEXT) | instid1(VALU_DEP_3)
	v_dual_fmac_f32 v51, v87, v58 :: v_dual_fmac_f32 v50, v74, v73
	v_fmac_f32_e32 v27, v75, v73
	s_delay_alu instid0(VALU_DEP_3) | instskip(SKIP_1) | instid1(VALU_DEP_3)
	v_fmac_f32_e32 v53, v62, v59
	s_wait_dscnt 0x2
	v_dual_fmac_f32 v51, v63, v59 :: v_dual_fmac_f32 v50, v66, v54
	s_delay_alu instid0(VALU_DEP_3) | instskip(NEXT) | instid1(VALU_DEP_3)
	v_fmac_f32_e32 v27, v67, v54
	v_fmac_f32_e32 v53, v64, v60
	s_delay_alu instid0(VALU_DEP_3) | instskip(NEXT) | instid1(VALU_DEP_2)
	v_fmac_f32_e32 v51, v65, v60
	v_fmac_f32_e32 v53, v74, v61
	s_delay_alu instid0(VALU_DEP_2)
	v_fmac_f32_e32 v51, v75, v61
	ds_load_b128 v[58:61], v40 offset:96
	ds_load_2addr_b32 v[72:73], v47 offset1:16
	ds_load_b128 v[62:65], v40 offset:2144
	s_wait_dscnt 0x3
	v_dual_fmac_f32 v50, v68, v55 :: v_dual_fmac_f32 v53, v66, v32
	v_fmac_f32_e32 v51, v67, v32
	ds_load_2addr_b32 v[66:67], v47 offset0:32 offset1:48
	v_dual_fmac_f32 v27, v69, v55 :: v_dual_fmac_f32 v50, v70, v56
	v_fmac_f32_e32 v53, v68, v33
	v_fmac_f32_e32 v51, v69, v33
	ds_load_2addr_b32 v[68:69], v47 offset0:64 offset1:80
	v_dual_fmac_f32 v27, v71, v56 :: v_dual_fmac_f32 v50, v76, v57
	v_fmac_f32_e32 v53, v70, v34
	v_fmac_f32_e32 v51, v71, v34
	ds_load_2addr_b32 v[70:71], v47 offset0:96 offset1:112
	v_fmac_f32_e32 v27, v77, v57
	v_fmac_f32_e32 v53, v76, v35
	;; [unrolled: 1-line block ×3, first 2 shown]
	ds_load_b128 v[32:35], v40 offset:112
	ds_load_2addr_b32 v[74:75], v47 offset0:128 offset1:144
	ds_load_b128 v[54:57], v40 offset:2160
	s_wait_dscnt 0x6
	v_fmac_f32_e32 v50, v72, v62
	v_fmac_f32_e32 v53, v72, v58
	v_fmac_f32_e32 v51, v73, v58
	v_fmac_f32_e32 v27, v73, v62
	ds_load_2addr_b32 v[72:73], v47 offset0:160 offset1:176
	s_wait_dscnt 0x6
	v_fmac_f32_e32 v50, v66, v63
	v_fmac_f32_e32 v53, v66, v59
	v_fmac_f32_e32 v51, v67, v59
	v_fmac_f32_e32 v27, v67, v63
	ds_load_2addr_b32 v[58:59], v47 offset0:192 offset1:208
	;; [unrolled: 6-line block ×3, first 2 shown]
	s_wait_dscnt 0x6
	v_fmac_f32_e32 v50, v70, v65
	v_fmac_f32_e32 v53, v70, v61
	;; [unrolled: 1-line block ×4, first 2 shown]
	s_wait_loadcnt_dscnt 0x0
	v_fmac_f32_e32 v50, v74, v54
	v_fmac_f32_e32 v53, v74, v32
	;; [unrolled: 1-line block ×4, first 2 shown]
	s_barrier_signal -1
	v_fmac_f32_e32 v50, v72, v55
	v_fmac_f32_e32 v53, v72, v33
	;; [unrolled: 1-line block ×4, first 2 shown]
	s_barrier_wait -1
	v_fmac_f32_e32 v50, v58, v56
	v_fmac_f32_e32 v53, v58, v34
	v_fmac_f32_e32 v51, v59, v34
	v_fmac_f32_e32 v27, v59, v56
	global_inv scope:SCOPE_SE
	v_fmac_f32_e32 v50, v62, v57
	v_fmac_f32_e32 v53, v62, v35
	;; [unrolled: 1-line block ×4, first 2 shown]
	s_cbranch_scc1 .LBB10_47
.LBB10_11:                              ;   Parent Loop BB10_4 Depth=1
                                        ;     Parent Loop BB10_8 Depth=2
                                        ; =>    This Inner Loop Header: Depth=3
	s_wait_alu 0xfffe
	v_add_co_u32 v34, s5, v36, s26
	s_wait_alu 0xf1ff
	v_add_co_ci_u32_e64 v35, null, 0, s27, s5
	v_cmp_eq_u64_e64 s7, s[26:27], v[4:5]
                                        ; implicit-def: $vgpr54
	s_delay_alu instid0(VALU_DEP_2)
	v_cmp_le_i64_e64 s6, s[42:43], v[34:35]
	v_cmp_gt_i64_e64 s5, v[34:35], v[0:1]
	s_and_b32 s55, s53, s7
	v_add_co_u32 v32, s7, v24, s24
	s_wait_alu 0xf1ff
	v_add_co_ci_u32_e64 v33, null, s25, v25, s7
	s_or_b32 s8, s6, s5
	s_wait_alu 0xfffe
	s_or_b32 s7, s8, s55
	s_wait_alu 0xfffe
	s_nor_b32 s7, s0, s7
	s_wait_alu 0xfffe
	s_and_saveexec_b32 s8, s7
	s_wait_alu 0xfffe
	s_xor_b32 s7, exec_lo, s8
	s_cbranch_execz .LBB10_13
; %bb.12:                               ;   in Loop: Header=BB10_11 Depth=3
	global_load_b32 v54, v[32:33], off
.LBB10_13:                              ;   in Loop: Header=BB10_11 Depth=3
	s_wait_alu 0xfffe
	s_and_not1_saveexec_b32 s7, s7
	s_cbranch_execz .LBB10_15
; %bb.14:                               ;   in Loop: Header=BB10_11 Depth=3
	s_wait_loadcnt 0x0
	v_cndmask_b32_e64 v54, 0, 1.0, s55
.LBB10_15:                              ;   in Loop: Header=BB10_11 Depth=3
	s_wait_alu 0xfffe
	s_or_b32 exec_lo, exec_lo, s7
	v_cmp_eq_u64_e64 s7, s[26:27], v[6:7]
	v_cmp_lt_i64_e64 s8, v[2:3], v[34:35]
	s_wait_loadcnt 0x0
	ds_store_b32 v41, v54
	s_and_b32 s7, s53, s7
	s_or_b32 s6, s6, s8
	s_wait_alu 0xfffe
	s_or_b32 s6, s6, s7
	s_wait_alu 0xfffe
	s_nor_b32 s6, s3, s6
	s_wait_alu 0xfffe
	s_and_saveexec_b32 s8, s6
	s_wait_alu 0xfffe
	s_xor_b32 s8, exec_lo, s8
	s_cbranch_execz .LBB10_17
; %bb.16:                               ;   in Loop: Header=BB10_11 Depth=3
	v_add_co_u32 v54, s6, v22, s24
	s_wait_alu 0xf1ff
	v_add_co_ci_u32_e64 v55, null, s25, v23, s6
	global_load_b32 v54, v[54:55], off
	s_wait_loadcnt 0x0
	ds_store_b32 v41, v54 offset:64
.LBB10_17:                              ;   in Loop: Header=BB10_11 Depth=3
	s_wait_alu 0xfffe
	s_and_not1_saveexec_b32 s6, s8
	s_cbranch_execz .LBB10_23
; %bb.18:                               ;   in Loop: Header=BB10_11 Depth=3
	s_xor_b32 s7, s7, -1
	s_wait_alu 0xfffe
	s_and_saveexec_b32 s8, s7
	s_wait_alu 0xfffe
	s_xor_b32 s7, exec_lo, s8
; %bb.19:                               ;   in Loop: Header=BB10_11 Depth=3
	ds_store_b32 v41, v38 offset:64
; %bb.20:                               ;   in Loop: Header=BB10_11 Depth=3
	s_wait_alu 0xfffe
	s_and_not1_saveexec_b32 s7, s7
; %bb.21:                               ;   in Loop: Header=BB10_11 Depth=3
	ds_store_b32 v41, v44 offset:64
; %bb.22:                               ;   in Loop: Header=BB10_11 Depth=3
	s_wait_alu 0xfffe
	s_or_b32 exec_lo, exec_lo, s7
.LBB10_23:                              ;   in Loop: Header=BB10_11 Depth=3
	s_wait_alu 0xfffe
	s_or_b32 exec_lo, exec_lo, s6
	v_add_co_u32 v34, s6, v34, 16
	s_wait_alu 0xf1ff
	v_add_co_ci_u32_e64 v35, null, 0, v35, s6
	v_cmp_eq_u64_e64 s7, s[26:27], v[10:11]
	s_delay_alu instid0(VALU_DEP_2)
	v_cmp_le_i64_e64 s6, s[42:43], v[34:35]
	v_cmp_gt_i64_e64 s8, v[34:35], v[0:1]
                                        ; implicit-def: $vgpr34
	s_and_b32 s7, s53, s7
	s_or_b32 s8, s6, s8
	s_wait_alu 0xfffe
	s_or_b32 s8, s8, s7
	s_wait_alu 0xfffe
	s_nor_b32 s8, s0, s8
	s_wait_alu 0xfffe
	s_and_saveexec_b32 s56, s8
	s_delay_alu instid0(SALU_CYCLE_1)
	s_xor_b32 s8, exec_lo, s56
	s_cbranch_execz .LBB10_25
; %bb.24:                               ;   in Loop: Header=BB10_11 Depth=3
	global_load_b32 v34, v[32:33], off offset:64
.LBB10_25:                              ;   in Loop: Header=BB10_11 Depth=3
	s_wait_alu 0xfffe
	s_and_not1_saveexec_b32 s8, s8
	s_cbranch_execz .LBB10_27
; %bb.26:                               ;   in Loop: Header=BB10_11 Depth=3
	s_wait_loadcnt 0x0
	v_cndmask_b32_e64 v34, 0, 1.0, s7
.LBB10_27:                              ;   in Loop: Header=BB10_11 Depth=3
	s_wait_alu 0xfffe
	s_or_b32 exec_lo, exec_lo, s8
	s_or_b32 s5, s6, s5
	s_wait_loadcnt 0x0
	ds_store_b32 v41, v34 offset:2048
	s_wait_alu 0xfffe
	s_or_b32 s5, s5, s55
	s_wait_alu 0xfffe
	s_nor_b32 s5, s3, s5
	s_wait_alu 0xfffe
	s_and_saveexec_b32 s6, s5
	s_wait_alu 0xfffe
	s_xor_b32 s6, exec_lo, s6
	s_cbranch_execz .LBB10_29
; %bb.28:                               ;   in Loop: Header=BB10_11 Depth=3
	v_add_co_u32 v32, s5, v22, s24
	s_wait_alu 0xf1ff
	v_add_co_ci_u32_e64 v33, null, s25, v23, s5
	global_load_b32 v32, v[32:33], off offset:64
	s_wait_loadcnt 0x0
	ds_store_b32 v41, v32 offset:2112
.LBB10_29:                              ;   in Loop: Header=BB10_11 Depth=3
	s_wait_alu 0xfffe
	s_and_not1_saveexec_b32 s5, s6
	s_cbranch_execz .LBB10_35
; %bb.30:                               ;   in Loop: Header=BB10_11 Depth=3
	s_xor_b32 s6, s55, -1
	s_wait_alu 0xfffe
	s_and_saveexec_b32 s7, s6
	s_wait_alu 0xfffe
	s_xor_b32 s6, exec_lo, s7
; %bb.31:                               ;   in Loop: Header=BB10_11 Depth=3
	ds_store_b32 v41, v38 offset:2112
; %bb.32:                               ;   in Loop: Header=BB10_11 Depth=3
	s_wait_alu 0xfffe
	s_and_not1_saveexec_b32 s6, s6
; %bb.33:                               ;   in Loop: Header=BB10_11 Depth=3
	ds_store_b32 v41, v44 offset:2112
; %bb.34:                               ;   in Loop: Header=BB10_11 Depth=3
	s_wait_alu 0xfffe
	s_or_b32 exec_lo, exec_lo, s6
.LBB10_35:                              ;   in Loop: Header=BB10_11 Depth=3
	s_wait_alu 0xfffe
	s_or_b32 exec_lo, exec_lo, s5
	v_add_co_u32 v34, s5, v37, s26
	s_wait_alu 0xf1ff
	v_add_co_ci_u32_e64 v35, null, 0, s27, s5
	v_add_co_u32 v32, s6, v28, s24
	s_wait_alu 0xf1ff
	v_add_co_ci_u32_e64 v33, null, s25, v29, s6
	s_delay_alu instid0(VALU_DEP_3)
	v_cmp_gt_i64_e64 s5, s[42:43], v[34:35]
	v_mov_b32_e32 v54, 0
	s_and_b32 s7, vcc_lo, s5
	s_wait_alu 0xfffe
	s_and_saveexec_b32 s6, s7
	s_cbranch_execz .LBB10_37
; %bb.36:                               ;   in Loop: Header=BB10_11 Depth=3
	global_load_b32 v54, v[32:33], off offset:-64
.LBB10_37:                              ;   in Loop: Header=BB10_11 Depth=3
	s_wait_alu 0xfffe
	s_or_b32 exec_lo, exec_lo, s6
	v_cmp_gt_i64_e64 s6, s[46:47], v[34:35]
	s_wait_loadcnt 0x0
	ds_store_b32 v42, v54
	s_and_b32 s7, vcc_lo, s6
	s_wait_alu 0xfffe
	s_xor_b32 s7, s7, -1
	s_wait_alu 0xfffe
	s_and_saveexec_b32 s8, s7
	s_wait_alu 0xfffe
	s_xor_b32 s7, exec_lo, s8
; %bb.38:                               ;   in Loop: Header=BB10_11 Depth=3
	ds_store_b32 v42, v38 offset:64
                                        ; implicit-def: $vgpr32_vgpr33
; %bb.39:                               ;   in Loop: Header=BB10_11 Depth=3
	s_wait_alu 0xfffe
	s_and_not1_saveexec_b32 s7, s7
	s_cbranch_execz .LBB10_41
; %bb.40:                               ;   in Loop: Header=BB10_11 Depth=3
	global_load_b32 v32, v[32:33], off
	s_wait_loadcnt 0x0
	ds_store_b32 v42, v32 offset:64
.LBB10_41:                              ;   in Loop: Header=BB10_11 Depth=3
	s_wait_alu 0xfffe
	s_or_b32 exec_lo, exec_lo, s7
	v_add_co_u32 v32, s7, v30, s24
	s_wait_alu 0xf1ff
	v_add_co_ci_u32_e64 v33, null, s25, v31, s7
	v_mov_b32_e32 v34, 0
	s_and_b32 s7, s4, s5
	s_wait_alu 0xfffe
	s_and_saveexec_b32 s5, s7
	s_cbranch_execz .LBB10_43
; %bb.42:                               ;   in Loop: Header=BB10_11 Depth=3
	global_load_b32 v34, v[32:33], off offset:-64
.LBB10_43:                              ;   in Loop: Header=BB10_11 Depth=3
	s_wait_alu 0xfffe
	s_or_b32 exec_lo, exec_lo, s5
	s_and_b32 s5, s4, s6
	s_wait_loadcnt 0x0
	ds_store_b32 v42, v34 offset:2048
	s_wait_alu 0xfffe
	s_xor_b32 s5, s5, -1
	s_wait_alu 0xfffe
	s_and_saveexec_b32 s6, s5
	s_wait_alu 0xfffe
	s_xor_b32 s5, exec_lo, s6
; %bb.44:                               ;   in Loop: Header=BB10_11 Depth=3
	ds_store_b32 v42, v38 offset:2112
                                        ; implicit-def: $vgpr32_vgpr33
; %bb.45:                               ;   in Loop: Header=BB10_11 Depth=3
	s_wait_alu 0xfffe
	s_and_not1_saveexec_b32 s5, s5
	s_cbranch_execz .LBB10_10
; %bb.46:                               ;   in Loop: Header=BB10_11 Depth=3
	global_load_b32 v32, v[32:33], off
	s_wait_loadcnt 0x0
	ds_store_b32 v42, v32 offset:2112
	s_branch .LBB10_10
.LBB10_47:                              ;   in Loop: Header=BB10_8 Depth=2
	v_mul_lo_u32 v30, s29, v49
	v_mul_lo_u32 v31, s28, v52
	v_mad_co_u64_u32 v[28:29], null, s28, v49, 0
	v_cmp_gt_i32_e32 vcc_lo, s10, v49
	s_delay_alu instid0(VALU_DEP_2) | instskip(NEXT) | instid1(VALU_DEP_1)
	v_add3_u32 v29, v29, v31, v30
	v_lshlrev_b64_e32 v[28:29], 2, v[28:29]
	s_delay_alu instid0(VALU_DEP_1) | instskip(SKIP_1) | instid1(VALU_DEP_2)
	v_add_co_u32 v28, s4, s22, v28
	s_wait_alu 0xf1ff
	v_add_co_ci_u32_e64 v29, null, s23, v29, s4
	s_and_b32 s4, s1, vcc_lo
	s_wait_alu 0xfffe
	s_and_saveexec_b32 s5, s4
	s_cbranch_execz .LBB10_49
; %bb.48:                               ;   in Loop: Header=BB10_8 Depth=2
	v_add_co_u32 v30, s4, v28, v8
	s_wait_alu 0xf1ff
	v_add_co_ci_u32_e64 v31, null, v29, v9, s4
	global_load_b32 v32, v[30:31], off
	s_wait_loadcnt 0x0
	v_fmac_f32_e32 v32, v48, v53
	global_store_b32 v[30:31], v32, off
.LBB10_49:                              ;   in Loop: Header=BB10_8 Depth=2
	s_wait_alu 0xfffe
	s_or_b32 exec_lo, exec_lo, s5
	s_and_b32 s5, s2, vcc_lo
	s_wait_alu 0xfffe
	s_and_saveexec_b32 s4, s5
	s_cbranch_execz .LBB10_51
; %bb.50:                               ;   in Loop: Header=BB10_8 Depth=2
	v_add_co_u32 v28, vcc_lo, v28, v18
	s_wait_alu 0xfffd
	v_add_co_ci_u32_e64 v29, null, v29, v19, vcc_lo
	global_load_b32 v30, v[28:29], off
	s_wait_loadcnt 0x0
	v_fmac_f32_e32 v30, v48, v51
	global_store_b32 v[28:29], v30, off
.LBB10_51:                              ;   in Loop: Header=BB10_8 Depth=2
	s_wait_alu 0xfffe
	s_or_b32 exec_lo, exec_lo, s4
	v_add_nc_u32_e32 v30, 16, v49
	s_delay_alu instid0(VALU_DEP_1) | instskip(SKIP_3) | instid1(VALU_DEP_4)
	v_ashrrev_i32_e32 v31, 31, v30
	v_mul_lo_u32 v32, s29, v30
	v_mad_co_u64_u32 v[28:29], null, s28, v30, 0
	v_cmp_gt_i32_e32 vcc_lo, s10, v30
	v_mul_lo_u32 v31, s28, v31
	s_delay_alu instid0(VALU_DEP_1) | instskip(NEXT) | instid1(VALU_DEP_1)
	v_add3_u32 v29, v29, v31, v32
	v_lshlrev_b64_e32 v[28:29], 2, v[28:29]
	s_delay_alu instid0(VALU_DEP_1) | instskip(SKIP_1) | instid1(VALU_DEP_2)
	v_add_co_u32 v28, s4, s22, v28
	s_wait_alu 0xf1ff
	v_add_co_ci_u32_e64 v29, null, s23, v29, s4
	s_and_b32 s4, s1, vcc_lo
	s_wait_alu 0xfffe
	s_and_saveexec_b32 s5, s4
	s_cbranch_execz .LBB10_53
; %bb.52:                               ;   in Loop: Header=BB10_8 Depth=2
	v_add_co_u32 v30, s4, v28, v8
	s_wait_alu 0xf1ff
	v_add_co_ci_u32_e64 v31, null, v29, v9, s4
	global_load_b32 v32, v[30:31], off
	s_wait_loadcnt 0x0
	v_fmac_f32_e32 v32, v48, v50
	global_store_b32 v[30:31], v32, off
.LBB10_53:                              ;   in Loop: Header=BB10_8 Depth=2
	s_wait_alu 0xfffe
	s_or_b32 exec_lo, exec_lo, s5
	s_and_b32 s5, s2, vcc_lo
	s_wait_alu 0xfffe
	s_and_saveexec_b32 s4, s5
	s_cbranch_execz .LBB10_7
; %bb.54:                               ;   in Loop: Header=BB10_8 Depth=2
	v_add_co_u32 v28, vcc_lo, v28, v18
	s_wait_alu 0xfffd
	v_add_co_ci_u32_e64 v29, null, v29, v19, vcc_lo
	global_load_b32 v30, v[28:29], off
	s_wait_loadcnt 0x0
	v_fmac_f32_e32 v30, v48, v27
	global_store_b32 v[28:29], v30, off
	s_branch .LBB10_7
.LBB10_55:
	s_endpgm
	.section	.rodata,"a",@progbits
	.p2align	6, 0x0
	.amdhsa_kernel _ZL30rocblas_trmm_outofplace_kernelIfLi32ELi2ELb1ELb1ELb1ELb1EPKfS0_fEv17rocblas_diagonal_iiT6_lPT7_lllS5_lllPT8_llli
		.amdhsa_group_segment_fixed_size 8192
		.amdhsa_private_segment_fixed_size 0
		.amdhsa_kernarg_size 392
		.amdhsa_user_sgpr_count 2
		.amdhsa_user_sgpr_dispatch_ptr 0
		.amdhsa_user_sgpr_queue_ptr 0
		.amdhsa_user_sgpr_kernarg_segment_ptr 1
		.amdhsa_user_sgpr_dispatch_id 0
		.amdhsa_user_sgpr_private_segment_size 0
		.amdhsa_wavefront_size32 1
		.amdhsa_uses_dynamic_stack 0
		.amdhsa_enable_private_segment 0
		.amdhsa_system_sgpr_workgroup_id_x 1
		.amdhsa_system_sgpr_workgroup_id_y 1
		.amdhsa_system_sgpr_workgroup_id_z 1
		.amdhsa_system_sgpr_workgroup_info 0
		.amdhsa_system_vgpr_workitem_id 1
		.amdhsa_next_free_vgpr 94
		.amdhsa_next_free_sgpr 57
		.amdhsa_reserve_vcc 1
		.amdhsa_float_round_mode_32 0
		.amdhsa_float_round_mode_16_64 0
		.amdhsa_float_denorm_mode_32 3
		.amdhsa_float_denorm_mode_16_64 3
		.amdhsa_fp16_overflow 0
		.amdhsa_workgroup_processor_mode 1
		.amdhsa_memory_ordered 1
		.amdhsa_forward_progress 1
		.amdhsa_inst_pref_size 29
		.amdhsa_round_robin_scheduling 0
		.amdhsa_exception_fp_ieee_invalid_op 0
		.amdhsa_exception_fp_denorm_src 0
		.amdhsa_exception_fp_ieee_div_zero 0
		.amdhsa_exception_fp_ieee_overflow 0
		.amdhsa_exception_fp_ieee_underflow 0
		.amdhsa_exception_fp_ieee_inexact 0
		.amdhsa_exception_int_div_zero 0
	.end_amdhsa_kernel
	.section	.text._ZL30rocblas_trmm_outofplace_kernelIfLi32ELi2ELb1ELb1ELb1ELb1EPKfS0_fEv17rocblas_diagonal_iiT6_lPT7_lllS5_lllPT8_llli,"axG",@progbits,_ZL30rocblas_trmm_outofplace_kernelIfLi32ELi2ELb1ELb1ELb1ELb1EPKfS0_fEv17rocblas_diagonal_iiT6_lPT7_lllS5_lllPT8_llli,comdat
.Lfunc_end10:
	.size	_ZL30rocblas_trmm_outofplace_kernelIfLi32ELi2ELb1ELb1ELb1ELb1EPKfS0_fEv17rocblas_diagonal_iiT6_lPT7_lllS5_lllPT8_llli, .Lfunc_end10-_ZL30rocblas_trmm_outofplace_kernelIfLi32ELi2ELb1ELb1ELb1ELb1EPKfS0_fEv17rocblas_diagonal_iiT6_lPT7_lllS5_lllPT8_llli
                                        ; -- End function
	.set _ZL30rocblas_trmm_outofplace_kernelIfLi32ELi2ELb1ELb1ELb1ELb1EPKfS0_fEv17rocblas_diagonal_iiT6_lPT7_lllS5_lllPT8_llli.num_vgpr, 94
	.set _ZL30rocblas_trmm_outofplace_kernelIfLi32ELi2ELb1ELb1ELb1ELb1EPKfS0_fEv17rocblas_diagonal_iiT6_lPT7_lllS5_lllPT8_llli.num_agpr, 0
	.set _ZL30rocblas_trmm_outofplace_kernelIfLi32ELi2ELb1ELb1ELb1ELb1EPKfS0_fEv17rocblas_diagonal_iiT6_lPT7_lllS5_lllPT8_llli.numbered_sgpr, 57
	.set _ZL30rocblas_trmm_outofplace_kernelIfLi32ELi2ELb1ELb1ELb1ELb1EPKfS0_fEv17rocblas_diagonal_iiT6_lPT7_lllS5_lllPT8_llli.num_named_barrier, 0
	.set _ZL30rocblas_trmm_outofplace_kernelIfLi32ELi2ELb1ELb1ELb1ELb1EPKfS0_fEv17rocblas_diagonal_iiT6_lPT7_lllS5_lllPT8_llli.private_seg_size, 0
	.set _ZL30rocblas_trmm_outofplace_kernelIfLi32ELi2ELb1ELb1ELb1ELb1EPKfS0_fEv17rocblas_diagonal_iiT6_lPT7_lllS5_lllPT8_llli.uses_vcc, 1
	.set _ZL30rocblas_trmm_outofplace_kernelIfLi32ELi2ELb1ELb1ELb1ELb1EPKfS0_fEv17rocblas_diagonal_iiT6_lPT7_lllS5_lllPT8_llli.uses_flat_scratch, 0
	.set _ZL30rocblas_trmm_outofplace_kernelIfLi32ELi2ELb1ELb1ELb1ELb1EPKfS0_fEv17rocblas_diagonal_iiT6_lPT7_lllS5_lllPT8_llli.has_dyn_sized_stack, 0
	.set _ZL30rocblas_trmm_outofplace_kernelIfLi32ELi2ELb1ELb1ELb1ELb1EPKfS0_fEv17rocblas_diagonal_iiT6_lPT7_lllS5_lllPT8_llli.has_recursion, 0
	.set _ZL30rocblas_trmm_outofplace_kernelIfLi32ELi2ELb1ELb1ELb1ELb1EPKfS0_fEv17rocblas_diagonal_iiT6_lPT7_lllS5_lllPT8_llli.has_indirect_call, 0
	.section	.AMDGPU.csdata,"",@progbits
; Kernel info:
; codeLenInByte = 3672
; TotalNumSgprs: 59
; NumVgprs: 94
; ScratchSize: 0
; MemoryBound: 0
; FloatMode: 240
; IeeeMode: 1
; LDSByteSize: 8192 bytes/workgroup (compile time only)
; SGPRBlocks: 0
; VGPRBlocks: 11
; NumSGPRsForWavesPerEU: 59
; NumVGPRsForWavesPerEU: 94
; Occupancy: 16
; WaveLimiterHint : 0
; COMPUTE_PGM_RSRC2:SCRATCH_EN: 0
; COMPUTE_PGM_RSRC2:USER_SGPR: 2
; COMPUTE_PGM_RSRC2:TRAP_HANDLER: 0
; COMPUTE_PGM_RSRC2:TGID_X_EN: 1
; COMPUTE_PGM_RSRC2:TGID_Y_EN: 1
; COMPUTE_PGM_RSRC2:TGID_Z_EN: 1
; COMPUTE_PGM_RSRC2:TIDIG_COMP_CNT: 1
	.section	.text._ZL30rocblas_trmm_outofplace_kernelIfLi32ELi2ELb1ELb1ELb1ELb1EfKffEv17rocblas_diagonal_iiT6_lPT7_lllS4_lllPT8_llli,"axG",@progbits,_ZL30rocblas_trmm_outofplace_kernelIfLi32ELi2ELb1ELb1ELb1ELb1EfKffEv17rocblas_diagonal_iiT6_lPT7_lllS4_lllPT8_llli,comdat
	.globl	_ZL30rocblas_trmm_outofplace_kernelIfLi32ELi2ELb1ELb1ELb1ELb1EfKffEv17rocblas_diagonal_iiT6_lPT7_lllS4_lllPT8_llli ; -- Begin function _ZL30rocblas_trmm_outofplace_kernelIfLi32ELi2ELb1ELb1ELb1ELb1EfKffEv17rocblas_diagonal_iiT6_lPT7_lllS4_lllPT8_llli
	.p2align	8
	.type	_ZL30rocblas_trmm_outofplace_kernelIfLi32ELi2ELb1ELb1ELb1ELb1EfKffEv17rocblas_diagonal_iiT6_lPT7_lllS4_lllPT8_llli,@function
_ZL30rocblas_trmm_outofplace_kernelIfLi32ELi2ELb1ELb1ELb1ELb1EfKffEv17rocblas_diagonal_iiT6_lPT7_lllS4_lllPT8_llli: ; @_ZL30rocblas_trmm_outofplace_kernelIfLi32ELi2ELb1ELb1ELb1ELb1EfKffEv17rocblas_diagonal_iiT6_lPT7_lllS4_lllPT8_llli
; %bb.0:
	s_load_b32 s33, s[0:1], 0x78
	s_lshr_b32 s34, ttmp7, 16
	s_wait_kmcnt 0x0
	s_cmp_ge_u32 s34, s33
	s_cbranch_scc1 .LBB11_54
; %bb.1:
	s_load_b128 s[28:31], s[0:1], 0x0
	s_mov_b32 s35, 0
	s_wait_kmcnt 0x0
	s_cmp_eq_f32 s31, 0
	s_cbranch_scc1 .LBB11_54
; %bb.2:
	s_add_co_i32 s2, s30, -1
	s_and_b32 s42, ttmp7, 0xffff
	s_ashr_i32 s3, s2, 31
	v_dual_mov_b32 v38, 0 :: v_dual_and_b32 v37, 0x3ff, v0
	s_lshr_b32 s3, s3, 27
	s_load_b512 s[4:19], s[0:1], 0x18
	s_add_co_i32 s2, s2, s3
	v_bfe_u32 v36, v0, 10, 10
	s_ashr_i32 s43, s2, 5
	v_dual_mov_b32 v44, 1.0 :: v_dual_lshlrev_b32 v39, 2, v37
	s_cmp_le_i32 s42, s43
	s_delay_alu instid0(VALU_DEP_2)
	v_lshlrev_b32_e32 v2, 7, v36
	s_cselect_b32 s44, -1, 0
	s_lshl_b32 s45, ttmp9, 5
	s_cmp_gt_i32 ttmp9, -1
	v_add_nc_u32_e32 v0, s45, v37
	v_add_nc_u32_e32 v40, 0x1000, v2
	;; [unrolled: 1-line block ×3, first 2 shown]
	s_cselect_b32 s46, -1, 0
	s_cmp_eq_u32 s28, 0x84
	v_ashrrev_i32_e32 v1, 31, v0
	v_add_co_u32 v2, vcc_lo, v0, 16
	s_cselect_b32 s47, -1, 0
	s_wait_kmcnt 0x0
	v_mul_lo_u32 v17, s9, v0
	v_add_co_ci_u32_e64 v3, null, 0, v1, vcc_lo
	v_sub_co_u32 v4, vcc_lo, v0, v36
	v_lshlrev_b64_e32 v[6:7], 2, v[0:1]
	s_wait_alu 0xfffd
	v_subrev_co_ci_u32_e64 v5, null, 0, v1, vcc_lo
	s_delay_alu instid0(VALU_DEP_3)
	v_add_co_u32 v8, vcc_lo, v4, 16
	v_mul_lo_u32 v16, s8, v1
	v_mad_co_u64_u32 v[12:13], null, s8, v0, 0
	s_wait_alu 0xfffd
	v_add_co_ci_u32_e64 v9, null, 0, v5, vcc_lo
	v_add_co_u32 v14, vcc_lo, v6, 64
	s_wait_alu 0xfffd
	v_add_co_ci_u32_e64 v15, null, 0, v7, vcc_lo
	s_lshl_b64 s[6:7], s[6:7], 2
	s_load_b256 s[20:27], s[0:1], 0x58
	s_lshl_b64 s[14:15], s[14:15], 2
	v_add3_u32 v13, v13, v16, v17
	v_mul_lo_u32 v20, s8, v15
	v_mul_lo_u32 v21, s9, v14
	v_mad_co_u64_u32 v[14:15], null, s8, v14, s[6:7]
	s_add_nc_u64 s[12:13], s[12:13], s[14:15]
	v_lshlrev_b64_e32 v[16:17], 2, v[12:13]
	v_add_co_u32 v22, s8, s12, v39
	s_wait_alu 0xf1ff
	v_add_co_ci_u32_e64 v23, null, s13, 0, s8
	v_add_co_u32 v10, vcc_lo, v4, -16
	s_wait_alu 0xfffd
	v_add_co_ci_u32_e64 v11, null, -1, v5, vcc_lo
	v_add_co_u32 v12, vcc_lo, v22, 64
	v_add3_u32 v15, v21, v15, v20
	v_lshlrev_b32_e32 v20, 2, v36
	s_wait_alu 0xfffd
	v_add_co_ci_u32_e64 v13, null, 0, v23, vcc_lo
	v_add_co_u32 v16, vcc_lo, v16, s6
	v_add_nc_u32_e32 v18, 16, v0
	s_wait_alu 0xfffd
	v_add_co_ci_u32_e64 v17, null, s7, v17, vcc_lo
	v_add_co_u32 v14, vcc_lo, v14, v20
	s_wait_alu 0xfffd
	v_add_co_ci_u32_e64 v15, null, 0, v15, vcc_lo
	v_add_co_u32 v16, vcc_lo, v16, v20
	v_ashrrev_i32_e32 v19, 31, v18
	s_wait_alu 0xfffd
	v_add_co_ci_u32_e64 v17, null, 0, v17, vcc_lo
	v_add_co_u32 v14, vcc_lo, s4, v14
	s_ashr_i32 s37, s29, 31
	s_mov_b32 s36, s29
	s_wait_kmcnt 0x0
	s_lshl_b64 s[2:3], s[22:23], 2
	s_wait_alu 0xfffd
	v_add_co_ci_u32_e64 v15, null, s5, v15, vcc_lo
	v_add_co_u32 v16, vcc_lo, s4, v16
	s_add_nc_u64 s[22:23], s[0:1], 0x80
	s_add_nc_u64 s[20:21], s[20:21], s[2:3]
	v_cmp_le_i64_e64 s1, s[36:37], v[2:3]
	v_cmp_gt_i32_e64 s3, s29, v18
	v_lshlrev_b64_e32 v[18:19], 2, v[18:19]
	v_add_nc_u32_e32 v42, v40, v39
	v_cmp_le_i32_e64 s0, s29, v0
	v_cmp_gt_i32_e64 s2, s29, v0
	v_lshl_add_u32 v43, s42, 5, v36
	s_wait_alu 0xfffd
	v_add_co_ci_u32_e64 v17, null, s5, v17, vcc_lo
	v_add_nc_u32_e32 v45, 0x400, v39
	v_add_nc_u32_e32 v46, 0x800, v39
	;; [unrolled: 1-line block ×3, first 2 shown]
	s_ashr_i32 s48, s30, 31
	s_mov_b32 s49, s30
	s_add_nc_u64 s[38:39], s[36:37], -16
	s_lshl_b64 s[12:13], s[18:19], 2
	s_lshl_b64 s[14:15], s[16:17], 2
	;; [unrolled: 1-line block ×3, first 2 shown]
	s_branch .LBB11_4
.LBB11_3:                               ;   in Loop: Header=BB11_4 Depth=1
	s_add_co_i32 s34, s34, 0x10000
	s_wait_alu 0xfffe
	s_cmp_ge_u32 s34, s33
	s_cbranch_scc1 .LBB11_54
.LBB11_4:                               ; =>This Loop Header: Depth=1
                                        ;     Child Loop BB11_7 Depth 2
                                        ;       Child Loop BB11_10 Depth 3
	s_and_not1_b32 vcc_lo, exec_lo, s44
	s_wait_alu 0xfffe
	s_cbranch_vccnz .LBB11_3
; %bb.5:                                ;   in Loop: Header=BB11_4 Depth=1
	s_load_b32 s9, s[22:23], 0x4
	v_mad_co_u64_u32 v[20:21], null, s12, s34, v[12:13]
	v_mad_co_u64_u32 v[22:23], null, s10, s34, v[14:15]
	;; [unrolled: 1-line block ×3, first 2 shown]
	s_mul_i32 s6, s11, s34
	s_mul_u64 s[4:5], s[26:27], s[34:35]
	s_mov_b32 s51, s42
	s_wait_alu 0xfffe
	s_lshl_b64 s[4:5], s[4:5], 2
	v_mad_co_u64_u32 v[26:27], null, s13, s34, v[21:22]
	v_add_nc_u32_e32 v23, s6, v23
	v_add_nc_u32_e32 v25, s6, v25
	s_wait_alu 0xfffe
	s_add_nc_u64 s[18:19], s[20:21], s[4:5]
	s_delay_alu instid0(VALU_DEP_3)
	v_dual_mov_b32 v21, v26 :: v_dual_mov_b32 v26, v43
	s_wait_kmcnt 0x0
	s_lshl_b32 s50, s9, 5
	s_branch .LBB11_7
.LBB11_6:                               ;   in Loop: Header=BB11_7 Depth=2
	s_wait_alu 0xfffe
	s_or_b32 exec_lo, exec_lo, s4
	v_add_nc_u32_e32 v26, s50, v26
	s_add_co_i32 s51, s9, s51
	s_wait_alu 0xfffe
	s_cmp_gt_i32 s51, s43
	s_cbranch_scc1 .LBB11_3
.LBB11_7:                               ;   Parent Loop BB11_4 Depth=1
                                        ; =>  This Loop Header: Depth=2
                                        ;       Child Loop BB11_10 Depth 3
	v_lshl_add_u32 v48, s51, 5, v36
	v_dual_mov_b32 v52, 0 :: v_dual_mov_b32 v49, 0
	v_dual_mov_b32 v50, 0 :: v_dual_mov_b32 v27, 0
	s_delay_alu instid0(VALU_DEP_3)
	v_ashrrev_i32_e32 v51, 31, v48
	s_and_not1_b32 vcc_lo, exec_lo, s46
	s_wait_alu 0xfffe
	s_cbranch_vccnz .LBB11_46
; %bb.8:                                ;   in Loop: Header=BB11_7 Depth=2
	v_ashrrev_i32_e32 v27, 31, v26
	v_mad_co_u64_u32 v[28:29], null, s14, v26, v[20:21]
	v_mul_lo_u32 v34, s15, v26
	v_mov_b32_e32 v49, 0
	s_delay_alu instid0(VALU_DEP_4) | instskip(SKIP_4) | instid1(VALU_DEP_3)
	v_lshlrev_b64_e32 v[30:31], 2, v[26:27]
	v_mul_lo_u32 v35, s14, v27
	v_dual_mov_b32 v27, 0 :: v_dual_mov_b32 v50, 0
	s_mov_b64 s[28:29], 0
	s_mov_b64 s[40:41], 0
	v_add_co_u32 v30, vcc_lo, v30, 64
	s_wait_alu 0xfffd
	v_add_co_ci_u32_e64 v31, null, 0, v31, vcc_lo
	v_sub_co_u32 v32, vcc_lo, s49, v48
	s_delay_alu instid0(VALU_DEP_3) | instskip(NEXT) | instid1(VALU_DEP_3)
	v_mul_lo_u32 v53, s17, v30
	v_mul_lo_u32 v52, s16, v31
	v_mad_co_u64_u32 v[30:31], null, s16, v30, v[20:21]
	s_wait_alu 0xfffd
	v_sub_co_ci_u32_e64 v33, null, s48, v51, vcc_lo
	v_add3_u32 v29, v34, v29, v35
	s_delay_alu instid0(VALU_DEP_2) | instskip(NEXT) | instid1(VALU_DEP_4)
	v_cmp_lt_i64_e64 s4, 16, v[32:33]
	v_add3_u32 v31, v53, v31, v52
	v_mov_b32_e32 v52, 0
	v_cmp_lt_i64_e32 vcc_lo, 0, v[32:33]
	s_branch .LBB11_10
.LBB11_9:                               ;   in Loop: Header=BB11_10 Depth=3
	s_wait_alu 0xfffe
	s_or_b32 exec_lo, exec_lo, s5
	s_wait_dscnt 0x0
	s_barrier_signal -1
	s_barrier_wait -1
	global_inv scope:SCOPE_SE
	ds_load_b128 v[32:35], v40
	ds_load_2addr_b32 v[73:74], v39 offset1:16
	ds_load_b128 v[53:56], v40 offset:2048
	ds_load_2addr_b32 v[75:76], v39 offset0:32 offset1:48
	ds_load_b128 v[57:60], v40 offset:16
	ds_load_2addr_b32 v[77:78], v39 offset0:64 offset1:80
	ds_load_b128 v[61:64], v40 offset:32
	ds_load_b128 v[65:68], v40 offset:48
	ds_load_2addr_b32 v[79:80], v39 offset0:96 offset1:112
	ds_load_2addr_b32 v[81:82], v39 offset0:128 offset1:144
	ds_load_b128 v[69:72], v40 offset:2064
	ds_load_2addr_b32 v[83:84], v39 offset0:160 offset1:176
	ds_load_2addr_b32 v[85:86], v39 offset0:192 offset1:208
	;; [unrolled: 1-line block ×3, first 2 shown]
	ds_load_2addr_b32 v[89:90], v45 offset1:16
	ds_load_2addr_b32 v[91:92], v45 offset0:32 offset1:48
	s_add_nc_u64 s[40:41], s[40:41], 32
	s_add_nc_u64 s[28:29], s[28:29], 0x80
	s_wait_alu 0xfffe
	s_sub_co_i32 s5, s40, 32
	s_wait_alu 0xfffe
	s_cmp_ge_i32 s5, s45
	s_wait_dscnt 0xd
	v_dual_fmac_f32 v52, v73, v32 :: v_dual_fmac_f32 v27, v74, v53
	v_dual_fmac_f32 v50, v74, v32 :: v_dual_fmac_f32 v49, v73, v53
	ds_load_2addr_b32 v[73:74], v45 offset0:64 offset1:80
	s_wait_dscnt 0xd
	v_dual_fmac_f32 v52, v75, v33 :: v_dual_fmac_f32 v27, v76, v54
	v_dual_fmac_f32 v50, v76, v33 :: v_dual_fmac_f32 v49, v75, v54
	ds_load_2addr_b32 v[75:76], v45 offset0:96 offset1:112
	;; [unrolled: 4-line block ×3, first 2 shown]
	s_wait_dscnt 0xa
	v_dual_fmac_f32 v52, v79, v35 :: v_dual_fmac_f32 v27, v80, v56
	v_dual_fmac_f32 v50, v80, v35 :: v_dual_fmac_f32 v49, v79, v56
	ds_load_b128 v[32:35], v40 offset:2080
	ds_load_b128 v[53:56], v40 offset:2096
	ds_load_2addr_b32 v[79:80], v45 offset0:160 offset1:176
	s_wait_dscnt 0xb
	v_fmac_f32_e32 v27, v82, v69
	v_fmac_f32_e32 v50, v82, v57
	v_fmac_f32_e32 v49, v81, v69
	v_fmac_f32_e32 v52, v81, v57
	ds_load_2addr_b32 v[81:82], v45 offset0:192 offset1:208
	s_wait_dscnt 0xb
	v_fmac_f32_e32 v27, v84, v70
	v_fmac_f32_e32 v50, v84, v58
	v_fmac_f32_e32 v49, v83, v70
	v_fmac_f32_e32 v52, v83, v58
	;; [unrolled: 6-line block ×3, first 2 shown]
	ds_load_2addr_b32 v[85:86], v46 offset1:16
	s_wait_dscnt 0xb
	v_fmac_f32_e32 v27, v88, v72
	v_fmac_f32_e32 v50, v88, v60
	v_fmac_f32_e32 v49, v87, v72
	v_fmac_f32_e32 v52, v87, v60
	ds_load_b128 v[57:60], v40 offset:64
	s_wait_dscnt 0x6
	v_fmac_f32_e32 v27, v90, v32
	v_dual_fmac_f32 v50, v90, v61 :: v_dual_fmac_f32 v49, v89, v32
	v_fmac_f32_e32 v52, v89, v61
	ds_load_b128 v[69:72], v40 offset:2112
	v_fmac_f32_e32 v27, v92, v33
	v_dual_fmac_f32 v50, v92, v62 :: v_dual_fmac_f32 v49, v91, v33
	v_fmac_f32_e32 v52, v91, v62
	ds_load_2addr_b32 v[61:62], v46 offset0:32 offset1:48
	v_fmac_f32_e32 v27, v74, v34
	v_dual_fmac_f32 v50, v74, v63 :: v_dual_fmac_f32 v49, v73, v34
	v_fmac_f32_e32 v52, v73, v63
	ds_load_2addr_b32 v[73:74], v46 offset0:96 offset1:112
	;; [unrolled: 4-line block ×3, first 2 shown]
	s_wait_dscnt 0x9
	v_fmac_f32_e32 v27, v78, v53
	v_fmac_f32_e32 v50, v78, v65
	;; [unrolled: 1-line block ×4, first 2 shown]
	ds_load_b128 v[32:35], v40 offset:80
	s_wait_dscnt 0x9
	v_fmac_f32_e32 v27, v80, v54
	v_fmac_f32_e32 v50, v80, v66
	;; [unrolled: 1-line block ×4, first 2 shown]
	ds_load_2addr_b32 v[65:66], v46 offset0:128 offset1:144
	s_wait_dscnt 0x9
	v_fmac_f32_e32 v27, v82, v55
	v_fmac_f32_e32 v50, v82, v67
	;; [unrolled: 1-line block ×4, first 2 shown]
	ds_load_2addr_b32 v[75:76], v46 offset0:224 offset1:240
	s_wait_dscnt 0x9
	v_fmac_f32_e32 v27, v84, v56
	v_fmac_f32_e32 v50, v84, v68
	;; [unrolled: 1-line block ×4, first 2 shown]
	ds_load_b128 v[53:56], v40 offset:2128
	s_wait_dscnt 0x7
	v_fmac_f32_e32 v27, v86, v69
	ds_load_2addr_b32 v[67:68], v46 offset0:160 offset1:176
	v_fmac_f32_e32 v49, v85, v69
	v_fmac_f32_e32 v52, v85, v57
	;; [unrolled: 1-line block ×3, first 2 shown]
	s_wait_dscnt 0x7
	v_fmac_f32_e32 v27, v62, v70
	v_fmac_f32_e32 v49, v61, v70
	v_fmac_f32_e32 v52, v61, v58
	v_fmac_f32_e32 v50, v62, v58
	ds_load_2addr_b32 v[69:70], v46 offset0:192 offset1:208
	s_wait_dscnt 0x6
	v_fmac_f32_e32 v27, v64, v71
	v_fmac_f32_e32 v49, v63, v71
	v_fmac_f32_e32 v52, v63, v59
	s_delay_alu instid0(VALU_DEP_3) | instskip(NEXT) | instid1(VALU_DEP_3)
	v_dual_fmac_f32 v50, v64, v59 :: v_dual_fmac_f32 v27, v74, v72
	v_fmac_f32_e32 v49, v73, v72
	s_delay_alu instid0(VALU_DEP_3) | instskip(NEXT) | instid1(VALU_DEP_3)
	v_fmac_f32_e32 v52, v73, v60
	v_fmac_f32_e32 v50, v74, v60
	ds_load_b128 v[57:60], v40 offset:96
	ds_load_2addr_b32 v[71:72], v47 offset1:16
	s_wait_dscnt 0x4
	v_fmac_f32_e32 v27, v66, v53
	v_fmac_f32_e32 v49, v65, v53
	;; [unrolled: 1-line block ×4, first 2 shown]
	ds_load_b128 v[61:64], v40 offset:2144
	ds_load_2addr_b32 v[65:66], v47 offset0:32 offset1:48
	s_wait_dscnt 0x5
	v_fmac_f32_e32 v49, v67, v54
	v_dual_fmac_f32 v52, v67, v33 :: v_dual_fmac_f32 v27, v68, v54
	v_fmac_f32_e32 v50, v68, v33
	ds_load_2addr_b32 v[67:68], v47 offset0:64 offset1:80
	s_wait_dscnt 0x5
	v_fmac_f32_e32 v49, v69, v55
	v_dual_fmac_f32 v52, v69, v34 :: v_dual_fmac_f32 v27, v70, v55
	v_fmac_f32_e32 v50, v70, v34
	ds_load_2addr_b32 v[69:70], v47 offset0:96 offset1:112
	v_fmac_f32_e32 v49, v75, v56
	v_dual_fmac_f32 v52, v75, v35 :: v_dual_fmac_f32 v27, v76, v56
	v_fmac_f32_e32 v50, v76, v35
	ds_load_b128 v[32:35], v40 offset:112
	ds_load_2addr_b32 v[73:74], v47 offset0:128 offset1:144
	ds_load_b128 v[53:56], v40 offset:2160
	s_wait_dscnt 0x6
	v_fmac_f32_e32 v49, v71, v61
	v_fmac_f32_e32 v52, v71, v57
	v_fmac_f32_e32 v27, v72, v61
	v_fmac_f32_e32 v50, v72, v57
	ds_load_2addr_b32 v[71:72], v47 offset0:160 offset1:176
	s_wait_dscnt 0x6
	v_fmac_f32_e32 v49, v65, v62
	v_fmac_f32_e32 v52, v65, v58
	v_fmac_f32_e32 v27, v66, v62
	v_fmac_f32_e32 v50, v66, v58
	ds_load_2addr_b32 v[57:58], v47 offset0:192 offset1:208
	;; [unrolled: 6-line block ×3, first 2 shown]
	s_wait_dscnt 0x6
	v_fmac_f32_e32 v49, v69, v64
	v_fmac_f32_e32 v52, v69, v60
	v_fmac_f32_e32 v27, v70, v64
	v_fmac_f32_e32 v50, v70, v60
	s_wait_loadcnt_dscnt 0x0
	v_fmac_f32_e32 v49, v73, v53
	s_delay_alu instid0(VALU_DEP_3) | instskip(NEXT) | instid1(VALU_DEP_3)
	v_dual_fmac_f32 v52, v73, v32 :: v_dual_fmac_f32 v27, v74, v53
	v_fmac_f32_e32 v50, v74, v32
	s_barrier_signal -1
	s_delay_alu instid0(VALU_DEP_3) | instskip(NEXT) | instid1(VALU_DEP_3)
	v_fmac_f32_e32 v49, v71, v54
	v_dual_fmac_f32 v52, v71, v33 :: v_dual_fmac_f32 v27, v72, v54
	s_delay_alu instid0(VALU_DEP_3) | instskip(SKIP_1) | instid1(VALU_DEP_3)
	v_fmac_f32_e32 v50, v72, v33
	s_barrier_wait -1
	v_fmac_f32_e32 v49, v57, v55
	s_delay_alu instid0(VALU_DEP_3) | instskip(NEXT) | instid1(VALU_DEP_3)
	v_dual_fmac_f32 v52, v57, v34 :: v_dual_fmac_f32 v27, v58, v55
	v_fmac_f32_e32 v50, v58, v34
	global_inv scope:SCOPE_SE
	v_fmac_f32_e32 v49, v61, v56
	v_dual_fmac_f32 v52, v61, v35 :: v_dual_fmac_f32 v27, v62, v56
	v_fmac_f32_e32 v50, v62, v35
	s_cbranch_scc1 .LBB11_46
.LBB11_10:                              ;   Parent Loop BB11_4 Depth=1
                                        ;     Parent Loop BB11_7 Depth=2
                                        ; =>    This Inner Loop Header: Depth=3
	s_wait_alu 0xfffe
	v_add_co_u32 v34, s5, v36, s40
	s_wait_alu 0xf1ff
	v_add_co_ci_u32_e64 v35, null, 0, s41, s5
	v_cmp_eq_u64_e64 s7, s[40:41], v[4:5]
                                        ; implicit-def: $vgpr53
	s_delay_alu instid0(VALU_DEP_2)
	v_cmp_le_i64_e64 s6, s[36:37], v[34:35]
	v_cmp_gt_i64_e64 s5, v[34:35], v[0:1]
	s_and_b32 s52, s47, s7
	v_add_co_u32 v32, s7, v24, s28
	s_wait_alu 0xf1ff
	v_add_co_ci_u32_e64 v33, null, s29, v25, s7
	s_or_b32 s8, s6, s5
	s_wait_alu 0xfffe
	s_or_b32 s7, s8, s52
	s_wait_alu 0xfffe
	s_nor_b32 s7, s0, s7
	s_wait_alu 0xfffe
	s_and_saveexec_b32 s8, s7
	s_wait_alu 0xfffe
	s_xor_b32 s7, exec_lo, s8
	s_cbranch_execz .LBB11_12
; %bb.11:                               ;   in Loop: Header=BB11_10 Depth=3
	global_load_b32 v53, v[32:33], off
.LBB11_12:                              ;   in Loop: Header=BB11_10 Depth=3
	s_wait_alu 0xfffe
	s_and_not1_saveexec_b32 s7, s7
	s_cbranch_execz .LBB11_14
; %bb.13:                               ;   in Loop: Header=BB11_10 Depth=3
	s_wait_loadcnt 0x0
	v_cndmask_b32_e64 v53, 0, 1.0, s52
.LBB11_14:                              ;   in Loop: Header=BB11_10 Depth=3
	s_wait_alu 0xfffe
	s_or_b32 exec_lo, exec_lo, s7
	v_cmp_eq_u64_e64 s7, s[40:41], v[8:9]
	v_cmp_lt_i64_e64 s8, v[2:3], v[34:35]
	s_wait_loadcnt 0x0
	ds_store_b32 v41, v53
	s_and_b32 s7, s47, s7
	s_or_b32 s6, s6, s8
	s_wait_alu 0xfffe
	s_or_b32 s6, s6, s7
	s_wait_alu 0xfffe
	s_nor_b32 s6, s1, s6
	s_wait_alu 0xfffe
	s_and_saveexec_b32 s8, s6
	s_wait_alu 0xfffe
	s_xor_b32 s8, exec_lo, s8
	s_cbranch_execz .LBB11_16
; %bb.15:                               ;   in Loop: Header=BB11_10 Depth=3
	v_add_co_u32 v53, s6, v22, s28
	s_wait_alu 0xf1ff
	v_add_co_ci_u32_e64 v54, null, s29, v23, s6
	global_load_b32 v53, v[53:54], off
	s_wait_loadcnt 0x0
	ds_store_b32 v41, v53 offset:64
.LBB11_16:                              ;   in Loop: Header=BB11_10 Depth=3
	s_wait_alu 0xfffe
	s_and_not1_saveexec_b32 s6, s8
	s_cbranch_execz .LBB11_22
; %bb.17:                               ;   in Loop: Header=BB11_10 Depth=3
	s_xor_b32 s7, s7, -1
	s_wait_alu 0xfffe
	s_and_saveexec_b32 s8, s7
	s_wait_alu 0xfffe
	s_xor_b32 s7, exec_lo, s8
; %bb.18:                               ;   in Loop: Header=BB11_10 Depth=3
	ds_store_b32 v41, v38 offset:64
; %bb.19:                               ;   in Loop: Header=BB11_10 Depth=3
	s_wait_alu 0xfffe
	s_and_not1_saveexec_b32 s7, s7
; %bb.20:                               ;   in Loop: Header=BB11_10 Depth=3
	ds_store_b32 v41, v44 offset:64
; %bb.21:                               ;   in Loop: Header=BB11_10 Depth=3
	s_wait_alu 0xfffe
	s_or_b32 exec_lo, exec_lo, s7
.LBB11_22:                              ;   in Loop: Header=BB11_10 Depth=3
	s_wait_alu 0xfffe
	s_or_b32 exec_lo, exec_lo, s6
	v_add_co_u32 v34, s6, v34, 16
	s_wait_alu 0xf1ff
	v_add_co_ci_u32_e64 v35, null, 0, v35, s6
	v_cmp_eq_u64_e64 s7, s[40:41], v[10:11]
	s_delay_alu instid0(VALU_DEP_2)
	v_cmp_le_i64_e64 s6, s[36:37], v[34:35]
	v_cmp_gt_i64_e64 s8, v[34:35], v[0:1]
                                        ; implicit-def: $vgpr34
	s_and_b32 s7, s47, s7
	s_or_b32 s8, s6, s8
	s_wait_alu 0xfffe
	s_or_b32 s8, s8, s7
	s_wait_alu 0xfffe
	s_nor_b32 s8, s0, s8
	s_wait_alu 0xfffe
	s_and_saveexec_b32 s53, s8
	s_wait_alu 0xfffe
	s_xor_b32 s8, exec_lo, s53
	s_cbranch_execz .LBB11_24
; %bb.23:                               ;   in Loop: Header=BB11_10 Depth=3
	global_load_b32 v34, v[32:33], off offset:64
.LBB11_24:                              ;   in Loop: Header=BB11_10 Depth=3
	s_wait_alu 0xfffe
	s_and_not1_saveexec_b32 s8, s8
	s_cbranch_execz .LBB11_26
; %bb.25:                               ;   in Loop: Header=BB11_10 Depth=3
	s_wait_loadcnt 0x0
	v_cndmask_b32_e64 v34, 0, 1.0, s7
.LBB11_26:                              ;   in Loop: Header=BB11_10 Depth=3
	s_wait_alu 0xfffe
	s_or_b32 exec_lo, exec_lo, s8
	s_or_b32 s5, s6, s5
	s_wait_loadcnt 0x0
	ds_store_b32 v41, v34 offset:2048
	s_wait_alu 0xfffe
	s_or_b32 s5, s5, s52
	s_wait_alu 0xfffe
	s_nor_b32 s5, s1, s5
	s_wait_alu 0xfffe
	s_and_saveexec_b32 s6, s5
	s_wait_alu 0xfffe
	s_xor_b32 s6, exec_lo, s6
	s_cbranch_execz .LBB11_28
; %bb.27:                               ;   in Loop: Header=BB11_10 Depth=3
	v_add_co_u32 v32, s5, v22, s28
	s_wait_alu 0xf1ff
	v_add_co_ci_u32_e64 v33, null, s29, v23, s5
	global_load_b32 v32, v[32:33], off offset:64
	s_wait_loadcnt 0x0
	ds_store_b32 v41, v32 offset:2112
.LBB11_28:                              ;   in Loop: Header=BB11_10 Depth=3
	s_wait_alu 0xfffe
	s_and_not1_saveexec_b32 s5, s6
	s_cbranch_execz .LBB11_34
; %bb.29:                               ;   in Loop: Header=BB11_10 Depth=3
	s_xor_b32 s6, s52, -1
	s_wait_alu 0xfffe
	s_and_saveexec_b32 s7, s6
	s_wait_alu 0xfffe
	s_xor_b32 s6, exec_lo, s7
; %bb.30:                               ;   in Loop: Header=BB11_10 Depth=3
	ds_store_b32 v41, v38 offset:2112
; %bb.31:                               ;   in Loop: Header=BB11_10 Depth=3
	s_wait_alu 0xfffe
	s_and_not1_saveexec_b32 s6, s6
; %bb.32:                               ;   in Loop: Header=BB11_10 Depth=3
	ds_store_b32 v41, v44 offset:2112
; %bb.33:                               ;   in Loop: Header=BB11_10 Depth=3
	s_wait_alu 0xfffe
	s_or_b32 exec_lo, exec_lo, s6
.LBB11_34:                              ;   in Loop: Header=BB11_10 Depth=3
	s_wait_alu 0xfffe
	s_or_b32 exec_lo, exec_lo, s5
	v_add_co_u32 v34, s5, v37, s40
	s_wait_alu 0xf1ff
	v_add_co_ci_u32_e64 v35, null, 0, s41, s5
	v_add_co_u32 v32, s6, v28, s28
	s_wait_alu 0xf1ff
	v_add_co_ci_u32_e64 v33, null, s29, v29, s6
	s_delay_alu instid0(VALU_DEP_3)
	v_cmp_gt_i64_e64 s5, s[36:37], v[34:35]
	v_mov_b32_e32 v53, 0
	s_and_b32 s7, vcc_lo, s5
	s_wait_alu 0xfffe
	s_and_saveexec_b32 s6, s7
	s_cbranch_execz .LBB11_36
; %bb.35:                               ;   in Loop: Header=BB11_10 Depth=3
	global_load_b32 v53, v[32:33], off offset:-64
.LBB11_36:                              ;   in Loop: Header=BB11_10 Depth=3
	s_wait_alu 0xfffe
	s_or_b32 exec_lo, exec_lo, s6
	v_cmp_gt_i64_e64 s6, s[38:39], v[34:35]
	s_wait_loadcnt 0x0
	ds_store_b32 v42, v53
	s_and_b32 s7, vcc_lo, s6
	s_wait_alu 0xfffe
	s_xor_b32 s7, s7, -1
	s_wait_alu 0xfffe
	s_and_saveexec_b32 s8, s7
	s_wait_alu 0xfffe
	s_xor_b32 s7, exec_lo, s8
; %bb.37:                               ;   in Loop: Header=BB11_10 Depth=3
	ds_store_b32 v42, v38 offset:64
                                        ; implicit-def: $vgpr32_vgpr33
; %bb.38:                               ;   in Loop: Header=BB11_10 Depth=3
	s_wait_alu 0xfffe
	s_and_not1_saveexec_b32 s7, s7
	s_cbranch_execz .LBB11_40
; %bb.39:                               ;   in Loop: Header=BB11_10 Depth=3
	global_load_b32 v32, v[32:33], off
	s_wait_loadcnt 0x0
	ds_store_b32 v42, v32 offset:64
.LBB11_40:                              ;   in Loop: Header=BB11_10 Depth=3
	s_wait_alu 0xfffe
	s_or_b32 exec_lo, exec_lo, s7
	v_add_co_u32 v32, s7, v30, s28
	s_wait_alu 0xf1ff
	v_add_co_ci_u32_e64 v33, null, s29, v31, s7
	v_mov_b32_e32 v34, 0
	s_and_b32 s7, s4, s5
	s_wait_alu 0xfffe
	s_and_saveexec_b32 s5, s7
	s_cbranch_execz .LBB11_42
; %bb.41:                               ;   in Loop: Header=BB11_10 Depth=3
	global_load_b32 v34, v[32:33], off offset:-64
.LBB11_42:                              ;   in Loop: Header=BB11_10 Depth=3
	s_wait_alu 0xfffe
	s_or_b32 exec_lo, exec_lo, s5
	s_and_b32 s5, s4, s6
	s_wait_loadcnt 0x0
	ds_store_b32 v42, v34 offset:2048
	s_wait_alu 0xfffe
	s_xor_b32 s5, s5, -1
	s_wait_alu 0xfffe
	s_and_saveexec_b32 s6, s5
	s_wait_alu 0xfffe
	s_xor_b32 s5, exec_lo, s6
; %bb.43:                               ;   in Loop: Header=BB11_10 Depth=3
	ds_store_b32 v42, v38 offset:2112
                                        ; implicit-def: $vgpr32_vgpr33
; %bb.44:                               ;   in Loop: Header=BB11_10 Depth=3
	s_wait_alu 0xfffe
	s_and_not1_saveexec_b32 s5, s5
	s_cbranch_execz .LBB11_9
; %bb.45:                               ;   in Loop: Header=BB11_10 Depth=3
	global_load_b32 v32, v[32:33], off
	s_wait_loadcnt 0x0
	ds_store_b32 v42, v32 offset:2112
	s_branch .LBB11_9
.LBB11_46:                              ;   in Loop: Header=BB11_7 Depth=2
	v_mul_lo_u32 v30, s25, v48
	v_mul_lo_u32 v31, s24, v51
	v_mad_co_u64_u32 v[28:29], null, s24, v48, 0
	v_cmp_gt_i32_e32 vcc_lo, s30, v48
	s_delay_alu instid0(VALU_DEP_2) | instskip(NEXT) | instid1(VALU_DEP_1)
	v_add3_u32 v29, v29, v31, v30
	v_lshlrev_b64_e32 v[28:29], 2, v[28:29]
	s_delay_alu instid0(VALU_DEP_1) | instskip(SKIP_1) | instid1(VALU_DEP_2)
	v_add_co_u32 v28, s4, s18, v28
	s_wait_alu 0xf1ff
	v_add_co_ci_u32_e64 v29, null, s19, v29, s4
	s_and_b32 s4, s2, vcc_lo
	s_wait_alu 0xfffe
	s_and_saveexec_b32 s5, s4
	s_cbranch_execz .LBB11_48
; %bb.47:                               ;   in Loop: Header=BB11_7 Depth=2
	v_add_co_u32 v30, s4, v28, v6
	s_wait_alu 0xf1ff
	v_add_co_ci_u32_e64 v31, null, v29, v7, s4
	global_load_b32 v32, v[30:31], off
	s_wait_loadcnt 0x0
	v_fmac_f32_e32 v32, s31, v52
	global_store_b32 v[30:31], v32, off
.LBB11_48:                              ;   in Loop: Header=BB11_7 Depth=2
	s_wait_alu 0xfffe
	s_or_b32 exec_lo, exec_lo, s5
	s_and_b32 s5, s3, vcc_lo
	s_wait_alu 0xfffe
	s_and_saveexec_b32 s4, s5
	s_cbranch_execz .LBB11_50
; %bb.49:                               ;   in Loop: Header=BB11_7 Depth=2
	v_add_co_u32 v28, vcc_lo, v28, v18
	s_wait_alu 0xfffd
	v_add_co_ci_u32_e64 v29, null, v29, v19, vcc_lo
	global_load_b32 v30, v[28:29], off
	s_wait_loadcnt 0x0
	v_fmac_f32_e32 v30, s31, v50
	global_store_b32 v[28:29], v30, off
.LBB11_50:                              ;   in Loop: Header=BB11_7 Depth=2
	s_wait_alu 0xfffe
	s_or_b32 exec_lo, exec_lo, s4
	v_add_nc_u32_e32 v30, 16, v48
	s_delay_alu instid0(VALU_DEP_1) | instskip(SKIP_3) | instid1(VALU_DEP_4)
	v_ashrrev_i32_e32 v31, 31, v30
	v_mul_lo_u32 v32, s25, v30
	v_mad_co_u64_u32 v[28:29], null, s24, v30, 0
	v_cmp_gt_i32_e32 vcc_lo, s30, v30
	v_mul_lo_u32 v31, s24, v31
	s_delay_alu instid0(VALU_DEP_1) | instskip(NEXT) | instid1(VALU_DEP_1)
	v_add3_u32 v29, v29, v31, v32
	v_lshlrev_b64_e32 v[28:29], 2, v[28:29]
	s_delay_alu instid0(VALU_DEP_1) | instskip(SKIP_1) | instid1(VALU_DEP_2)
	v_add_co_u32 v28, s4, s18, v28
	s_wait_alu 0xf1ff
	v_add_co_ci_u32_e64 v29, null, s19, v29, s4
	s_and_b32 s4, s2, vcc_lo
	s_wait_alu 0xfffe
	s_and_saveexec_b32 s5, s4
	s_cbranch_execz .LBB11_52
; %bb.51:                               ;   in Loop: Header=BB11_7 Depth=2
	v_add_co_u32 v30, s4, v28, v6
	s_wait_alu 0xf1ff
	v_add_co_ci_u32_e64 v31, null, v29, v7, s4
	global_load_b32 v32, v[30:31], off
	s_wait_loadcnt 0x0
	v_fmac_f32_e32 v32, s31, v49
	global_store_b32 v[30:31], v32, off
.LBB11_52:                              ;   in Loop: Header=BB11_7 Depth=2
	s_wait_alu 0xfffe
	s_or_b32 exec_lo, exec_lo, s5
	s_and_b32 s5, s3, vcc_lo
	s_wait_alu 0xfffe
	s_and_saveexec_b32 s4, s5
	s_cbranch_execz .LBB11_6
; %bb.53:                               ;   in Loop: Header=BB11_7 Depth=2
	v_add_co_u32 v28, vcc_lo, v28, v18
	s_wait_alu 0xfffd
	v_add_co_ci_u32_e64 v29, null, v29, v19, vcc_lo
	global_load_b32 v30, v[28:29], off
	s_wait_loadcnt 0x0
	v_fmac_f32_e32 v30, s31, v27
	global_store_b32 v[28:29], v30, off
	s_branch .LBB11_6
.LBB11_54:
	s_endpgm
	.section	.rodata,"a",@progbits
	.p2align	6, 0x0
	.amdhsa_kernel _ZL30rocblas_trmm_outofplace_kernelIfLi32ELi2ELb1ELb1ELb1ELb1EfKffEv17rocblas_diagonal_iiT6_lPT7_lllS4_lllPT8_llli
		.amdhsa_group_segment_fixed_size 8192
		.amdhsa_private_segment_fixed_size 0
		.amdhsa_kernarg_size 384
		.amdhsa_user_sgpr_count 2
		.amdhsa_user_sgpr_dispatch_ptr 0
		.amdhsa_user_sgpr_queue_ptr 0
		.amdhsa_user_sgpr_kernarg_segment_ptr 1
		.amdhsa_user_sgpr_dispatch_id 0
		.amdhsa_user_sgpr_private_segment_size 0
		.amdhsa_wavefront_size32 1
		.amdhsa_uses_dynamic_stack 0
		.amdhsa_enable_private_segment 0
		.amdhsa_system_sgpr_workgroup_id_x 1
		.amdhsa_system_sgpr_workgroup_id_y 1
		.amdhsa_system_sgpr_workgroup_id_z 1
		.amdhsa_system_sgpr_workgroup_info 0
		.amdhsa_system_vgpr_workitem_id 1
		.amdhsa_next_free_vgpr 93
		.amdhsa_next_free_sgpr 54
		.amdhsa_reserve_vcc 1
		.amdhsa_float_round_mode_32 0
		.amdhsa_float_round_mode_16_64 0
		.amdhsa_float_denorm_mode_32 3
		.amdhsa_float_denorm_mode_16_64 3
		.amdhsa_fp16_overflow 0
		.amdhsa_workgroup_processor_mode 1
		.amdhsa_memory_ordered 1
		.amdhsa_forward_progress 1
		.amdhsa_inst_pref_size 28
		.amdhsa_round_robin_scheduling 0
		.amdhsa_exception_fp_ieee_invalid_op 0
		.amdhsa_exception_fp_denorm_src 0
		.amdhsa_exception_fp_ieee_div_zero 0
		.amdhsa_exception_fp_ieee_overflow 0
		.amdhsa_exception_fp_ieee_underflow 0
		.amdhsa_exception_fp_ieee_inexact 0
		.amdhsa_exception_int_div_zero 0
	.end_amdhsa_kernel
	.section	.text._ZL30rocblas_trmm_outofplace_kernelIfLi32ELi2ELb1ELb1ELb1ELb1EfKffEv17rocblas_diagonal_iiT6_lPT7_lllS4_lllPT8_llli,"axG",@progbits,_ZL30rocblas_trmm_outofplace_kernelIfLi32ELi2ELb1ELb1ELb1ELb1EfKffEv17rocblas_diagonal_iiT6_lPT7_lllS4_lllPT8_llli,comdat
.Lfunc_end11:
	.size	_ZL30rocblas_trmm_outofplace_kernelIfLi32ELi2ELb1ELb1ELb1ELb1EfKffEv17rocblas_diagonal_iiT6_lPT7_lllS4_lllPT8_llli, .Lfunc_end11-_ZL30rocblas_trmm_outofplace_kernelIfLi32ELi2ELb1ELb1ELb1ELb1EfKffEv17rocblas_diagonal_iiT6_lPT7_lllS4_lllPT8_llli
                                        ; -- End function
	.set _ZL30rocblas_trmm_outofplace_kernelIfLi32ELi2ELb1ELb1ELb1ELb1EfKffEv17rocblas_diagonal_iiT6_lPT7_lllS4_lllPT8_llli.num_vgpr, 93
	.set _ZL30rocblas_trmm_outofplace_kernelIfLi32ELi2ELb1ELb1ELb1ELb1EfKffEv17rocblas_diagonal_iiT6_lPT7_lllS4_lllPT8_llli.num_agpr, 0
	.set _ZL30rocblas_trmm_outofplace_kernelIfLi32ELi2ELb1ELb1ELb1ELb1EfKffEv17rocblas_diagonal_iiT6_lPT7_lllS4_lllPT8_llli.numbered_sgpr, 54
	.set _ZL30rocblas_trmm_outofplace_kernelIfLi32ELi2ELb1ELb1ELb1ELb1EfKffEv17rocblas_diagonal_iiT6_lPT7_lllS4_lllPT8_llli.num_named_barrier, 0
	.set _ZL30rocblas_trmm_outofplace_kernelIfLi32ELi2ELb1ELb1ELb1ELb1EfKffEv17rocblas_diagonal_iiT6_lPT7_lllS4_lllPT8_llli.private_seg_size, 0
	.set _ZL30rocblas_trmm_outofplace_kernelIfLi32ELi2ELb1ELb1ELb1ELb1EfKffEv17rocblas_diagonal_iiT6_lPT7_lllS4_lllPT8_llli.uses_vcc, 1
	.set _ZL30rocblas_trmm_outofplace_kernelIfLi32ELi2ELb1ELb1ELb1ELb1EfKffEv17rocblas_diagonal_iiT6_lPT7_lllS4_lllPT8_llli.uses_flat_scratch, 0
	.set _ZL30rocblas_trmm_outofplace_kernelIfLi32ELi2ELb1ELb1ELb1ELb1EfKffEv17rocblas_diagonal_iiT6_lPT7_lllS4_lllPT8_llli.has_dyn_sized_stack, 0
	.set _ZL30rocblas_trmm_outofplace_kernelIfLi32ELi2ELb1ELb1ELb1ELb1EfKffEv17rocblas_diagonal_iiT6_lPT7_lllS4_lllPT8_llli.has_recursion, 0
	.set _ZL30rocblas_trmm_outofplace_kernelIfLi32ELi2ELb1ELb1ELb1ELb1EfKffEv17rocblas_diagonal_iiT6_lPT7_lllS4_lllPT8_llli.has_indirect_call, 0
	.section	.AMDGPU.csdata,"",@progbits
; Kernel info:
; codeLenInByte = 3560
; TotalNumSgprs: 56
; NumVgprs: 93
; ScratchSize: 0
; MemoryBound: 0
; FloatMode: 240
; IeeeMode: 1
; LDSByteSize: 8192 bytes/workgroup (compile time only)
; SGPRBlocks: 0
; VGPRBlocks: 11
; NumSGPRsForWavesPerEU: 56
; NumVGPRsForWavesPerEU: 93
; Occupancy: 16
; WaveLimiterHint : 0
; COMPUTE_PGM_RSRC2:SCRATCH_EN: 0
; COMPUTE_PGM_RSRC2:USER_SGPR: 2
; COMPUTE_PGM_RSRC2:TRAP_HANDLER: 0
; COMPUTE_PGM_RSRC2:TGID_X_EN: 1
; COMPUTE_PGM_RSRC2:TGID_Y_EN: 1
; COMPUTE_PGM_RSRC2:TGID_Z_EN: 1
; COMPUTE_PGM_RSRC2:TIDIG_COMP_CNT: 1
	.section	.text._ZL30rocblas_trmm_outofplace_kernelIfLi32ELi2ELb0ELb0ELb0ELb0EPKfS0_fEv17rocblas_diagonal_iiT6_lPT7_lllS5_lllPT8_llli,"axG",@progbits,_ZL30rocblas_trmm_outofplace_kernelIfLi32ELi2ELb0ELb0ELb0ELb0EPKfS0_fEv17rocblas_diagonal_iiT6_lPT7_lllS5_lllPT8_llli,comdat
	.globl	_ZL30rocblas_trmm_outofplace_kernelIfLi32ELi2ELb0ELb0ELb0ELb0EPKfS0_fEv17rocblas_diagonal_iiT6_lPT7_lllS5_lllPT8_llli ; -- Begin function _ZL30rocblas_trmm_outofplace_kernelIfLi32ELi2ELb0ELb0ELb0ELb0EPKfS0_fEv17rocblas_diagonal_iiT6_lPT7_lllS5_lllPT8_llli
	.p2align	8
	.type	_ZL30rocblas_trmm_outofplace_kernelIfLi32ELi2ELb0ELb0ELb0ELb0EPKfS0_fEv17rocblas_diagonal_iiT6_lPT7_lllS5_lllPT8_llli,@function
_ZL30rocblas_trmm_outofplace_kernelIfLi32ELi2ELb0ELb0ELb0ELb0EPKfS0_fEv17rocblas_diagonal_iiT6_lPT7_lllS5_lllPT8_llli: ; @_ZL30rocblas_trmm_outofplace_kernelIfLi32ELi2ELb0ELb0ELb0ELb0EPKfS0_fEv17rocblas_diagonal_iiT6_lPT7_lllS5_lllPT8_llli
; %bb.0:
	s_load_b32 s11, s[0:1], 0x80
	s_lshr_b32 s34, ttmp7, 16
	s_wait_kmcnt 0x0
	s_cmp_ge_u32 s34, s11
	s_cbranch_scc1 .LBB12_56
; %bb.1:
	s_clause 0x3
	s_load_b96 s[8:10], s[0:1], 0x0
	s_load_b256 s[36:43], s[0:1], 0x50
	s_load_b512 s[12:27], s[0:1], 0x10
	s_load_b128 s[28:31], s[0:1], 0x70
	s_add_nc_u64 s[44:45], s[0:1], 0x88
	v_dual_mov_b32 v45, 0 :: v_dual_and_b32 v6, 0x3ff, v0
	s_and_b32 s33, ttmp7, 0xffff
	v_bfe_u32 v38, v0, 10, 10
	s_delay_alu instid0(VALU_DEP_2) | instskip(SKIP_2) | instid1(VALU_DEP_3)
	v_dual_mov_b32 v46, 1.0 :: v_dual_lshlrev_b32 v1, 2, v6
	v_lshl_add_u32 v2, ttmp9, 5, v6
	s_mov_b32 s35, 0
	v_lshlrev_b32_e32 v39, 7, v38
	s_delay_alu instid0(VALU_DEP_3) | instskip(NEXT) | instid1(VALU_DEP_3)
	v_or_b32_e32 v40, 0x1000, v1
	v_ashrrev_i32_e32 v3, 31, v2
	v_add_nc_u32_e32 v0, 16, v2
	s_delay_alu instid0(VALU_DEP_4) | instskip(NEXT) | instid1(VALU_DEP_4)
	v_add_nc_u32_e32 v41, v39, v1
	v_add_nc_u32_e32 v42, v40, v39
	s_wait_kmcnt 0x0
	s_add_co_i32 s0, s10, -1
	s_lshl_b64 s[2:3], s[42:43], 2
	s_wait_alu 0xfffe
	s_ashr_i32 s1, s0, 31
	s_add_nc_u64 s[40:41], s[40:41], s[2:3]
	s_wait_alu 0xfffe
	s_lshr_b32 s1, s1, 27
	v_sub_co_u32 v4, vcc_lo, s9, v2
	s_wait_alu 0xfffe
	s_add_co_i32 s0, s0, s1
	v_ashrrev_i32_e32 v1, 31, v0
	s_wait_alu 0xfffe
	s_ashr_i32 s54, s0, 5
	v_cmp_gt_i32_e64 s0, s9, v2
	s_cmp_le_i32 s33, s54
	v_cmp_gt_i32_e64 s1, s9, v0
	s_cselect_b32 s55, -1, 0
	s_cmp_eq_u32 s8, 0x84
	v_add_nc_u32_e32 v47, 0x400, v40
	s_cselect_b32 s56, -1, 0
	s_ashr_i32 s2, s9, 31
	s_lshl_b32 s4, s33, 5
	v_sub_co_ci_u32_e64 v5, null, s2, v3, vcc_lo
	v_lshlrev_b64_e32 v[2:3], 2, v[2:3]
	v_add_nc_u32_e32 v43, s4, v6
	v_add_nc_u32_e32 v44, s4, v38
	s_lshl_b64 s[4:5], s[26:27], 2
	v_cmp_gt_i64_e64 s2, 1, v[4:5]
	s_wait_alu 0xfffe
	s_add_nc_u64 s[4:5], s[24:25], s[4:5]
	v_cmp_gt_i64_e64 s3, 17, v[4:5]
	s_wait_alu 0xfffe
	v_add_co_u32 v4, vcc_lo, s4, v2
	s_wait_alu 0xfffd
	v_add_co_ci_u32_e64 v5, null, s5, v3, vcc_lo
	v_add_nc_u32_e32 v48, 0x800, v40
	v_add_nc_u32_e32 v49, 0xc00, v40
	s_mov_b32 s42, s10
	s_ashr_i32 s43, s10, 31
	s_lshl_b64 s[4:5], s[18:19], 2
	s_lshl_b64 s[46:47], s[36:37], 7
	s_add_nc_u64 s[48:49], s[42:43], -16
	s_lshl_b64 s[26:27], s[36:37], 2
	s_lshl_b64 s[18:19], s[38:39], 2
	s_wait_alu 0xfffe
	s_add_nc_u64 s[16:17], s[16:17], s[4:5]
	s_lshl_b64 s[22:23], s[22:23], 2
	s_lshl_b64 s[24:25], s[20:21], 2
	s_branch .LBB12_4
.LBB12_2:                               ;   in Loop: Header=BB12_4 Depth=1
	s_add_co_i32 s34, s34, 0x10000
	s_wait_alu 0xfffe
	s_cmp_ge_u32 s34, s11
	s_cselect_b32 s4, -1, 0
.LBB12_3:                               ;   in Loop: Header=BB12_4 Depth=1
	s_wait_alu 0xfffe
	s_and_b32 vcc_lo, exec_lo, s4
	s_wait_alu 0xfffe
	s_cbranch_vccnz .LBB12_56
.LBB12_4:                               ; =>This Loop Header: Depth=1
                                        ;     Child Loop BB12_8 Depth 2
                                        ;       Child Loop BB12_11 Depth 3
	s_mul_u64 s[4:5], s[14:15], s[34:35]
	s_wait_alu 0xfffe
	s_lshl_b64 s[4:5], s[4:5], 2
	s_wait_alu 0xfffe
	s_add_nc_u64 s[4:5], s[12:13], s[4:5]
	global_load_b32 v50, v45, s[4:5]
	s_mov_b32 s4, -1
	s_wait_loadcnt 0x0
	v_cmp_eq_f32_e32 vcc_lo, 0, v50
	s_cbranch_vccnz .LBB12_3
; %bb.5:                                ;   in Loop: Header=BB12_4 Depth=1
	s_and_not1_b32 vcc_lo, exec_lo, s55
	s_wait_alu 0xfffe
	s_cbranch_vccnz .LBB12_2
; %bb.6:                                ;   in Loop: Header=BB12_4 Depth=1
	s_load_b32 s57, s[44:45], 0x4
	v_mad_co_u64_u32 v[6:7], null, s18, s34, v[4:5]
	s_mul_u64 s[4:5], s[30:31], s[34:35]
	v_mov_b32_e32 v10, v43
	s_mul_u64 s[6:7], s[22:23], s[34:35]
	s_wait_alu 0xfffe
	s_lshl_b64 s[4:5], s[4:5], 2
	s_add_nc_u64 s[50:51], s[16:17], s[6:7]
	s_wait_alu 0xfffe
	s_add_nc_u64 s[38:39], s[40:41], s[4:5]
	v_mad_co_u64_u32 v[7:8], null, s19, s34, v[7:8]
	v_mov_b32_e32 v8, v44
	s_mov_b32 s59, s33
	s_wait_kmcnt 0x0
	s_lshl_b32 s58, s57, 5
	s_branch .LBB12_8
.LBB12_7:                               ;   in Loop: Header=BB12_8 Depth=2
	s_wait_alu 0xfffe
	s_or_b32 exec_lo, exec_lo, s4
	v_add_nc_u32_e32 v10, s58, v10
	v_add_nc_u32_e32 v8, s58, v8
	s_add_co_i32 s59, s57, s59
	s_wait_alu 0xfffe
	s_cmp_gt_i32 s59, s54
	s_cbranch_scc1 .LBB12_2
.LBB12_8:                               ;   Parent Loop BB12_4 Depth=1
                                        ; =>  This Loop Header: Depth=2
                                        ;       Child Loop BB12_11 Depth 3
	s_wait_alu 0xfffe
	s_lshl_b32 s4, s59, 5
	v_ashrrev_i32_e32 v11, 31, v10
	s_wait_alu 0xfffe
	v_add_nc_u32_e32 v12, s4, v38
	v_ashrrev_i32_e32 v9, 31, v8
	s_sub_co_i32 s60, s10, s4
	s_wait_alu 0xfffe
	s_cmp_lt_i32 s60, 1
	v_ashrrev_i32_e32 v13, 31, v12
	s_cbranch_scc1 .LBB12_47
; %bb.9:                                ;   in Loop: Header=BB12_8 Depth=2
	v_lshlrev_b64_e32 v[16:17], 2, v[8:9]
	v_mad_co_u64_u32 v[14:15], null, s26, v8, 64
	v_mul_lo_u32 v18, s26, v9
	v_mul_lo_u32 v19, s27, v8
	v_mad_co_u64_u32 v[22:23], null, s24, v8, s[50:51]
	v_add_co_u32 v20, vcc_lo, v16, 64
	s_wait_alu 0xfffd
	v_add_co_ci_u32_e64 v21, null, 0, v17, vcc_lo
	v_sub_co_u32 v16, vcc_lo, v8, v10
	v_add3_u32 v15, v19, v15, v18
	s_delay_alu instid0(VALU_DEP_3)
	v_mul_lo_u32 v28, s20, v21
	v_mul_lo_u32 v29, s21, v20
	v_mad_co_u64_u32 v[18:19], null, s20, v20, s[50:51]
	v_mul_lo_u32 v30, s36, v21
	v_mul_lo_u32 v31, s37, v20
	v_mad_co_u64_u32 v[20:21], null, s36, v20, 64
	v_mul_lo_u32 v32, s24, v9
	v_mul_lo_u32 v33, s25, v8
	s_wait_alu 0xfffd
	v_sub_co_ci_u32_e64 v17, null, v9, v11, vcc_lo
	v_add_co_u32 v26, vcc_lo, v12, 16
	s_wait_alu 0xfffd
	v_add_co_ci_u32_e64 v27, null, 0, v13, vcc_lo
	v_add3_u32 v19, v29, v19, v28
	v_add_co_u32 v28, s5, v16, 16
	v_add3_u32 v21, v31, v21, v30
	s_wait_alu 0xf1ff
	v_add_co_ci_u32_e64 v29, null, 0, v17, s5
	v_add_co_u32 v30, s5, v16, -16
	v_lshlrev_b64_e32 v[24:25], 2, v[10:11]
	v_add3_u32 v23, v33, v23, v32
	v_cmp_le_i64_e64 s4, s[42:43], v[26:27]
	v_dual_mov_b32 v33, v7 :: v_dual_mov_b32 v52, 0
	s_wait_alu 0xf1ff
	v_add_co_ci_u32_e64 v31, null, -1, v17, s5
	v_dual_mov_b32 v51, 0 :: v_dual_mov_b32 v32, v6
	v_dual_mov_b32 v53, 0 :: v_dual_mov_b32 v54, 0
	s_mov_b64 s[52:53], 0
	v_cmp_le_i32_e32 vcc_lo, s10, v12
	s_branch .LBB12_11
.LBB12_10:                              ;   in Loop: Header=BB12_11 Depth=3
	s_wait_alu 0xfffe
	s_or_b32 exec_lo, exec_lo, s5
	s_wait_dscnt 0x0
	s_barrier_signal -1
	s_barrier_wait -1
	global_inv scope:SCOPE_SE
	ds_load_b128 v[34:37], v39
	ds_load_2addr_b32 v[75:76], v40 offset1:16
	ds_load_b128 v[55:58], v39 offset:2048
	ds_load_2addr_b32 v[77:78], v40 offset0:32 offset1:48
	ds_load_b128 v[59:62], v39 offset:16
	ds_load_2addr_b32 v[79:80], v40 offset0:64 offset1:80
	ds_load_b128 v[63:66], v39 offset:32
	ds_load_b128 v[67:70], v39 offset:48
	ds_load_2addr_b32 v[81:82], v40 offset0:96 offset1:112
	ds_load_2addr_b32 v[83:84], v40 offset0:128 offset1:144
	ds_load_b128 v[71:74], v39 offset:2064
	ds_load_2addr_b32 v[85:86], v40 offset0:160 offset1:176
	ds_load_2addr_b32 v[87:88], v40 offset0:192 offset1:208
	;; [unrolled: 1-line block ×3, first 2 shown]
	ds_load_2addr_b32 v[91:92], v47 offset1:16
	ds_load_2addr_b32 v[93:94], v47 offset0:32 offset1:48
	v_add_co_u32 v32, s5, v32, s46
	s_wait_alu 0xf1ff
	v_add_co_ci_u32_e64 v33, null, s47, v33, s5
	v_add_co_u32 v18, s5, 0x80, v18
	s_wait_dscnt 0xd
	v_dual_fmac_f32 v54, v75, v34 :: v_dual_fmac_f32 v51, v76, v55
	v_dual_fmac_f32 v53, v76, v34 :: v_dual_fmac_f32 v52, v75, v55
	ds_load_2addr_b32 v[75:76], v47 offset0:64 offset1:80
	s_wait_dscnt 0xd
	v_dual_fmac_f32 v54, v77, v35 :: v_dual_fmac_f32 v51, v78, v56
	v_dual_fmac_f32 v53, v78, v35 :: v_dual_fmac_f32 v52, v77, v56
	ds_load_2addr_b32 v[77:78], v47 offset0:96 offset1:112
	;; [unrolled: 4-line block ×3, first 2 shown]
	s_wait_dscnt 0xa
	v_dual_fmac_f32 v54, v81, v37 :: v_dual_fmac_f32 v51, v82, v58
	v_dual_fmac_f32 v53, v82, v37 :: v_dual_fmac_f32 v52, v81, v58
	ds_load_b128 v[34:37], v39 offset:2080
	ds_load_b128 v[55:58], v39 offset:2096
	ds_load_2addr_b32 v[81:82], v47 offset0:160 offset1:176
	s_wait_dscnt 0xb
	v_fmac_f32_e32 v51, v84, v71
	v_fmac_f32_e32 v53, v84, v59
	v_fmac_f32_e32 v54, v83, v59
	v_fmac_f32_e32 v52, v83, v71
	ds_load_2addr_b32 v[83:84], v47 offset0:192 offset1:208
	s_wait_dscnt 0xb
	v_fmac_f32_e32 v51, v86, v72
	v_fmac_f32_e32 v53, v86, v60
	v_fmac_f32_e32 v54, v85, v60
	v_fmac_f32_e32 v52, v85, v72
	;; [unrolled: 6-line block ×3, first 2 shown]
	ds_load_2addr_b32 v[87:88], v48 offset1:16
	s_wait_dscnt 0xb
	v_fmac_f32_e32 v51, v90, v74
	v_fmac_f32_e32 v53, v90, v62
	;; [unrolled: 1-line block ×4, first 2 shown]
	ds_load_b128 v[59:62], v39 offset:64
	s_wait_dscnt 0x6
	v_fmac_f32_e32 v51, v92, v34
	v_fmac_f32_e32 v53, v92, v63
	;; [unrolled: 1-line block ×4, first 2 shown]
	ds_load_b128 v[71:74], v39 offset:2112
	v_fmac_f32_e32 v51, v94, v35
	v_fmac_f32_e32 v53, v94, v64
	v_fmac_f32_e32 v54, v93, v64
	v_fmac_f32_e32 v52, v93, v35
	ds_load_2addr_b32 v[63:64], v48 offset0:32 offset1:48
	v_fmac_f32_e32 v51, v76, v36
	v_fmac_f32_e32 v53, v76, v65
	v_fmac_f32_e32 v54, v75, v65
	v_fmac_f32_e32 v52, v75, v36
	ds_load_2addr_b32 v[75:76], v48 offset0:96 offset1:112
	;; [unrolled: 5-line block ×3, first 2 shown]
	s_wait_dscnt 0x9
	v_fmac_f32_e32 v51, v80, v55
	v_fmac_f32_e32 v53, v80, v67
	;; [unrolled: 1-line block ×4, first 2 shown]
	ds_load_b128 v[34:37], v39 offset:80
	s_wait_dscnt 0x9
	v_fmac_f32_e32 v51, v82, v56
	v_fmac_f32_e32 v53, v82, v68
	;; [unrolled: 1-line block ×4, first 2 shown]
	ds_load_2addr_b32 v[67:68], v48 offset0:128 offset1:144
	s_wait_dscnt 0x9
	v_fmac_f32_e32 v51, v84, v57
	v_fmac_f32_e32 v53, v84, v69
	;; [unrolled: 1-line block ×4, first 2 shown]
	ds_load_2addr_b32 v[77:78], v48 offset0:224 offset1:240
	s_wait_dscnt 0x9
	v_fmac_f32_e32 v51, v86, v58
	v_fmac_f32_e32 v53, v86, v70
	;; [unrolled: 1-line block ×4, first 2 shown]
	ds_load_b128 v[55:58], v39 offset:2128
	s_wait_dscnt 0x7
	v_fmac_f32_e32 v51, v88, v71
	v_fmac_f32_e32 v53, v88, v59
	;; [unrolled: 1-line block ×4, first 2 shown]
	ds_load_2addr_b32 v[69:70], v48 offset0:160 offset1:176
	s_wait_dscnt 0x7
	v_fmac_f32_e32 v51, v64, v72
	v_fmac_f32_e32 v53, v64, v60
	;; [unrolled: 1-line block ×4, first 2 shown]
	ds_load_2addr_b32 v[71:72], v48 offset0:192 offset1:208
	s_wait_dscnt 0x6
	v_fmac_f32_e32 v51, v66, v73
	v_fmac_f32_e32 v53, v66, v61
	;; [unrolled: 1-line block ×4, first 2 shown]
	s_wait_alu 0xf1ff
	v_add_co_ci_u32_e64 v19, null, 0, v19, s5
	v_fmac_f32_e32 v53, v76, v62
	v_fmac_f32_e32 v54, v75, v62
	;; [unrolled: 1-line block ×4, first 2 shown]
	ds_load_b128 v[59:62], v39 offset:96
	ds_load_2addr_b32 v[73:74], v49 offset1:16
	s_wait_dscnt 0x6
	v_fmac_f32_e32 v53, v68, v34
	s_wait_dscnt 0x4
	v_dual_fmac_f32 v54, v67, v34 :: v_dual_fmac_f32 v51, v68, v55
	v_fmac_f32_e32 v52, v67, v55
	ds_load_b128 v[63:66], v39 offset:2144
	s_wait_dscnt 0x4
	v_fmac_f32_e32 v53, v70, v35
	v_dual_fmac_f32 v54, v69, v35 :: v_dual_fmac_f32 v51, v70, v56
	ds_load_2addr_b32 v[67:68], v49 offset0:32 offset1:48
	v_fmac_f32_e32 v52, v69, v56
	s_wait_dscnt 0x4
	v_fmac_f32_e32 v53, v72, v36
	v_dual_fmac_f32 v54, v71, v36 :: v_dual_fmac_f32 v51, v72, v57
	ds_load_2addr_b32 v[69:70], v49 offset0:64 offset1:80
	v_fmac_f32_e32 v52, v71, v57
	v_fmac_f32_e32 v53, v78, v37
	v_dual_fmac_f32 v54, v77, v37 :: v_dual_fmac_f32 v51, v78, v58
	ds_load_2addr_b32 v[71:72], v49 offset0:96 offset1:112
	v_fmac_f32_e32 v52, v77, v58
	ds_load_b128 v[34:37], v39 offset:112
	s_wait_dscnt 0x5
	v_fmac_f32_e32 v53, v74, v59
	v_fmac_f32_e32 v54, v73, v59
	ds_load_2addr_b32 v[75:76], v49 offset0:128 offset1:144
	ds_load_b128 v[55:58], v39 offset:2160
	s_wait_dscnt 0x6
	v_fmac_f32_e32 v51, v74, v63
	v_fmac_f32_e32 v52, v73, v63
	ds_load_2addr_b32 v[73:74], v49 offset0:160 offset1:176
	v_add_co_u32 v22, s5, 0x80, v22
	s_wait_dscnt 0x6
	v_fmac_f32_e32 v53, v68, v60
	v_fmac_f32_e32 v54, v67, v60
	;; [unrolled: 1-line block ×4, first 2 shown]
	ds_load_2addr_b32 v[59:60], v49 offset0:192 offset1:208
	s_wait_dscnt 0x6
	v_fmac_f32_e32 v53, v70, v61
	v_fmac_f32_e32 v54, v69, v61
	;; [unrolled: 1-line block ×4, first 2 shown]
	ds_load_2addr_b32 v[63:64], v49 offset0:224 offset1:240
	s_wait_dscnt 0x6
	v_fmac_f32_e32 v53, v72, v62
	v_fmac_f32_e32 v54, v71, v62
	;; [unrolled: 1-line block ×4, first 2 shown]
	s_wait_alu 0xf1ff
	v_add_co_ci_u32_e64 v23, null, 0, v23, s5
	s_wait_dscnt 0x3
	v_dual_fmac_f32 v54, v75, v34 :: v_dual_fmac_f32 v51, v76, v55
	v_dual_fmac_f32 v53, v76, v34 :: v_dual_fmac_f32 v52, v75, v55
	s_add_nc_u64 s[52:53], s[52:53], 32
	s_wait_dscnt 0x2
	s_delay_alu instid0(VALU_DEP_2) | instskip(NEXT) | instid1(VALU_DEP_2)
	v_dual_fmac_f32 v54, v73, v35 :: v_dual_fmac_f32 v51, v74, v56
	v_dual_fmac_f32 v53, v74, v35 :: v_dual_fmac_f32 v52, v73, v56
	s_wait_alu 0xfffe
	s_cmp_ge_i32 s52, s60
	s_wait_dscnt 0x1
	v_dual_fmac_f32 v54, v59, v36 :: v_dual_fmac_f32 v51, v60, v57
	v_dual_fmac_f32 v53, v60, v36 :: v_dual_fmac_f32 v52, v59, v57
	s_wait_loadcnt_dscnt 0x0
	s_delay_alu instid0(VALU_DEP_2) | instskip(NEXT) | instid1(VALU_DEP_2)
	v_dual_fmac_f32 v54, v63, v37 :: v_dual_fmac_f32 v51, v64, v58
	v_dual_fmac_f32 v53, v64, v37 :: v_dual_fmac_f32 v52, v63, v58
	s_barrier_signal -1
	s_barrier_wait -1
	global_inv scope:SCOPE_SE
	s_cbranch_scc1 .LBB12_48
.LBB12_11:                              ;   Parent Loop BB12_4 Depth=1
                                        ;     Parent Loop BB12_8 Depth=2
                                        ; =>    This Inner Loop Header: Depth=3
	s_wait_alu 0xfffe
	v_add_co_u32 v34, s5, v10, s52
	s_wait_alu 0xf1ff
	v_add_co_ci_u32_e64 v35, null, s53, v11, s5
	v_cmp_eq_u64_e64 s7, s[52:53], v[16:17]
	v_add_co_u32 v36, s8, v22, v24
	s_delay_alu instid0(VALU_DEP_3)
	v_cmp_lt_i64_e64 s5, v[34:35], v[12:13]
	v_cmp_le_i64_e64 s6, s[42:43], v[34:35]
	s_wait_alu 0xf1ff
	v_add_co_ci_u32_e64 v37, null, v23, v25, s8
	s_and_b32 s61, s56, s7
                                        ; implicit-def: $vgpr55
	s_or_b32 s8, vcc_lo, s5
	s_wait_alu 0xfffe
	s_or_b32 s7, s6, s8
	s_wait_alu 0xfffe
	s_nor_b32 s7, s7, s61
	s_wait_alu 0xfffe
	s_and_saveexec_b32 s8, s7
	s_wait_alu 0xfffe
	s_xor_b32 s7, exec_lo, s8
	s_cbranch_execz .LBB12_13
; %bb.12:                               ;   in Loop: Header=BB12_11 Depth=3
	global_load_b32 v55, v[36:37], off
.LBB12_13:                              ;   in Loop: Header=BB12_11 Depth=3
	s_wait_alu 0xfffe
	s_and_not1_saveexec_b32 s7, s7
	s_cbranch_execz .LBB12_15
; %bb.14:                               ;   in Loop: Header=BB12_11 Depth=3
	s_wait_loadcnt 0x0
	v_cndmask_b32_e64 v55, 0, 1.0, s61
.LBB12_15:                              ;   in Loop: Header=BB12_11 Depth=3
	s_wait_alu 0xfffe
	s_or_b32 exec_lo, exec_lo, s7
	v_add_co_u32 v56, s7, v34, 16
	s_wait_alu 0xf1ff
	v_add_co_ci_u32_e64 v57, null, 0, v35, s7
	v_cmp_eq_u64_e64 s9, s[52:53], v[30:31]
	s_wait_loadcnt 0x0
	ds_store_b32 v41, v55
	v_cmp_lt_i64_e64 s8, v[56:57], v[12:13]
	v_cmp_le_i64_e64 s7, s[42:43], v[56:57]
	s_and_b32 s9, s56, s9
	s_or_b32 s8, vcc_lo, s8
	s_wait_alu 0xfffe
	s_or_b32 s8, s7, s8
	s_wait_alu 0xfffe
	s_nor_b32 s8, s8, s9
	s_wait_alu 0xfffe
	s_and_saveexec_b32 s62, s8
	s_wait_alu 0xfffe
	s_xor_b32 s8, exec_lo, s62
	s_cbranch_execz .LBB12_17
; %bb.16:                               ;   in Loop: Header=BB12_11 Depth=3
	global_load_b32 v36, v[36:37], off offset:64
	s_wait_loadcnt 0x0
	ds_store_b32 v41, v36 offset:64
.LBB12_17:                              ;   in Loop: Header=BB12_11 Depth=3
	s_wait_alu 0xfffe
	s_and_not1_saveexec_b32 s8, s8
	s_cbranch_execz .LBB12_23
; %bb.18:                               ;   in Loop: Header=BB12_11 Depth=3
	s_xor_b32 s9, s9, -1
	s_wait_alu 0xfffe
	s_and_saveexec_b32 s62, s9
	s_wait_alu 0xfffe
	s_xor_b32 s9, exec_lo, s62
; %bb.19:                               ;   in Loop: Header=BB12_11 Depth=3
	ds_store_b32 v41, v45 offset:64
; %bb.20:                               ;   in Loop: Header=BB12_11 Depth=3
	s_wait_alu 0xfffe
	s_and_not1_saveexec_b32 s9, s9
; %bb.21:                               ;   in Loop: Header=BB12_11 Depth=3
	ds_store_b32 v41, v46 offset:64
; %bb.22:                               ;   in Loop: Header=BB12_11 Depth=3
	s_wait_alu 0xfffe
	s_or_b32 exec_lo, exec_lo, s9
.LBB12_23:                              ;   in Loop: Header=BB12_11 Depth=3
	s_wait_alu 0xfffe
	s_or_b32 exec_lo, exec_lo, s8
	v_cmp_eq_u64_e64 s8, s[52:53], v[28:29]
	v_cmp_lt_i64_e64 s9, v[34:35], v[26:27]
                                        ; implicit-def: $vgpr36
	s_and_b32 s62, s56, s8
	v_add_co_u32 v34, s8, v18, v24
	s_or_b32 s9, s4, s9
	v_add_co_ci_u32_e64 v35, null, v19, v25, s8
	s_wait_alu 0xfffe
	s_or_b32 s8, s9, s62
	s_wait_alu 0xfffe
	s_nor_b32 s6, s6, s8
	s_wait_alu 0xfffe
	s_and_saveexec_b32 s8, s6
	s_wait_alu 0xfffe
	s_xor_b32 s6, exec_lo, s8
	s_cbranch_execz .LBB12_25
; %bb.24:                               ;   in Loop: Header=BB12_11 Depth=3
	global_load_b32 v36, v[34:35], off
.LBB12_25:                              ;   in Loop: Header=BB12_11 Depth=3
	s_wait_alu 0xfffe
	s_and_not1_saveexec_b32 s6, s6
	s_cbranch_execz .LBB12_27
; %bb.26:                               ;   in Loop: Header=BB12_11 Depth=3
	s_wait_loadcnt 0x0
	v_cndmask_b32_e64 v36, 0, 1.0, s62
.LBB12_27:                              ;   in Loop: Header=BB12_11 Depth=3
	s_wait_alu 0xfffe
	s_or_b32 exec_lo, exec_lo, s6
	s_or_b32 s5, s4, s5
	s_wait_loadcnt 0x0
	ds_store_b32 v41, v36 offset:2048
	s_wait_alu 0xfffe
	s_or_b32 s5, s7, s5
	s_wait_alu 0xfffe
	s_nor_b32 s5, s5, s61
	s_wait_alu 0xfffe
	s_and_saveexec_b32 s6, s5
	s_wait_alu 0xfffe
	s_xor_b32 s5, exec_lo, s6
	s_cbranch_execz .LBB12_29
; %bb.28:                               ;   in Loop: Header=BB12_11 Depth=3
	global_load_b32 v34, v[34:35], off offset:64
	s_wait_loadcnt 0x0
	ds_store_b32 v41, v34 offset:2112
.LBB12_29:                              ;   in Loop: Header=BB12_11 Depth=3
	s_wait_alu 0xfffe
	s_and_not1_saveexec_b32 s5, s5
	s_cbranch_execz .LBB12_35
; %bb.30:                               ;   in Loop: Header=BB12_11 Depth=3
	s_xor_b32 s6, s61, -1
	s_wait_alu 0xfffe
	s_and_saveexec_b32 s7, s6
	s_wait_alu 0xfffe
	s_xor_b32 s6, exec_lo, s7
; %bb.31:                               ;   in Loop: Header=BB12_11 Depth=3
	ds_store_b32 v41, v45 offset:2112
; %bb.32:                               ;   in Loop: Header=BB12_11 Depth=3
	s_wait_alu 0xfffe
	s_and_not1_saveexec_b32 s6, s6
; %bb.33:                               ;   in Loop: Header=BB12_11 Depth=3
	ds_store_b32 v41, v46 offset:2112
; %bb.34:                               ;   in Loop: Header=BB12_11 Depth=3
	s_wait_alu 0xfffe
	s_or_b32 exec_lo, exec_lo, s6
.LBB12_35:                              ;   in Loop: Header=BB12_11 Depth=3
	s_wait_alu 0xfffe
	s_or_b32 exec_lo, exec_lo, s5
	v_add_co_u32 v34, s5, v8, s52
	s_wait_alu 0xf1ff
	v_add_co_ci_u32_e64 v35, null, s53, v9, s5
	v_add_co_u32 v36, s6, v32, v14
	s_wait_alu 0xf1ff
	v_add_co_ci_u32_e64 v37, null, v33, v15, s6
	s_delay_alu instid0(VALU_DEP_3)
	v_cmp_le_i64_e64 s5, s[42:43], v[34:35]
	v_mov_b32_e32 v55, 0
	s_nor_b32 s7, s5, s2
	s_wait_alu 0xfffe
	s_and_saveexec_b32 s6, s7
	s_cbranch_execz .LBB12_37
; %bb.36:                               ;   in Loop: Header=BB12_11 Depth=3
	global_load_b32 v55, v[36:37], off offset:-64
.LBB12_37:                              ;   in Loop: Header=BB12_11 Depth=3
	s_wait_alu 0xfffe
	s_or_b32 exec_lo, exec_lo, s6
	s_nor_b32 s5, s5, s3
	s_wait_loadcnt 0x0
	ds_store_b32 v42, v55
	s_wait_alu 0xfffe
	s_and_saveexec_b32 s6, s5
	s_wait_alu 0xfffe
	s_xor_b32 s5, exec_lo, s6
	s_cbranch_execz .LBB12_39
; %bb.38:                               ;   in Loop: Header=BB12_11 Depth=3
	global_load_b32 v36, v[36:37], off
	s_wait_loadcnt 0x0
	ds_store_b32 v42, v36 offset:64
.LBB12_39:                              ;   in Loop: Header=BB12_11 Depth=3
	s_wait_alu 0xfffe
	s_and_not1_saveexec_b32 s5, s5
; %bb.40:                               ;   in Loop: Header=BB12_11 Depth=3
	ds_store_b32 v42, v45 offset:64
; %bb.41:                               ;   in Loop: Header=BB12_11 Depth=3
	s_wait_alu 0xfffe
	s_or_b32 exec_lo, exec_lo, s5
	v_cmp_le_i64_e64 s5, s[48:49], v[34:35]
	v_add_co_u32 v34, s6, v32, v20
	s_wait_alu 0xf1ff
	v_add_co_ci_u32_e64 v35, null, v33, v21, s6
	v_mov_b32_e32 v36, 0
	s_delay_alu instid0(VALU_DEP_4)
	s_nor_b32 s7, s5, s2
	s_wait_alu 0xfffe
	s_and_saveexec_b32 s6, s7
	s_cbranch_execz .LBB12_43
; %bb.42:                               ;   in Loop: Header=BB12_11 Depth=3
	global_load_b32 v36, v[34:35], off offset:-64
.LBB12_43:                              ;   in Loop: Header=BB12_11 Depth=3
	s_wait_alu 0xfffe
	s_or_b32 exec_lo, exec_lo, s6
	s_nor_b32 s5, s5, s3
	s_wait_loadcnt 0x0
	ds_store_b32 v42, v36 offset:2048
	s_wait_alu 0xfffe
	s_and_saveexec_b32 s6, s5
	s_wait_alu 0xfffe
	s_xor_b32 s5, exec_lo, s6
	s_cbranch_execz .LBB12_45
; %bb.44:                               ;   in Loop: Header=BB12_11 Depth=3
	global_load_b32 v34, v[34:35], off
	s_wait_loadcnt 0x0
	ds_store_b32 v42, v34 offset:2112
.LBB12_45:                              ;   in Loop: Header=BB12_11 Depth=3
	s_wait_alu 0xfffe
	s_and_not1_saveexec_b32 s5, s5
	s_cbranch_execz .LBB12_10
; %bb.46:                               ;   in Loop: Header=BB12_11 Depth=3
	ds_store_b32 v42, v45 offset:2112
	s_branch .LBB12_10
.LBB12_47:                              ;   in Loop: Header=BB12_8 Depth=2
	v_dual_mov_b32 v54, 0 :: v_dual_mov_b32 v53, 0
	v_dual_mov_b32 v52, 0 :: v_dual_mov_b32 v51, 0
.LBB12_48:                              ;   in Loop: Header=BB12_8 Depth=2
	v_mul_lo_u32 v9, s29, v12
	v_mul_lo_u32 v11, s28, v13
	v_mad_co_u64_u32 v[13:14], null, s28, v12, 0
	v_cmp_gt_i32_e32 vcc_lo, s10, v12
	s_delay_alu instid0(VALU_DEP_2) | instskip(NEXT) | instid1(VALU_DEP_1)
	v_add3_u32 v14, v14, v11, v9
	v_lshlrev_b64_e32 v[13:14], 2, v[13:14]
	s_delay_alu instid0(VALU_DEP_1) | instskip(SKIP_1) | instid1(VALU_DEP_2)
	v_add_co_u32 v9, s4, s38, v13
	s_wait_alu 0xf1ff
	v_add_co_ci_u32_e64 v11, null, s39, v14, s4
	s_and_b32 s4, s0, vcc_lo
	s_wait_alu 0xfffe
	s_and_saveexec_b32 s5, s4
	s_cbranch_execz .LBB12_50
; %bb.49:                               ;   in Loop: Header=BB12_8 Depth=2
	v_add_co_u32 v13, s4, v9, v2
	s_wait_alu 0xf1ff
	v_add_co_ci_u32_e64 v14, null, v11, v3, s4
	global_load_b32 v15, v[13:14], off
	s_wait_loadcnt 0x0
	v_fmac_f32_e32 v15, v50, v54
	global_store_b32 v[13:14], v15, off
.LBB12_50:                              ;   in Loop: Header=BB12_8 Depth=2
	s_wait_alu 0xfffe
	s_or_b32 exec_lo, exec_lo, s5
	s_and_b32 s5, s1, vcc_lo
	s_wait_alu 0xfffe
	s_and_saveexec_b32 s4, s5
	s_cbranch_execz .LBB12_52
; %bb.51:                               ;   in Loop: Header=BB12_8 Depth=2
	v_lshlrev_b64_e32 v[13:14], 2, v[0:1]
	s_delay_alu instid0(VALU_DEP_1) | instskip(SKIP_1) | instid1(VALU_DEP_2)
	v_add_co_u32 v13, vcc_lo, v9, v13
	s_wait_alu 0xfffd
	v_add_co_ci_u32_e64 v14, null, v11, v14, vcc_lo
	global_load_b32 v9, v[13:14], off
	s_wait_loadcnt 0x0
	v_fmac_f32_e32 v9, v50, v53
	global_store_b32 v[13:14], v9, off
.LBB12_52:                              ;   in Loop: Header=BB12_8 Depth=2
	s_wait_alu 0xfffe
	s_or_b32 exec_lo, exec_lo, s4
	v_add_nc_u32_e32 v9, 16, v12
	s_delay_alu instid0(VALU_DEP_1) | instskip(SKIP_3) | instid1(VALU_DEP_4)
	v_ashrrev_i32_e32 v13, 31, v9
	v_mul_lo_u32 v14, s29, v9
	v_mad_co_u64_u32 v[11:12], null, s28, v9, 0
	v_cmp_gt_i32_e32 vcc_lo, s10, v9
	v_mul_lo_u32 v13, s28, v13
	s_delay_alu instid0(VALU_DEP_1) | instskip(NEXT) | instid1(VALU_DEP_1)
	v_add3_u32 v12, v12, v13, v14
	v_lshlrev_b64_e32 v[11:12], 2, v[11:12]
	s_delay_alu instid0(VALU_DEP_1) | instskip(SKIP_1) | instid1(VALU_DEP_2)
	v_add_co_u32 v9, s4, s38, v11
	s_wait_alu 0xf1ff
	v_add_co_ci_u32_e64 v11, null, s39, v12, s4
	s_and_b32 s4, s0, vcc_lo
	s_wait_alu 0xfffe
	s_and_saveexec_b32 s5, s4
	s_cbranch_execz .LBB12_54
; %bb.53:                               ;   in Loop: Header=BB12_8 Depth=2
	v_add_co_u32 v12, s4, v9, v2
	s_wait_alu 0xf1ff
	v_add_co_ci_u32_e64 v13, null, v11, v3, s4
	global_load_b32 v14, v[12:13], off
	s_wait_loadcnt 0x0
	v_fmac_f32_e32 v14, v50, v52
	global_store_b32 v[12:13], v14, off
.LBB12_54:                              ;   in Loop: Header=BB12_8 Depth=2
	s_wait_alu 0xfffe
	s_or_b32 exec_lo, exec_lo, s5
	s_and_b32 s5, s1, vcc_lo
	s_wait_alu 0xfffe
	s_and_saveexec_b32 s4, s5
	s_cbranch_execz .LBB12_7
; %bb.55:                               ;   in Loop: Header=BB12_8 Depth=2
	v_lshlrev_b64_e32 v[12:13], 2, v[0:1]
	s_delay_alu instid0(VALU_DEP_1) | instskip(SKIP_1) | instid1(VALU_DEP_2)
	v_add_co_u32 v12, vcc_lo, v9, v12
	s_wait_alu 0xfffd
	v_add_co_ci_u32_e64 v13, null, v11, v13, vcc_lo
	global_load_b32 v9, v[12:13], off
	s_wait_loadcnt 0x0
	v_fmac_f32_e32 v9, v50, v51
	global_store_b32 v[12:13], v9, off
	s_branch .LBB12_7
.LBB12_56:
	s_endpgm
	.section	.rodata,"a",@progbits
	.p2align	6, 0x0
	.amdhsa_kernel _ZL30rocblas_trmm_outofplace_kernelIfLi32ELi2ELb0ELb0ELb0ELb0EPKfS0_fEv17rocblas_diagonal_iiT6_lPT7_lllS5_lllPT8_llli
		.amdhsa_group_segment_fixed_size 8192
		.amdhsa_private_segment_fixed_size 0
		.amdhsa_kernarg_size 392
		.amdhsa_user_sgpr_count 2
		.amdhsa_user_sgpr_dispatch_ptr 0
		.amdhsa_user_sgpr_queue_ptr 0
		.amdhsa_user_sgpr_kernarg_segment_ptr 1
		.amdhsa_user_sgpr_dispatch_id 0
		.amdhsa_user_sgpr_private_segment_size 0
		.amdhsa_wavefront_size32 1
		.amdhsa_uses_dynamic_stack 0
		.amdhsa_enable_private_segment 0
		.amdhsa_system_sgpr_workgroup_id_x 1
		.amdhsa_system_sgpr_workgroup_id_y 1
		.amdhsa_system_sgpr_workgroup_id_z 1
		.amdhsa_system_sgpr_workgroup_info 0
		.amdhsa_system_vgpr_workitem_id 1
		.amdhsa_next_free_vgpr 95
		.amdhsa_next_free_sgpr 63
		.amdhsa_reserve_vcc 1
		.amdhsa_float_round_mode_32 0
		.amdhsa_float_round_mode_16_64 0
		.amdhsa_float_denorm_mode_32 3
		.amdhsa_float_denorm_mode_16_64 3
		.amdhsa_fp16_overflow 0
		.amdhsa_workgroup_processor_mode 1
		.amdhsa_memory_ordered 1
		.amdhsa_forward_progress 1
		.amdhsa_inst_pref_size 28
		.amdhsa_round_robin_scheduling 0
		.amdhsa_exception_fp_ieee_invalid_op 0
		.amdhsa_exception_fp_denorm_src 0
		.amdhsa_exception_fp_ieee_div_zero 0
		.amdhsa_exception_fp_ieee_overflow 0
		.amdhsa_exception_fp_ieee_underflow 0
		.amdhsa_exception_fp_ieee_inexact 0
		.amdhsa_exception_int_div_zero 0
	.end_amdhsa_kernel
	.section	.text._ZL30rocblas_trmm_outofplace_kernelIfLi32ELi2ELb0ELb0ELb0ELb0EPKfS0_fEv17rocblas_diagonal_iiT6_lPT7_lllS5_lllPT8_llli,"axG",@progbits,_ZL30rocblas_trmm_outofplace_kernelIfLi32ELi2ELb0ELb0ELb0ELb0EPKfS0_fEv17rocblas_diagonal_iiT6_lPT7_lllS5_lllPT8_llli,comdat
.Lfunc_end12:
	.size	_ZL30rocblas_trmm_outofplace_kernelIfLi32ELi2ELb0ELb0ELb0ELb0EPKfS0_fEv17rocblas_diagonal_iiT6_lPT7_lllS5_lllPT8_llli, .Lfunc_end12-_ZL30rocblas_trmm_outofplace_kernelIfLi32ELi2ELb0ELb0ELb0ELb0EPKfS0_fEv17rocblas_diagonal_iiT6_lPT7_lllS5_lllPT8_llli
                                        ; -- End function
	.set _ZL30rocblas_trmm_outofplace_kernelIfLi32ELi2ELb0ELb0ELb0ELb0EPKfS0_fEv17rocblas_diagonal_iiT6_lPT7_lllS5_lllPT8_llli.num_vgpr, 95
	.set _ZL30rocblas_trmm_outofplace_kernelIfLi32ELi2ELb0ELb0ELb0ELb0EPKfS0_fEv17rocblas_diagonal_iiT6_lPT7_lllS5_lllPT8_llli.num_agpr, 0
	.set _ZL30rocblas_trmm_outofplace_kernelIfLi32ELi2ELb0ELb0ELb0ELb0EPKfS0_fEv17rocblas_diagonal_iiT6_lPT7_lllS5_lllPT8_llli.numbered_sgpr, 63
	.set _ZL30rocblas_trmm_outofplace_kernelIfLi32ELi2ELb0ELb0ELb0ELb0EPKfS0_fEv17rocblas_diagonal_iiT6_lPT7_lllS5_lllPT8_llli.num_named_barrier, 0
	.set _ZL30rocblas_trmm_outofplace_kernelIfLi32ELi2ELb0ELb0ELb0ELb0EPKfS0_fEv17rocblas_diagonal_iiT6_lPT7_lllS5_lllPT8_llli.private_seg_size, 0
	.set _ZL30rocblas_trmm_outofplace_kernelIfLi32ELi2ELb0ELb0ELb0ELb0EPKfS0_fEv17rocblas_diagonal_iiT6_lPT7_lllS5_lllPT8_llli.uses_vcc, 1
	.set _ZL30rocblas_trmm_outofplace_kernelIfLi32ELi2ELb0ELb0ELb0ELb0EPKfS0_fEv17rocblas_diagonal_iiT6_lPT7_lllS5_lllPT8_llli.uses_flat_scratch, 0
	.set _ZL30rocblas_trmm_outofplace_kernelIfLi32ELi2ELb0ELb0ELb0ELb0EPKfS0_fEv17rocblas_diagonal_iiT6_lPT7_lllS5_lllPT8_llli.has_dyn_sized_stack, 0
	.set _ZL30rocblas_trmm_outofplace_kernelIfLi32ELi2ELb0ELb0ELb0ELb0EPKfS0_fEv17rocblas_diagonal_iiT6_lPT7_lllS5_lllPT8_llli.has_recursion, 0
	.set _ZL30rocblas_trmm_outofplace_kernelIfLi32ELi2ELb0ELb0ELb0ELb0EPKfS0_fEv17rocblas_diagonal_iiT6_lPT7_lllS5_lllPT8_llli.has_indirect_call, 0
	.section	.AMDGPU.csdata,"",@progbits
; Kernel info:
; codeLenInByte = 3532
; TotalNumSgprs: 65
; NumVgprs: 95
; ScratchSize: 0
; MemoryBound: 0
; FloatMode: 240
; IeeeMode: 1
; LDSByteSize: 8192 bytes/workgroup (compile time only)
; SGPRBlocks: 0
; VGPRBlocks: 11
; NumSGPRsForWavesPerEU: 65
; NumVGPRsForWavesPerEU: 95
; Occupancy: 16
; WaveLimiterHint : 0
; COMPUTE_PGM_RSRC2:SCRATCH_EN: 0
; COMPUTE_PGM_RSRC2:USER_SGPR: 2
; COMPUTE_PGM_RSRC2:TRAP_HANDLER: 0
; COMPUTE_PGM_RSRC2:TGID_X_EN: 1
; COMPUTE_PGM_RSRC2:TGID_Y_EN: 1
; COMPUTE_PGM_RSRC2:TGID_Z_EN: 1
; COMPUTE_PGM_RSRC2:TIDIG_COMP_CNT: 1
	.section	.text._ZL30rocblas_trmm_outofplace_kernelIfLi32ELi2ELb0ELb0ELb0ELb0EfKffEv17rocblas_diagonal_iiT6_lPT7_lllS4_lllPT8_llli,"axG",@progbits,_ZL30rocblas_trmm_outofplace_kernelIfLi32ELi2ELb0ELb0ELb0ELb0EfKffEv17rocblas_diagonal_iiT6_lPT7_lllS4_lllPT8_llli,comdat
	.globl	_ZL30rocblas_trmm_outofplace_kernelIfLi32ELi2ELb0ELb0ELb0ELb0EfKffEv17rocblas_diagonal_iiT6_lPT7_lllS4_lllPT8_llli ; -- Begin function _ZL30rocblas_trmm_outofplace_kernelIfLi32ELi2ELb0ELb0ELb0ELb0EfKffEv17rocblas_diagonal_iiT6_lPT7_lllS4_lllPT8_llli
	.p2align	8
	.type	_ZL30rocblas_trmm_outofplace_kernelIfLi32ELi2ELb0ELb0ELb0ELb0EfKffEv17rocblas_diagonal_iiT6_lPT7_lllS4_lllPT8_llli,@function
_ZL30rocblas_trmm_outofplace_kernelIfLi32ELi2ELb0ELb0ELb0ELb0EfKffEv17rocblas_diagonal_iiT6_lPT7_lllS4_lllPT8_llli: ; @_ZL30rocblas_trmm_outofplace_kernelIfLi32ELi2ELb0ELb0ELb0ELb0EfKffEv17rocblas_diagonal_iiT6_lPT7_lllS4_lllPT8_llli
; %bb.0:
	s_load_b32 s33, s[0:1], 0x78
	s_lshr_b32 s34, ttmp7, 16
	s_wait_kmcnt 0x0
	s_cmp_ge_u32 s34, s33
	s_cbranch_scc1 .LBB13_55
; %bb.1:
	s_load_b128 s[36:39], s[0:1], 0x0
	s_mov_b32 s35, 0
	s_wait_kmcnt 0x0
	s_cmp_eq_f32 s39, 0
	s_cbranch_scc1 .LBB13_55
; %bb.2:
	s_load_b256 s[24:31], s[0:1], 0x58
	s_add_co_i32 s2, s38, -1
	s_load_b512 s[8:23], s[0:1], 0x18
	v_dual_mov_b32 v45, 0 :: v_dual_and_b32 v6, 0x3ff, v0
	s_ashr_i32 s3, s2, 31
	s_and_b32 s50, ttmp7, 0xffff
	s_lshr_b32 s3, s3, 27
	s_delay_alu instid0(VALU_DEP_1)
	v_lshl_add_u32 v2, ttmp9, 5, v6
	s_add_co_i32 s2, s2, s3
	v_bfe_u32 v38, v0, 10, 10
	s_ashr_i32 s51, s2, 5
	v_lshlrev_b32_e32 v0, 2, v6
	s_cmp_le_i32 s50, s51
	v_ashrrev_i32_e32 v3, 31, v2
	s_cselect_b32 s52, -1, 0
	s_cmp_eq_u32 s36, 0x84
	v_dual_mov_b32 v46, 1.0 :: v_dual_lshlrev_b32 v39, 7, v38
	s_cselect_b32 s53, -1, 0
	s_ashr_i32 s2, s37, 31
	v_sub_co_u32 v4, vcc_lo, s37, v2
	s_delay_alu instid0(VALU_DEP_1)
	v_sub_co_ci_u32_e64 v5, null, s2, v3, vcc_lo
	s_wait_kmcnt 0x0
	s_lshl_b64 s[2:3], s[26:27], 2
	v_or_b32_e32 v40, 0x1000, v0
	v_add_nc_u32_e32 v41, v39, v0
	s_wait_alu 0xfffe
	s_add_nc_u64 s[24:25], s[24:25], s[2:3]
	v_add_nc_u32_e32 v0, 16, v2
	v_cmp_gt_i32_e64 s2, s37, v2
	s_lshl_b32 s4, s50, 5
	v_lshlrev_b64_e32 v[2:3], 2, v[2:3]
	v_add_nc_u32_e32 v43, s4, v6
	v_add_nc_u32_e32 v44, s4, v38
	s_lshl_b64 s[4:5], s[18:19], 2
	s_add_nc_u64 s[26:27], s[0:1], 0x80
	s_wait_alu 0xfffe
	s_add_nc_u64 s[4:5], s[16:17], s[4:5]
	v_cmp_gt_i64_e64 s0, 1, v[4:5]
	v_cmp_gt_i64_e64 s1, 17, v[4:5]
	s_wait_alu 0xfffe
	v_add_co_u32 v4, vcc_lo, s4, v2
	v_add_nc_u32_e32 v42, v40, v39
	v_cmp_gt_i32_e64 s3, s37, v0
	v_ashrrev_i32_e32 v1, 31, v0
	s_wait_alu 0xfffd
	v_add_co_ci_u32_e64 v5, null, s5, v3, vcc_lo
	v_add_nc_u32_e32 v47, 0x400, v40
	v_add_nc_u32_e32 v48, 0x800, v40
	;; [unrolled: 1-line block ×3, first 2 shown]
	s_ashr_i32 s41, s38, 31
	s_mov_b32 s40, s38
	s_lshl_b64 s[4:5], s[10:11], 2
	s_lshl_b64 s[42:43], s[20:21], 7
	s_add_nc_u64 s[44:45], s[40:41], -16
	s_lshl_b64 s[18:19], s[20:21], 2
	s_lshl_b64 s[16:17], s[22:23], 2
	s_wait_alu 0xfffe
	s_add_nc_u64 s[10:11], s[8:9], s[4:5]
	s_lshl_b64 s[14:15], s[14:15], 2
	s_lshl_b64 s[22:23], s[12:13], 2
	s_branch .LBB13_4
.LBB13_3:                               ;   in Loop: Header=BB13_4 Depth=1
	s_add_co_i32 s34, s34, 0x10000
	s_wait_alu 0xfffe
	s_cmp_ge_u32 s34, s33
	s_cbranch_scc1 .LBB13_55
.LBB13_4:                               ; =>This Loop Header: Depth=1
                                        ;     Child Loop BB13_7 Depth 2
                                        ;       Child Loop BB13_10 Depth 3
	s_and_not1_b32 vcc_lo, exec_lo, s52
	s_wait_alu 0xfffe
	s_cbranch_vccnz .LBB13_3
; %bb.5:                                ;   in Loop: Header=BB13_4 Depth=1
	s_load_b32 s54, s[26:27], 0x4
	v_mad_co_u64_u32 v[6:7], null, s16, s34, v[4:5]
	s_mul_u64 s[4:5], s[30:31], s[34:35]
	v_mov_b32_e32 v10, v43
	s_mul_u64 s[6:7], s[14:15], s[34:35]
	s_wait_alu 0xfffe
	s_lshl_b64 s[4:5], s[4:5], 2
	s_add_nc_u64 s[46:47], s[10:11], s[6:7]
	s_wait_alu 0xfffe
	s_add_nc_u64 s[36:37], s[24:25], s[4:5]
	v_mad_co_u64_u32 v[7:8], null, s17, s34, v[7:8]
	v_mov_b32_e32 v8, v44
	s_mov_b32 s56, s50
	s_wait_kmcnt 0x0
	s_lshl_b32 s55, s54, 5
	s_branch .LBB13_7
.LBB13_6:                               ;   in Loop: Header=BB13_7 Depth=2
	s_wait_alu 0xfffe
	s_or_b32 exec_lo, exec_lo, s4
	v_add_nc_u32_e32 v10, s55, v10
	v_add_nc_u32_e32 v8, s55, v8
	s_add_co_i32 s56, s54, s56
	s_delay_alu instid0(SALU_CYCLE_1)
	s_cmp_gt_i32 s56, s51
	s_cbranch_scc1 .LBB13_3
.LBB13_7:                               ;   Parent Loop BB13_4 Depth=1
                                        ; =>  This Loop Header: Depth=2
                                        ;       Child Loop BB13_10 Depth 3
	s_lshl_b32 s4, s56, 5
	v_ashrrev_i32_e32 v11, 31, v10
	s_wait_alu 0xfffe
	v_add_nc_u32_e32 v12, s4, v38
	v_ashrrev_i32_e32 v9, 31, v8
	s_sub_co_i32 s57, s38, s4
	s_delay_alu instid0(SALU_CYCLE_1) | instskip(NEXT) | instid1(VALU_DEP_2)
	s_cmp_lt_i32 s57, 1
	v_ashrrev_i32_e32 v13, 31, v12
	s_cbranch_scc1 .LBB13_46
; %bb.8:                                ;   in Loop: Header=BB13_7 Depth=2
	v_lshlrev_b64_e32 v[16:17], 2, v[8:9]
	v_mad_co_u64_u32 v[14:15], null, s18, v8, 64
	v_mul_lo_u32 v18, s18, v9
	v_mul_lo_u32 v19, s19, v8
	v_mad_co_u64_u32 v[22:23], null, s22, v8, s[46:47]
	v_add_co_u32 v20, vcc_lo, v16, 64
	s_wait_alu 0xfffd
	v_add_co_ci_u32_e64 v21, null, 0, v17, vcc_lo
	v_sub_co_u32 v16, vcc_lo, v8, v10
	v_add3_u32 v15, v19, v15, v18
	s_delay_alu instid0(VALU_DEP_3)
	v_mul_lo_u32 v28, s12, v21
	v_mul_lo_u32 v29, s13, v20
	v_mad_co_u64_u32 v[18:19], null, s12, v20, s[46:47]
	v_mul_lo_u32 v30, s20, v21
	v_mul_lo_u32 v31, s21, v20
	v_mad_co_u64_u32 v[20:21], null, s20, v20, 64
	v_mul_lo_u32 v32, s22, v9
	v_mul_lo_u32 v33, s23, v8
	s_wait_alu 0xfffd
	v_sub_co_ci_u32_e64 v17, null, v9, v11, vcc_lo
	v_add_co_u32 v26, vcc_lo, v12, 16
	s_wait_alu 0xfffd
	v_add_co_ci_u32_e64 v27, null, 0, v13, vcc_lo
	v_add3_u32 v19, v29, v19, v28
	v_add_co_u32 v28, s5, v16, 16
	v_add3_u32 v21, v31, v21, v30
	s_wait_alu 0xf1ff
	v_add_co_ci_u32_e64 v29, null, 0, v17, s5
	v_add_co_u32 v30, s5, v16, -16
	v_lshlrev_b64_e32 v[24:25], 2, v[10:11]
	v_add3_u32 v23, v33, v23, v32
	v_cmp_le_i64_e64 s4, s[40:41], v[26:27]
	v_dual_mov_b32 v50, 0 :: v_dual_mov_b32 v33, v7
	s_wait_alu 0xf1ff
	v_add_co_ci_u32_e64 v31, null, -1, v17, s5
	v_dual_mov_b32 v32, v6 :: v_dual_mov_b32 v51, 0
	v_dual_mov_b32 v52, 0 :: v_dual_mov_b32 v53, 0
	s_mov_b64 s[48:49], 0
	v_cmp_le_i32_e32 vcc_lo, s38, v12
	s_branch .LBB13_10
.LBB13_9:                               ;   in Loop: Header=BB13_10 Depth=3
	s_wait_alu 0xfffe
	s_or_b32 exec_lo, exec_lo, s5
	s_wait_dscnt 0x0
	s_barrier_signal -1
	s_barrier_wait -1
	global_inv scope:SCOPE_SE
	ds_load_b128 v[34:37], v39
	ds_load_2addr_b32 v[74:75], v40 offset1:16
	ds_load_b128 v[54:57], v39 offset:2048
	ds_load_2addr_b32 v[76:77], v40 offset0:32 offset1:48
	ds_load_b128 v[58:61], v39 offset:16
	ds_load_2addr_b32 v[78:79], v40 offset0:64 offset1:80
	ds_load_b128 v[62:65], v39 offset:32
	ds_load_b128 v[66:69], v39 offset:48
	ds_load_2addr_b32 v[80:81], v40 offset0:96 offset1:112
	ds_load_2addr_b32 v[82:83], v40 offset0:128 offset1:144
	ds_load_b128 v[70:73], v39 offset:2064
	ds_load_2addr_b32 v[84:85], v40 offset0:160 offset1:176
	ds_load_2addr_b32 v[86:87], v40 offset0:192 offset1:208
	;; [unrolled: 1-line block ×3, first 2 shown]
	ds_load_2addr_b32 v[90:91], v47 offset1:16
	ds_load_2addr_b32 v[92:93], v47 offset0:32 offset1:48
	v_add_co_u32 v32, s5, v32, s42
	s_wait_alu 0xf1ff
	v_add_co_ci_u32_e64 v33, null, s43, v33, s5
	v_add_co_u32 v18, s5, 0x80, v18
	s_wait_dscnt 0xe
	v_fmac_f32_e32 v52, v75, v34
	v_fmac_f32_e32 v53, v74, v34
	s_wait_dscnt 0xd
	v_fmac_f32_e32 v50, v75, v54
	v_fmac_f32_e32 v51, v74, v54
	ds_load_2addr_b32 v[74:75], v47 offset0:64 offset1:80
	s_wait_dscnt 0xd
	v_fmac_f32_e32 v52, v77, v35
	v_fmac_f32_e32 v53, v76, v35
	v_fmac_f32_e32 v50, v77, v55
	v_fmac_f32_e32 v51, v76, v55
	ds_load_2addr_b32 v[76:77], v47 offset0:96 offset1:112
	s_wait_dscnt 0xc
	v_fmac_f32_e32 v52, v79, v36
	v_fmac_f32_e32 v53, v78, v36
	;; [unrolled: 6-line block ×3, first 2 shown]
	v_fmac_f32_e32 v50, v81, v57
	v_fmac_f32_e32 v51, v80, v57
	ds_load_b128 v[34:37], v39 offset:2080
	ds_load_b128 v[54:57], v39 offset:2096
	s_wait_dscnt 0xb
	v_fmac_f32_e32 v52, v83, v58
	v_fmac_f32_e32 v53, v82, v58
	s_wait_dscnt 0xa
	v_fmac_f32_e32 v50, v83, v70
	v_fmac_f32_e32 v51, v82, v70
	ds_load_2addr_b32 v[80:81], v47 offset0:160 offset1:176
	s_wait_dscnt 0xa
	v_fmac_f32_e32 v52, v85, v59
	v_fmac_f32_e32 v53, v84, v59
	v_fmac_f32_e32 v50, v85, v71
	v_fmac_f32_e32 v51, v84, v71
	ds_load_2addr_b32 v[82:83], v47 offset0:192 offset1:208
	s_wait_dscnt 0xa
	v_fmac_f32_e32 v52, v87, v60
	v_fmac_f32_e32 v53, v86, v60
	;; [unrolled: 6-line block ×3, first 2 shown]
	v_fmac_f32_e32 v50, v89, v73
	v_fmac_f32_e32 v51, v88, v73
	ds_load_b128 v[58:61], v39 offset:64
	s_wait_dscnt 0xa
	v_fmac_f32_e32 v52, v91, v62
	v_fmac_f32_e32 v53, v90, v62
	s_wait_dscnt 0x5
	v_fmac_f32_e32 v50, v91, v34
	v_fmac_f32_e32 v51, v90, v34
	ds_load_2addr_b32 v[86:87], v48 offset1:16
	v_fmac_f32_e32 v52, v93, v63
	v_fmac_f32_e32 v53, v92, v63
	;; [unrolled: 1-line block ×4, first 2 shown]
	ds_load_b128 v[70:73], v39 offset:2112
	v_fmac_f32_e32 v52, v75, v64
	v_fmac_f32_e32 v53, v74, v64
	v_fmac_f32_e32 v50, v75, v36
	v_fmac_f32_e32 v51, v74, v36
	ds_load_2addr_b32 v[62:63], v48 offset0:32 offset1:48
	v_fmac_f32_e32 v52, v77, v65
	v_fmac_f32_e32 v53, v76, v65
	;; [unrolled: 1-line block ×4, first 2 shown]
	ds_load_2addr_b32 v[64:65], v48 offset0:64 offset1:80
	v_fmac_f32_e32 v52, v79, v66
	v_fmac_f32_e32 v53, v78, v66
	s_wait_dscnt 0x8
	v_fmac_f32_e32 v50, v79, v54
	v_fmac_f32_e32 v51, v78, v54
	ds_load_2addr_b32 v[74:75], v48 offset0:96 offset1:112
	s_wait_dscnt 0x8
	v_fmac_f32_e32 v52, v81, v67
	v_fmac_f32_e32 v53, v80, v67
	v_fmac_f32_e32 v50, v81, v55
	v_fmac_f32_e32 v51, v80, v55
	ds_load_b128 v[34:37], v39 offset:80
	s_wait_dscnt 0x8
	v_fmac_f32_e32 v52, v83, v68
	v_fmac_f32_e32 v53, v82, v68
	;; [unrolled: 1-line block ×4, first 2 shown]
	ds_load_2addr_b32 v[66:67], v48 offset0:128 offset1:144
	s_wait_dscnt 0x8
	v_fmac_f32_e32 v52, v85, v69
	v_fmac_f32_e32 v53, v84, v69
	;; [unrolled: 1-line block ×4, first 2 shown]
	ds_load_b128 v[54:57], v39 offset:2128
	s_wait_dscnt 0x7
	v_fmac_f32_e32 v52, v87, v58
	v_fmac_f32_e32 v53, v86, v58
	s_wait_dscnt 0x6
	v_fmac_f32_e32 v50, v87, v70
	v_fmac_f32_e32 v51, v86, v70
	ds_load_2addr_b32 v[68:69], v48 offset0:160 offset1:176
	s_wait_dscnt 0x6
	v_fmac_f32_e32 v52, v63, v59
	v_fmac_f32_e32 v53, v62, v59
	v_fmac_f32_e32 v50, v63, v71
	v_fmac_f32_e32 v51, v62, v71
	ds_load_2addr_b32 v[70:71], v48 offset0:192 offset1:208
	s_wait_dscnt 0x6
	v_fmac_f32_e32 v52, v65, v60
	v_fmac_f32_e32 v53, v64, v60
	;; [unrolled: 6-line block ×3, first 2 shown]
	v_fmac_f32_e32 v50, v75, v73
	v_fmac_f32_e32 v51, v74, v73
	ds_load_b128 v[58:61], v39 offset:96
	ds_load_2addr_b32 v[72:73], v49 offset1:16
	s_wait_dscnt 0x6
	v_fmac_f32_e32 v52, v67, v34
	v_fmac_f32_e32 v53, v66, v34
	s_wait_dscnt 0x5
	v_fmac_f32_e32 v50, v67, v54
	v_fmac_f32_e32 v51, v66, v54
	ds_load_b128 v[62:65], v39 offset:2144
	s_wait_dscnt 0x5
	v_fmac_f32_e32 v52, v69, v35
	v_fmac_f32_e32 v53, v68, v35
	ds_load_2addr_b32 v[66:67], v49 offset0:32 offset1:48
	v_fmac_f32_e32 v50, v69, v55
	s_wait_dscnt 0x5
	v_dual_fmac_f32 v51, v68, v55 :: v_dual_fmac_f32 v52, v71, v36
	v_fmac_f32_e32 v53, v70, v36
	ds_load_2addr_b32 v[68:69], v49 offset0:64 offset1:80
	v_fmac_f32_e32 v50, v71, v56
	s_wait_dscnt 0x5
	v_dual_fmac_f32 v51, v70, v56 :: v_dual_fmac_f32 v52, v77, v37
	v_fmac_f32_e32 v53, v76, v37
	ds_load_2addr_b32 v[70:71], v49 offset0:96 offset1:112
	v_fmac_f32_e32 v50, v77, v57
	v_fmac_f32_e32 v51, v76, v57
	ds_load_b128 v[34:37], v39 offset:112
	s_wait_dscnt 0x5
	v_fmac_f32_e32 v52, v73, v58
	v_fmac_f32_e32 v53, v72, v58
	ds_load_2addr_b32 v[74:75], v49 offset0:128 offset1:144
	ds_load_b128 v[54:57], v39 offset:2160
	s_wait_dscnt 0x6
	v_fmac_f32_e32 v50, v73, v62
	v_fmac_f32_e32 v51, v72, v62
	ds_load_2addr_b32 v[72:73], v49 offset0:160 offset1:176
	s_wait_dscnt 0x6
	v_fmac_f32_e32 v52, v67, v59
	v_fmac_f32_e32 v53, v66, v59
	v_fmac_f32_e32 v50, v67, v63
	v_fmac_f32_e32 v51, v66, v63
	ds_load_2addr_b32 v[58:59], v49 offset0:192 offset1:208
	s_wait_dscnt 0x6
	v_fmac_f32_e32 v52, v69, v60
	v_fmac_f32_e32 v53, v68, v60
	;; [unrolled: 6-line block ×3, first 2 shown]
	v_fmac_f32_e32 v50, v71, v65
	v_fmac_f32_e32 v51, v70, v65
	s_wait_alu 0xf1ff
	v_add_co_ci_u32_e64 v19, null, 0, v19, s5
	s_wait_dscnt 0x4
	v_fmac_f32_e32 v52, v75, v34
	v_fmac_f32_e32 v53, v74, v34
	s_wait_dscnt 0x3
	v_fmac_f32_e32 v50, v75, v54
	v_fmac_f32_e32 v51, v74, v54
	v_add_co_u32 v22, s5, 0x80, v22
	s_wait_dscnt 0x2
	v_fmac_f32_e32 v52, v73, v35
	v_fmac_f32_e32 v53, v72, v35
	;; [unrolled: 1-line block ×4, first 2 shown]
	s_wait_alu 0xf1ff
	v_add_co_ci_u32_e64 v23, null, 0, v23, s5
	s_wait_dscnt 0x1
	v_fmac_f32_e32 v52, v59, v36
	v_fmac_f32_e32 v53, v58, v36
	;; [unrolled: 1-line block ×4, first 2 shown]
	s_add_nc_u64 s[48:49], s[48:49], 32
	s_wait_dscnt 0x0
	v_fmac_f32_e32 v52, v63, v37
	v_fmac_f32_e32 v53, v62, v37
	;; [unrolled: 1-line block ×4, first 2 shown]
	s_wait_alu 0xfffe
	s_cmp_ge_i32 s48, s57
	s_wait_loadcnt 0x0
	s_barrier_signal -1
	s_barrier_wait -1
	global_inv scope:SCOPE_SE
	s_cbranch_scc1 .LBB13_47
.LBB13_10:                              ;   Parent Loop BB13_4 Depth=1
                                        ;     Parent Loop BB13_7 Depth=2
                                        ; =>    This Inner Loop Header: Depth=3
	s_wait_alu 0xfffe
	v_add_co_u32 v34, s5, v10, s48
	s_wait_alu 0xf1ff
	v_add_co_ci_u32_e64 v35, null, s49, v11, s5
	v_cmp_eq_u64_e64 s7, s[48:49], v[16:17]
	v_add_co_u32 v36, s8, v22, v24
	s_delay_alu instid0(VALU_DEP_3)
	v_cmp_lt_i64_e64 s5, v[34:35], v[12:13]
	v_cmp_le_i64_e64 s6, s[40:41], v[34:35]
	s_wait_alu 0xf1ff
	v_add_co_ci_u32_e64 v37, null, v23, v25, s8
	s_and_b32 s58, s53, s7
                                        ; implicit-def: $vgpr54
	s_or_b32 s8, vcc_lo, s5
	s_wait_alu 0xfffe
	s_or_b32 s7, s6, s8
	s_wait_alu 0xfffe
	s_nor_b32 s7, s7, s58
	s_wait_alu 0xfffe
	s_and_saveexec_b32 s8, s7
	s_wait_alu 0xfffe
	s_xor_b32 s7, exec_lo, s8
	s_cbranch_execz .LBB13_12
; %bb.11:                               ;   in Loop: Header=BB13_10 Depth=3
	global_load_b32 v54, v[36:37], off
.LBB13_12:                              ;   in Loop: Header=BB13_10 Depth=3
	s_wait_alu 0xfffe
	s_and_not1_saveexec_b32 s7, s7
	s_cbranch_execz .LBB13_14
; %bb.13:                               ;   in Loop: Header=BB13_10 Depth=3
	s_wait_loadcnt 0x0
	v_cndmask_b32_e64 v54, 0, 1.0, s58
.LBB13_14:                              ;   in Loop: Header=BB13_10 Depth=3
	s_wait_alu 0xfffe
	s_or_b32 exec_lo, exec_lo, s7
	v_add_co_u32 v55, s7, v34, 16
	s_wait_alu 0xf1ff
	v_add_co_ci_u32_e64 v56, null, 0, v35, s7
	v_cmp_eq_u64_e64 s9, s[48:49], v[30:31]
	s_wait_loadcnt 0x0
	ds_store_b32 v41, v54
	v_cmp_lt_i64_e64 s8, v[55:56], v[12:13]
	v_cmp_le_i64_e64 s7, s[40:41], v[55:56]
	s_and_b32 s9, s53, s9
	s_or_b32 s8, vcc_lo, s8
	s_wait_alu 0xfffe
	s_or_b32 s8, s7, s8
	s_wait_alu 0xfffe
	s_nor_b32 s8, s8, s9
	s_wait_alu 0xfffe
	s_and_saveexec_b32 s59, s8
	s_wait_alu 0xfffe
	s_xor_b32 s8, exec_lo, s59
	s_cbranch_execz .LBB13_16
; %bb.15:                               ;   in Loop: Header=BB13_10 Depth=3
	global_load_b32 v36, v[36:37], off offset:64
	s_wait_loadcnt 0x0
	ds_store_b32 v41, v36 offset:64
.LBB13_16:                              ;   in Loop: Header=BB13_10 Depth=3
	s_wait_alu 0xfffe
	s_and_not1_saveexec_b32 s8, s8
	s_cbranch_execz .LBB13_22
; %bb.17:                               ;   in Loop: Header=BB13_10 Depth=3
	s_xor_b32 s9, s9, -1
	s_wait_alu 0xfffe
	s_and_saveexec_b32 s59, s9
	s_wait_alu 0xfffe
	s_xor_b32 s9, exec_lo, s59
; %bb.18:                               ;   in Loop: Header=BB13_10 Depth=3
	ds_store_b32 v41, v45 offset:64
; %bb.19:                               ;   in Loop: Header=BB13_10 Depth=3
	s_wait_alu 0xfffe
	s_and_not1_saveexec_b32 s9, s9
; %bb.20:                               ;   in Loop: Header=BB13_10 Depth=3
	ds_store_b32 v41, v46 offset:64
; %bb.21:                               ;   in Loop: Header=BB13_10 Depth=3
	s_wait_alu 0xfffe
	s_or_b32 exec_lo, exec_lo, s9
.LBB13_22:                              ;   in Loop: Header=BB13_10 Depth=3
	s_wait_alu 0xfffe
	s_or_b32 exec_lo, exec_lo, s8
	v_cmp_eq_u64_e64 s8, s[48:49], v[28:29]
	v_cmp_lt_i64_e64 s9, v[34:35], v[26:27]
                                        ; implicit-def: $vgpr36
	s_and_b32 s59, s53, s8
	v_add_co_u32 v34, s8, v18, v24
	s_or_b32 s9, s4, s9
	v_add_co_ci_u32_e64 v35, null, v19, v25, s8
	s_wait_alu 0xfffe
	s_or_b32 s8, s9, s59
	s_wait_alu 0xfffe
	s_nor_b32 s6, s6, s8
	s_wait_alu 0xfffe
	s_and_saveexec_b32 s8, s6
	s_wait_alu 0xfffe
	s_xor_b32 s6, exec_lo, s8
	s_cbranch_execz .LBB13_24
; %bb.23:                               ;   in Loop: Header=BB13_10 Depth=3
	global_load_b32 v36, v[34:35], off
.LBB13_24:                              ;   in Loop: Header=BB13_10 Depth=3
	s_wait_alu 0xfffe
	s_and_not1_saveexec_b32 s6, s6
	s_cbranch_execz .LBB13_26
; %bb.25:                               ;   in Loop: Header=BB13_10 Depth=3
	s_wait_loadcnt 0x0
	v_cndmask_b32_e64 v36, 0, 1.0, s59
.LBB13_26:                              ;   in Loop: Header=BB13_10 Depth=3
	s_wait_alu 0xfffe
	s_or_b32 exec_lo, exec_lo, s6
	s_or_b32 s5, s4, s5
	s_wait_loadcnt 0x0
	ds_store_b32 v41, v36 offset:2048
	s_wait_alu 0xfffe
	s_or_b32 s5, s7, s5
	s_wait_alu 0xfffe
	s_nor_b32 s5, s5, s58
	s_wait_alu 0xfffe
	s_and_saveexec_b32 s6, s5
	s_wait_alu 0xfffe
	s_xor_b32 s5, exec_lo, s6
	s_cbranch_execz .LBB13_28
; %bb.27:                               ;   in Loop: Header=BB13_10 Depth=3
	global_load_b32 v34, v[34:35], off offset:64
	s_wait_loadcnt 0x0
	ds_store_b32 v41, v34 offset:2112
.LBB13_28:                              ;   in Loop: Header=BB13_10 Depth=3
	s_wait_alu 0xfffe
	s_and_not1_saveexec_b32 s5, s5
	s_cbranch_execz .LBB13_34
; %bb.29:                               ;   in Loop: Header=BB13_10 Depth=3
	s_xor_b32 s6, s58, -1
	s_wait_alu 0xfffe
	s_and_saveexec_b32 s7, s6
	s_wait_alu 0xfffe
	s_xor_b32 s6, exec_lo, s7
; %bb.30:                               ;   in Loop: Header=BB13_10 Depth=3
	ds_store_b32 v41, v45 offset:2112
; %bb.31:                               ;   in Loop: Header=BB13_10 Depth=3
	s_wait_alu 0xfffe
	s_and_not1_saveexec_b32 s6, s6
; %bb.32:                               ;   in Loop: Header=BB13_10 Depth=3
	ds_store_b32 v41, v46 offset:2112
; %bb.33:                               ;   in Loop: Header=BB13_10 Depth=3
	s_wait_alu 0xfffe
	s_or_b32 exec_lo, exec_lo, s6
.LBB13_34:                              ;   in Loop: Header=BB13_10 Depth=3
	s_wait_alu 0xfffe
	s_or_b32 exec_lo, exec_lo, s5
	v_add_co_u32 v34, s5, v8, s48
	s_wait_alu 0xf1ff
	v_add_co_ci_u32_e64 v35, null, s49, v9, s5
	v_add_co_u32 v36, s6, v32, v14
	s_wait_alu 0xf1ff
	v_add_co_ci_u32_e64 v37, null, v33, v15, s6
	s_delay_alu instid0(VALU_DEP_3)
	v_cmp_le_i64_e64 s5, s[40:41], v[34:35]
	v_mov_b32_e32 v54, 0
	s_nor_b32 s7, s5, s0
	s_wait_alu 0xfffe
	s_and_saveexec_b32 s6, s7
	s_cbranch_execz .LBB13_36
; %bb.35:                               ;   in Loop: Header=BB13_10 Depth=3
	global_load_b32 v54, v[36:37], off offset:-64
.LBB13_36:                              ;   in Loop: Header=BB13_10 Depth=3
	s_wait_alu 0xfffe
	s_or_b32 exec_lo, exec_lo, s6
	s_nor_b32 s5, s5, s1
	s_wait_loadcnt 0x0
	ds_store_b32 v42, v54
	s_wait_alu 0xfffe
	s_and_saveexec_b32 s6, s5
	s_wait_alu 0xfffe
	s_xor_b32 s5, exec_lo, s6
	s_cbranch_execz .LBB13_38
; %bb.37:                               ;   in Loop: Header=BB13_10 Depth=3
	global_load_b32 v36, v[36:37], off
	s_wait_loadcnt 0x0
	ds_store_b32 v42, v36 offset:64
.LBB13_38:                              ;   in Loop: Header=BB13_10 Depth=3
	s_wait_alu 0xfffe
	s_and_not1_saveexec_b32 s5, s5
; %bb.39:                               ;   in Loop: Header=BB13_10 Depth=3
	ds_store_b32 v42, v45 offset:64
; %bb.40:                               ;   in Loop: Header=BB13_10 Depth=3
	s_wait_alu 0xfffe
	s_or_b32 exec_lo, exec_lo, s5
	v_cmp_le_i64_e64 s5, s[44:45], v[34:35]
	v_add_co_u32 v34, s6, v32, v20
	s_wait_alu 0xf1ff
	v_add_co_ci_u32_e64 v35, null, v33, v21, s6
	v_mov_b32_e32 v36, 0
	s_delay_alu instid0(VALU_DEP_4)
	s_nor_b32 s7, s5, s0
	s_wait_alu 0xfffe
	s_and_saveexec_b32 s6, s7
	s_cbranch_execz .LBB13_42
; %bb.41:                               ;   in Loop: Header=BB13_10 Depth=3
	global_load_b32 v36, v[34:35], off offset:-64
.LBB13_42:                              ;   in Loop: Header=BB13_10 Depth=3
	s_wait_alu 0xfffe
	s_or_b32 exec_lo, exec_lo, s6
	s_nor_b32 s5, s5, s1
	s_wait_loadcnt 0x0
	ds_store_b32 v42, v36 offset:2048
	s_wait_alu 0xfffe
	s_and_saveexec_b32 s6, s5
	s_wait_alu 0xfffe
	s_xor_b32 s5, exec_lo, s6
	s_cbranch_execz .LBB13_44
; %bb.43:                               ;   in Loop: Header=BB13_10 Depth=3
	global_load_b32 v34, v[34:35], off
	s_wait_loadcnt 0x0
	ds_store_b32 v42, v34 offset:2112
.LBB13_44:                              ;   in Loop: Header=BB13_10 Depth=3
	s_wait_alu 0xfffe
	s_and_not1_saveexec_b32 s5, s5
	s_cbranch_execz .LBB13_9
; %bb.45:                               ;   in Loop: Header=BB13_10 Depth=3
	ds_store_b32 v42, v45 offset:2112
	s_branch .LBB13_9
.LBB13_46:                              ;   in Loop: Header=BB13_7 Depth=2
	v_dual_mov_b32 v53, 0 :: v_dual_mov_b32 v52, 0
	v_dual_mov_b32 v51, 0 :: v_dual_mov_b32 v50, 0
.LBB13_47:                              ;   in Loop: Header=BB13_7 Depth=2
	v_mul_lo_u32 v9, s29, v12
	v_mul_lo_u32 v11, s28, v13
	v_mad_co_u64_u32 v[13:14], null, s28, v12, 0
	v_cmp_gt_i32_e32 vcc_lo, s38, v12
	s_delay_alu instid0(VALU_DEP_2) | instskip(NEXT) | instid1(VALU_DEP_1)
	v_add3_u32 v14, v14, v11, v9
	v_lshlrev_b64_e32 v[13:14], 2, v[13:14]
	s_delay_alu instid0(VALU_DEP_1) | instskip(SKIP_1) | instid1(VALU_DEP_2)
	v_add_co_u32 v9, s4, s36, v13
	s_wait_alu 0xf1ff
	v_add_co_ci_u32_e64 v11, null, s37, v14, s4
	s_and_b32 s4, s2, vcc_lo
	s_wait_alu 0xfffe
	s_and_saveexec_b32 s5, s4
	s_cbranch_execz .LBB13_49
; %bb.48:                               ;   in Loop: Header=BB13_7 Depth=2
	v_add_co_u32 v13, s4, v9, v2
	s_wait_alu 0xf1ff
	v_add_co_ci_u32_e64 v14, null, v11, v3, s4
	global_load_b32 v15, v[13:14], off
	s_wait_loadcnt 0x0
	v_fmac_f32_e32 v15, s39, v53
	global_store_b32 v[13:14], v15, off
.LBB13_49:                              ;   in Loop: Header=BB13_7 Depth=2
	s_wait_alu 0xfffe
	s_or_b32 exec_lo, exec_lo, s5
	s_and_b32 s5, s3, vcc_lo
	s_wait_alu 0xfffe
	s_and_saveexec_b32 s4, s5
	s_cbranch_execz .LBB13_51
; %bb.50:                               ;   in Loop: Header=BB13_7 Depth=2
	v_lshlrev_b64_e32 v[13:14], 2, v[0:1]
	s_delay_alu instid0(VALU_DEP_1) | instskip(SKIP_1) | instid1(VALU_DEP_2)
	v_add_co_u32 v13, vcc_lo, v9, v13
	s_wait_alu 0xfffd
	v_add_co_ci_u32_e64 v14, null, v11, v14, vcc_lo
	global_load_b32 v9, v[13:14], off
	s_wait_loadcnt 0x0
	v_fmac_f32_e32 v9, s39, v52
	global_store_b32 v[13:14], v9, off
.LBB13_51:                              ;   in Loop: Header=BB13_7 Depth=2
	s_wait_alu 0xfffe
	s_or_b32 exec_lo, exec_lo, s4
	v_add_nc_u32_e32 v9, 16, v12
	s_delay_alu instid0(VALU_DEP_1) | instskip(SKIP_3) | instid1(VALU_DEP_4)
	v_ashrrev_i32_e32 v13, 31, v9
	v_mul_lo_u32 v14, s29, v9
	v_mad_co_u64_u32 v[11:12], null, s28, v9, 0
	v_cmp_gt_i32_e32 vcc_lo, s38, v9
	v_mul_lo_u32 v13, s28, v13
	s_delay_alu instid0(VALU_DEP_1) | instskip(NEXT) | instid1(VALU_DEP_1)
	v_add3_u32 v12, v12, v13, v14
	v_lshlrev_b64_e32 v[11:12], 2, v[11:12]
	s_delay_alu instid0(VALU_DEP_1) | instskip(SKIP_1) | instid1(VALU_DEP_2)
	v_add_co_u32 v9, s4, s36, v11
	s_wait_alu 0xf1ff
	v_add_co_ci_u32_e64 v11, null, s37, v12, s4
	s_and_b32 s4, s2, vcc_lo
	s_wait_alu 0xfffe
	s_and_saveexec_b32 s5, s4
	s_cbranch_execz .LBB13_53
; %bb.52:                               ;   in Loop: Header=BB13_7 Depth=2
	v_add_co_u32 v12, s4, v9, v2
	s_wait_alu 0xf1ff
	v_add_co_ci_u32_e64 v13, null, v11, v3, s4
	global_load_b32 v14, v[12:13], off
	s_wait_loadcnt 0x0
	v_fmac_f32_e32 v14, s39, v51
	global_store_b32 v[12:13], v14, off
.LBB13_53:                              ;   in Loop: Header=BB13_7 Depth=2
	s_wait_alu 0xfffe
	s_or_b32 exec_lo, exec_lo, s5
	s_and_b32 s5, s3, vcc_lo
	s_wait_alu 0xfffe
	s_and_saveexec_b32 s4, s5
	s_cbranch_execz .LBB13_6
; %bb.54:                               ;   in Loop: Header=BB13_7 Depth=2
	v_lshlrev_b64_e32 v[12:13], 2, v[0:1]
	s_delay_alu instid0(VALU_DEP_1) | instskip(SKIP_1) | instid1(VALU_DEP_2)
	v_add_co_u32 v12, vcc_lo, v9, v12
	s_wait_alu 0xfffd
	v_add_co_ci_u32_e64 v13, null, v11, v13, vcc_lo
	global_load_b32 v9, v[12:13], off
	s_wait_loadcnt 0x0
	v_fmac_f32_e32 v9, s39, v50
	global_store_b32 v[12:13], v9, off
	s_branch .LBB13_6
.LBB13_55:
	s_endpgm
	.section	.rodata,"a",@progbits
	.p2align	6, 0x0
	.amdhsa_kernel _ZL30rocblas_trmm_outofplace_kernelIfLi32ELi2ELb0ELb0ELb0ELb0EfKffEv17rocblas_diagonal_iiT6_lPT7_lllS4_lllPT8_llli
		.amdhsa_group_segment_fixed_size 8192
		.amdhsa_private_segment_fixed_size 0
		.amdhsa_kernarg_size 384
		.amdhsa_user_sgpr_count 2
		.amdhsa_user_sgpr_dispatch_ptr 0
		.amdhsa_user_sgpr_queue_ptr 0
		.amdhsa_user_sgpr_kernarg_segment_ptr 1
		.amdhsa_user_sgpr_dispatch_id 0
		.amdhsa_user_sgpr_private_segment_size 0
		.amdhsa_wavefront_size32 1
		.amdhsa_uses_dynamic_stack 0
		.amdhsa_enable_private_segment 0
		.amdhsa_system_sgpr_workgroup_id_x 1
		.amdhsa_system_sgpr_workgroup_id_y 1
		.amdhsa_system_sgpr_workgroup_id_z 1
		.amdhsa_system_sgpr_workgroup_info 0
		.amdhsa_system_vgpr_workitem_id 1
		.amdhsa_next_free_vgpr 94
		.amdhsa_next_free_sgpr 60
		.amdhsa_reserve_vcc 1
		.amdhsa_float_round_mode_32 0
		.amdhsa_float_round_mode_16_64 0
		.amdhsa_float_denorm_mode_32 3
		.amdhsa_float_denorm_mode_16_64 3
		.amdhsa_fp16_overflow 0
		.amdhsa_workgroup_processor_mode 1
		.amdhsa_memory_ordered 1
		.amdhsa_forward_progress 1
		.amdhsa_inst_pref_size 28
		.amdhsa_round_robin_scheduling 0
		.amdhsa_exception_fp_ieee_invalid_op 0
		.amdhsa_exception_fp_denorm_src 0
		.amdhsa_exception_fp_ieee_div_zero 0
		.amdhsa_exception_fp_ieee_overflow 0
		.amdhsa_exception_fp_ieee_underflow 0
		.amdhsa_exception_fp_ieee_inexact 0
		.amdhsa_exception_int_div_zero 0
	.end_amdhsa_kernel
	.section	.text._ZL30rocblas_trmm_outofplace_kernelIfLi32ELi2ELb0ELb0ELb0ELb0EfKffEv17rocblas_diagonal_iiT6_lPT7_lllS4_lllPT8_llli,"axG",@progbits,_ZL30rocblas_trmm_outofplace_kernelIfLi32ELi2ELb0ELb0ELb0ELb0EfKffEv17rocblas_diagonal_iiT6_lPT7_lllS4_lllPT8_llli,comdat
.Lfunc_end13:
	.size	_ZL30rocblas_trmm_outofplace_kernelIfLi32ELi2ELb0ELb0ELb0ELb0EfKffEv17rocblas_diagonal_iiT6_lPT7_lllS4_lllPT8_llli, .Lfunc_end13-_ZL30rocblas_trmm_outofplace_kernelIfLi32ELi2ELb0ELb0ELb0ELb0EfKffEv17rocblas_diagonal_iiT6_lPT7_lllS4_lllPT8_llli
                                        ; -- End function
	.set _ZL30rocblas_trmm_outofplace_kernelIfLi32ELi2ELb0ELb0ELb0ELb0EfKffEv17rocblas_diagonal_iiT6_lPT7_lllS4_lllPT8_llli.num_vgpr, 94
	.set _ZL30rocblas_trmm_outofplace_kernelIfLi32ELi2ELb0ELb0ELb0ELb0EfKffEv17rocblas_diagonal_iiT6_lPT7_lllS4_lllPT8_llli.num_agpr, 0
	.set _ZL30rocblas_trmm_outofplace_kernelIfLi32ELi2ELb0ELb0ELb0ELb0EfKffEv17rocblas_diagonal_iiT6_lPT7_lllS4_lllPT8_llli.numbered_sgpr, 60
	.set _ZL30rocblas_trmm_outofplace_kernelIfLi32ELi2ELb0ELb0ELb0ELb0EfKffEv17rocblas_diagonal_iiT6_lPT7_lllS4_lllPT8_llli.num_named_barrier, 0
	.set _ZL30rocblas_trmm_outofplace_kernelIfLi32ELi2ELb0ELb0ELb0ELb0EfKffEv17rocblas_diagonal_iiT6_lPT7_lllS4_lllPT8_llli.private_seg_size, 0
	.set _ZL30rocblas_trmm_outofplace_kernelIfLi32ELi2ELb0ELb0ELb0ELb0EfKffEv17rocblas_diagonal_iiT6_lPT7_lllS4_lllPT8_llli.uses_vcc, 1
	.set _ZL30rocblas_trmm_outofplace_kernelIfLi32ELi2ELb0ELb0ELb0ELb0EfKffEv17rocblas_diagonal_iiT6_lPT7_lllS4_lllPT8_llli.uses_flat_scratch, 0
	.set _ZL30rocblas_trmm_outofplace_kernelIfLi32ELi2ELb0ELb0ELb0ELb0EfKffEv17rocblas_diagonal_iiT6_lPT7_lllS4_lllPT8_llli.has_dyn_sized_stack, 0
	.set _ZL30rocblas_trmm_outofplace_kernelIfLi32ELi2ELb0ELb0ELb0ELb0EfKffEv17rocblas_diagonal_iiT6_lPT7_lllS4_lllPT8_llli.has_recursion, 0
	.set _ZL30rocblas_trmm_outofplace_kernelIfLi32ELi2ELb0ELb0ELb0ELb0EfKffEv17rocblas_diagonal_iiT6_lPT7_lllS4_lllPT8_llli.has_indirect_call, 0
	.section	.AMDGPU.csdata,"",@progbits
; Kernel info:
; codeLenInByte = 3472
; TotalNumSgprs: 62
; NumVgprs: 94
; ScratchSize: 0
; MemoryBound: 0
; FloatMode: 240
; IeeeMode: 1
; LDSByteSize: 8192 bytes/workgroup (compile time only)
; SGPRBlocks: 0
; VGPRBlocks: 11
; NumSGPRsForWavesPerEU: 62
; NumVGPRsForWavesPerEU: 94
; Occupancy: 16
; WaveLimiterHint : 0
; COMPUTE_PGM_RSRC2:SCRATCH_EN: 0
; COMPUTE_PGM_RSRC2:USER_SGPR: 2
; COMPUTE_PGM_RSRC2:TRAP_HANDLER: 0
; COMPUTE_PGM_RSRC2:TGID_X_EN: 1
; COMPUTE_PGM_RSRC2:TGID_Y_EN: 1
; COMPUTE_PGM_RSRC2:TGID_Z_EN: 1
; COMPUTE_PGM_RSRC2:TIDIG_COMP_CNT: 1
	.section	.text._ZL30rocblas_trmm_outofplace_kernelIfLi32ELi2ELb0ELb1ELb0ELb0EPKfS0_fEv17rocblas_diagonal_iiT6_lPT7_lllS5_lllPT8_llli,"axG",@progbits,_ZL30rocblas_trmm_outofplace_kernelIfLi32ELi2ELb0ELb1ELb0ELb0EPKfS0_fEv17rocblas_diagonal_iiT6_lPT7_lllS5_lllPT8_llli,comdat
	.globl	_ZL30rocblas_trmm_outofplace_kernelIfLi32ELi2ELb0ELb1ELb0ELb0EPKfS0_fEv17rocblas_diagonal_iiT6_lPT7_lllS5_lllPT8_llli ; -- Begin function _ZL30rocblas_trmm_outofplace_kernelIfLi32ELi2ELb0ELb1ELb0ELb0EPKfS0_fEv17rocblas_diagonal_iiT6_lPT7_lllS5_lllPT8_llli
	.p2align	8
	.type	_ZL30rocblas_trmm_outofplace_kernelIfLi32ELi2ELb0ELb1ELb0ELb0EPKfS0_fEv17rocblas_diagonal_iiT6_lPT7_lllS5_lllPT8_llli,@function
_ZL30rocblas_trmm_outofplace_kernelIfLi32ELi2ELb0ELb1ELb0ELb0EPKfS0_fEv17rocblas_diagonal_iiT6_lPT7_lllS5_lllPT8_llli: ; @_ZL30rocblas_trmm_outofplace_kernelIfLi32ELi2ELb0ELb1ELb0ELb0EPKfS0_fEv17rocblas_diagonal_iiT6_lPT7_lllS5_lllPT8_llli
; %bb.0:
	s_load_b32 s33, s[0:1], 0x80
	s_lshr_b32 s34, ttmp7, 16
	s_wait_kmcnt 0x0
	s_cmp_ge_u32 s34, s33
	s_cbranch_scc1 .LBB14_55
; %bb.1:
	s_clause 0x2
	s_load_b96 s[36:38], s[0:1], 0x0
	s_load_b256 s[4:11], s[0:1], 0x50
	s_load_b512 s[12:27], s[0:1], 0x10
	v_bfe_u32 v35, v0, 10, 10
	s_load_b128 s[28:31], s[0:1], 0x70
	s_add_nc_u64 s[40:41], s[0:1], 0x88
	v_and_b32_e32 v34, 0x3ff, v0
	s_and_b32 s39, ttmp7, 0xffff
	v_dual_mov_b32 v38, 0 :: v_dual_lshlrev_b32 v37, 7, v35
	v_lshl_add_u32 v44, s39, 5, v35
	s_delay_alu instid0(VALU_DEP_3) | instskip(SKIP_2) | instid1(VALU_DEP_2)
	v_lshl_add_u32 v2, ttmp9, 5, v34
	s_mov_b32 s35, 0
	v_mov_b32_e32 v45, 1.0
	v_ashrrev_i32_e32 v3, 31, v2
	v_add_nc_u32_e32 v8, 16, v2
	s_wait_kmcnt 0x0
	s_add_co_i32 s0, s38, -1
	v_mad_co_u64_u32 v[4:5], null, s4, v35, 0
	s_wait_alu 0xfffe
	s_ashr_i32 s1, s0, 31
	v_ashrrev_i32_e32 v9, 31, v8
	s_wait_alu 0xfffe
	s_lshr_b32 s1, s1, 27
	v_cmp_gt_i32_e64 s3, s37, v8
	s_wait_alu 0xfffe
	s_add_co_i32 s2, s0, s1
	s_lshl_b64 s[0:1], s[10:11], 2
	s_ashr_i32 s50, s2, 5
	v_mov_b32_e32 v0, v5
	s_cmp_le_i32 s39, s50
	s_wait_alu 0xfffe
	s_add_nc_u64 s[42:43], s[8:9], s[0:1]
	s_cselect_b32 s51, -1, 0
	s_cmp_eq_u32 s36, 0x84
	v_sub_co_u32 v5, vcc_lo, s37, v2
	s_cselect_b32 s52, -1, 0
	s_ashr_i32 s0, s37, 31
	v_mad_co_u64_u32 v[0:1], null, s5, v35, v[0:1]
	s_wait_alu 0xfffe
	v_sub_co_ci_u32_e64 v6, null, s0, v3, vcc_lo
	v_cmp_gt_i32_e64 s2, s37, v2
	v_lshlrev_b64_e32 v[2:3], 2, v[2:3]
	s_lshl_b64 s[8:9], s[26:27], 2
	v_cmp_gt_i64_e64 s0, 1, v[5:6]
	v_cmp_gt_i64_e64 s1, 17, v[5:6]
	v_lshl_add_u32 v6, v35, 2, 64
	v_mov_b32_e32 v5, v0
	s_add_nc_u64 s[8:9], s[24:25], s[8:9]
	s_lshl_b64 s[44:45], s[4:5], 7
	v_add_co_u32 v7, vcc_lo, s8, v2
	v_mad_co_u64_u32 v[0:1], null, s4, v6, 0
	s_wait_alu 0xfffd
	v_add_co_ci_u32_e64 v12, null, s9, v3, vcc_lo
	v_sub_co_u32 v42, s4, 0, v34
	v_lshlrev_b64_e32 v[4:5], 2, v[4:5]
	v_lshlrev_b64_e32 v[8:9], 2, v[8:9]
	v_mad_co_u64_u32 v[10:11], null, s5, v6, v[1:2]
	v_lshlrev_b32_e32 v36, 2, v34
	v_add_co_u32 v6, vcc_lo, v7, 64
	s_wait_alu 0xf1ff
	v_sub_co_ci_u32_e64 v43, null, 0, 0, s4
	s_wait_alu 0xfffd
	v_add_co_ci_u32_e64 v7, null, 0, v12, vcc_lo
	v_mov_b32_e32 v1, v10
	v_or_b32_e32 v39, 0x1000, v36
	v_add_nc_u32_e32 v40, v37, v36
	s_mov_b32 s10, s38
	s_ashr_i32 s11, s38, 31
	s_lshl_b64 s[4:5], s[18:19], 2
	v_add_nc_u32_e32 v41, v39, v37
	v_add_nc_u32_e32 v46, 0x400, v39
	;; [unrolled: 1-line block ×4, first 2 shown]
	s_add_nc_u64 s[46:47], s[10:11], -16
	s_lshl_b64 s[18:19], s[6:7], 2
	s_wait_alu 0xfffe
	s_add_nc_u64 s[16:17], s[16:17], s[4:5]
	s_lshl_b64 s[22:23], s[22:23], 2
	s_lshl_b64 s[24:25], s[20:21], 2
	s_branch .LBB14_4
.LBB14_2:                               ;   in Loop: Header=BB14_4 Depth=1
	s_add_co_i32 s34, s34, 0x10000
	s_wait_alu 0xfffe
	s_cmp_ge_u32 s34, s33
	s_cselect_b32 s4, -1, 0
.LBB14_3:                               ;   in Loop: Header=BB14_4 Depth=1
	s_wait_alu 0xfffe
	s_and_b32 vcc_lo, exec_lo, s4
	s_wait_alu 0xfffe
	s_cbranch_vccnz .LBB14_55
.LBB14_4:                               ; =>This Loop Header: Depth=1
                                        ;     Child Loop BB14_8 Depth 2
                                        ;       Child Loop BB14_11 Depth 3
	s_mul_u64 s[4:5], s[14:15], s[34:35]
	s_wait_alu 0xfffe
	s_lshl_b64 s[4:5], s[4:5], 2
	s_wait_alu 0xfffe
	s_add_nc_u64 s[4:5], s[12:13], s[4:5]
	global_load_b32 v49, v38, s[4:5]
	s_mov_b32 s4, -1
	s_wait_loadcnt 0x0
	v_cmp_eq_f32_e32 vcc_lo, 0, v49
	s_cbranch_vccnz .LBB14_3
; %bb.5:                                ;   in Loop: Header=BB14_4 Depth=1
	s_and_not1_b32 vcc_lo, exec_lo, s51
	s_wait_alu 0xfffe
	s_cbranch_vccnz .LBB14_2
; %bb.6:                                ;   in Loop: Header=BB14_4 Depth=1
	s_load_b32 s53, s[40:41], 0x4
	v_mad_co_u64_u32 v[10:11], null, s18, s34, v[6:7]
	s_mul_u64 s[4:5], s[30:31], s[34:35]
	s_mul_u64 s[6:7], s[22:23], s[34:35]
	s_wait_alu 0xfffe
	s_lshl_b64 s[4:5], s[4:5], 2
	s_add_nc_u64 s[36:37], s[16:17], s[6:7]
	s_wait_alu 0xfffe
	s_add_nc_u64 s[26:27], s[42:43], s[4:5]
	s_mov_b32 s55, s39
	v_mad_co_u64_u32 v[11:12], null, s19, s34, v[11:12]
	v_mov_b32_e32 v12, v44
	s_wait_kmcnt 0x0
	s_lshl_b32 s54, s53, 5
	s_branch .LBB14_8
.LBB14_7:                               ;   in Loop: Header=BB14_8 Depth=2
	s_wait_alu 0xfffe
	s_or_b32 exec_lo, exec_lo, s4
	v_add_nc_u32_e32 v12, s54, v12
	s_add_co_i32 s55, s53, s55
	s_wait_alu 0xfffe
	s_cmp_gt_i32 s55, s50
	s_cbranch_scc1 .LBB14_2
.LBB14_8:                               ;   Parent Loop BB14_4 Depth=1
                                        ; =>  This Loop Header: Depth=2
                                        ;       Child Loop BB14_11 Depth 3
	s_wait_alu 0xfffe
	s_lshl_b32 s56, s55, 5
	v_dual_mov_b32 v52, 0 :: v_dual_mov_b32 v13, 0
	s_wait_alu 0xfffe
	v_dual_mov_b32 v51, 0 :: v_dual_add_nc_u32 v14, s56, v35
	v_mov_b32_e32 v50, 0
	s_cmp_lt_i32 s55, 0
	s_delay_alu instid0(VALU_DEP_2)
	v_ashrrev_i32_e32 v15, 31, v14
	s_cbranch_scc1 .LBB14_47
; %bb.9:                                ;   in Loop: Header=BB14_8 Depth=2
	v_ashrrev_i32_e32 v13, 31, v12
	v_mul_lo_u32 v24, s25, v12
	v_add_co_u32 v20, s4, v14, 16
	s_wait_alu 0xf1ff
	v_add_co_ci_u32_e64 v21, null, 0, v15, s4
	v_lshlrev_b64_e32 v[16:17], 2, v[12:13]
	v_mul_lo_u32 v25, s24, v13
	v_add_co_u32 v22, s4, v42, v12
	s_wait_alu 0xf1ff
	v_add_co_ci_u32_e64 v23, null, v43, v13, s4
	s_delay_alu instid0(VALU_DEP_4) | instskip(SKIP_3) | instid1(VALU_DEP_3)
	v_add_co_u32 v18, vcc_lo, v16, 64
	s_wait_alu 0xfffd
	v_add_co_ci_u32_e64 v19, null, 0, v17, vcc_lo
	v_mad_co_u64_u32 v[16:17], null, s24, v12, s[36:37]
	v_mul_lo_u32 v27, s21, v18
	s_delay_alu instid0(VALU_DEP_3)
	v_mul_lo_u32 v26, s20, v19
	v_mad_co_u64_u32 v[18:19], null, s20, v18, s[36:37]
	v_cmp_le_i64_e64 s4, s[10:11], v[20:21]
	v_dual_mov_b32 v29, v11 :: v_dual_mov_b32 v50, 0
	v_add3_u32 v17, v24, v17, v25
	v_add_co_u32 v24, s5, v22, 16
	v_add3_u32 v19, v27, v19, v26
	s_wait_alu 0xf1ff
	v_add_co_ci_u32_e64 v25, null, 0, v23, s5
	v_add_co_u32 v26, s5, v22, -16
	s_wait_alu 0xf1ff
	v_add_co_ci_u32_e64 v27, null, -1, v23, s5
	v_dual_mov_b32 v13, 0 :: v_dual_mov_b32 v28, v10
	v_dual_mov_b32 v51, 0 :: v_dual_mov_b32 v52, 0
	s_mov_b64 s[48:49], 0
	v_cmp_le_i32_e32 vcc_lo, s38, v14
	s_branch .LBB14_11
.LBB14_10:                              ;   in Loop: Header=BB14_11 Depth=3
	s_wait_alu 0xfffe
	s_or_b32 exec_lo, exec_lo, s5
	s_wait_dscnt 0x0
	s_barrier_signal -1
	s_barrier_wait -1
	global_inv scope:SCOPE_SE
	ds_load_b128 v[30:33], v37
	ds_load_2addr_b32 v[73:74], v39 offset1:16
	ds_load_b128 v[53:56], v37 offset:2048
	ds_load_2addr_b32 v[75:76], v39 offset0:32 offset1:48
	ds_load_b128 v[57:60], v37 offset:16
	ds_load_2addr_b32 v[77:78], v39 offset0:64 offset1:80
	ds_load_b128 v[61:64], v37 offset:32
	ds_load_b128 v[65:68], v37 offset:48
	ds_load_2addr_b32 v[79:80], v39 offset0:96 offset1:112
	ds_load_2addr_b32 v[81:82], v39 offset0:128 offset1:144
	ds_load_b128 v[69:72], v37 offset:2064
	ds_load_2addr_b32 v[83:84], v39 offset0:160 offset1:176
	ds_load_2addr_b32 v[85:86], v39 offset0:192 offset1:208
	;; [unrolled: 1-line block ×3, first 2 shown]
	ds_load_2addr_b32 v[89:90], v46 offset1:16
	ds_load_2addr_b32 v[91:92], v46 offset0:32 offset1:48
	v_add_co_u32 v28, s5, v28, s44
	s_wait_alu 0xf1ff
	v_add_co_ci_u32_e64 v29, null, s45, v29, s5
	v_add_co_u32 v18, s5, 0x80, v18
	s_wait_dscnt 0xd
	v_dual_fmac_f32 v52, v73, v30 :: v_dual_fmac_f32 v13, v74, v53
	v_dual_fmac_f32 v51, v74, v30 :: v_dual_fmac_f32 v50, v73, v53
	ds_load_2addr_b32 v[73:74], v46 offset0:64 offset1:80
	s_wait_dscnt 0xd
	v_dual_fmac_f32 v52, v75, v31 :: v_dual_fmac_f32 v13, v76, v54
	v_dual_fmac_f32 v51, v76, v31 :: v_dual_fmac_f32 v50, v75, v54
	ds_load_2addr_b32 v[75:76], v46 offset0:96 offset1:112
	;; [unrolled: 4-line block ×3, first 2 shown]
	s_wait_dscnt 0xa
	v_dual_fmac_f32 v52, v79, v33 :: v_dual_fmac_f32 v13, v80, v56
	v_dual_fmac_f32 v51, v80, v33 :: v_dual_fmac_f32 v50, v79, v56
	ds_load_b128 v[30:33], v37 offset:2080
	ds_load_b128 v[53:56], v37 offset:2096
	ds_load_2addr_b32 v[79:80], v46 offset0:160 offset1:176
	s_wait_dscnt 0xb
	v_fmac_f32_e32 v13, v82, v69
	v_fmac_f32_e32 v51, v82, v57
	v_fmac_f32_e32 v52, v81, v57
	v_fmac_f32_e32 v50, v81, v69
	ds_load_2addr_b32 v[81:82], v46 offset0:192 offset1:208
	s_wait_dscnt 0xb
	v_fmac_f32_e32 v13, v84, v70
	v_fmac_f32_e32 v51, v84, v58
	v_fmac_f32_e32 v52, v83, v58
	v_fmac_f32_e32 v50, v83, v70
	;; [unrolled: 6-line block ×3, first 2 shown]
	ds_load_2addr_b32 v[85:86], v47 offset1:16
	s_wait_dscnt 0xb
	v_fmac_f32_e32 v13, v88, v72
	v_fmac_f32_e32 v51, v88, v60
	v_fmac_f32_e32 v52, v87, v60
	v_fmac_f32_e32 v50, v87, v72
	ds_load_b128 v[57:60], v37 offset:64
	s_wait_dscnt 0x6
	v_fmac_f32_e32 v13, v90, v30
	v_fmac_f32_e32 v51, v90, v61
	;; [unrolled: 1-line block ×4, first 2 shown]
	ds_load_b128 v[69:72], v37 offset:2112
	v_fmac_f32_e32 v13, v92, v31
	v_fmac_f32_e32 v51, v92, v62
	v_fmac_f32_e32 v52, v91, v62
	v_fmac_f32_e32 v50, v91, v31
	ds_load_2addr_b32 v[61:62], v47 offset0:32 offset1:48
	v_fmac_f32_e32 v13, v74, v32
	v_fmac_f32_e32 v51, v74, v63
	v_fmac_f32_e32 v52, v73, v63
	v_fmac_f32_e32 v50, v73, v32
	ds_load_2addr_b32 v[73:74], v47 offset0:96 offset1:112
	;; [unrolled: 5-line block ×3, first 2 shown]
	s_wait_dscnt 0x9
	v_fmac_f32_e32 v13, v78, v53
	v_fmac_f32_e32 v51, v78, v65
	;; [unrolled: 1-line block ×4, first 2 shown]
	ds_load_b128 v[30:33], v37 offset:80
	s_wait_dscnt 0x9
	v_fmac_f32_e32 v13, v80, v54
	v_fmac_f32_e32 v51, v80, v66
	;; [unrolled: 1-line block ×4, first 2 shown]
	ds_load_2addr_b32 v[65:66], v47 offset0:128 offset1:144
	s_wait_dscnt 0x9
	v_fmac_f32_e32 v13, v82, v55
	v_fmac_f32_e32 v51, v82, v67
	;; [unrolled: 1-line block ×4, first 2 shown]
	ds_load_2addr_b32 v[75:76], v47 offset0:224 offset1:240
	s_wait_dscnt 0x9
	v_fmac_f32_e32 v13, v84, v56
	v_fmac_f32_e32 v51, v84, v68
	;; [unrolled: 1-line block ×4, first 2 shown]
	ds_load_b128 v[53:56], v37 offset:2128
	s_wait_dscnt 0x7
	v_fmac_f32_e32 v13, v86, v69
	v_fmac_f32_e32 v51, v86, v57
	;; [unrolled: 1-line block ×4, first 2 shown]
	ds_load_2addr_b32 v[67:68], v47 offset0:160 offset1:176
	s_wait_dscnt 0x7
	v_fmac_f32_e32 v13, v62, v70
	v_fmac_f32_e32 v51, v62, v58
	;; [unrolled: 1-line block ×4, first 2 shown]
	ds_load_2addr_b32 v[69:70], v47 offset0:192 offset1:208
	s_wait_dscnt 0x6
	v_fmac_f32_e32 v13, v64, v71
	v_fmac_f32_e32 v51, v64, v59
	;; [unrolled: 1-line block ×4, first 2 shown]
	s_wait_alu 0xf1ff
	v_add_co_ci_u32_e64 v19, null, 0, v19, s5
	v_fmac_f32_e32 v51, v74, v60
	v_fmac_f32_e32 v52, v73, v60
	;; [unrolled: 1-line block ×4, first 2 shown]
	ds_load_b128 v[57:60], v37 offset:96
	ds_load_2addr_b32 v[71:72], v48 offset1:16
	s_wait_dscnt 0x6
	v_fmac_f32_e32 v51, v66, v30
	s_wait_dscnt 0x4
	v_dual_fmac_f32 v52, v65, v30 :: v_dual_fmac_f32 v13, v66, v53
	v_fmac_f32_e32 v50, v65, v53
	ds_load_b128 v[61:64], v37 offset:2144
	s_wait_dscnt 0x4
	v_fmac_f32_e32 v51, v68, v31
	v_dual_fmac_f32 v52, v67, v31 :: v_dual_fmac_f32 v13, v68, v54
	ds_load_2addr_b32 v[65:66], v48 offset0:32 offset1:48
	s_wait_dscnt 0x4
	v_dual_fmac_f32 v50, v67, v54 :: v_dual_fmac_f32 v51, v70, v32
	v_dual_fmac_f32 v52, v69, v32 :: v_dual_fmac_f32 v13, v70, v55
	ds_load_2addr_b32 v[67:68], v48 offset0:64 offset1:80
	v_dual_fmac_f32 v50, v69, v55 :: v_dual_fmac_f32 v51, v76, v33
	v_dual_fmac_f32 v52, v75, v33 :: v_dual_fmac_f32 v13, v76, v56
	ds_load_2addr_b32 v[69:70], v48 offset0:96 offset1:112
	v_fmac_f32_e32 v50, v75, v56
	ds_load_b128 v[30:33], v37 offset:112
	s_wait_dscnt 0x5
	v_fmac_f32_e32 v51, v72, v57
	v_fmac_f32_e32 v52, v71, v57
	ds_load_2addr_b32 v[73:74], v48 offset0:128 offset1:144
	ds_load_b128 v[53:56], v37 offset:2160
	s_wait_dscnt 0x6
	v_fmac_f32_e32 v13, v72, v61
	v_fmac_f32_e32 v50, v71, v61
	ds_load_2addr_b32 v[71:72], v48 offset0:160 offset1:176
	v_add_co_u32 v16, s5, 0x80, v16
	s_wait_dscnt 0x6
	v_fmac_f32_e32 v51, v66, v58
	v_fmac_f32_e32 v52, v65, v58
	;; [unrolled: 1-line block ×4, first 2 shown]
	ds_load_2addr_b32 v[57:58], v48 offset0:192 offset1:208
	s_wait_dscnt 0x6
	v_fmac_f32_e32 v51, v68, v59
	v_fmac_f32_e32 v52, v67, v59
	;; [unrolled: 1-line block ×4, first 2 shown]
	ds_load_2addr_b32 v[61:62], v48 offset0:224 offset1:240
	s_wait_dscnt 0x6
	v_fmac_f32_e32 v51, v70, v60
	v_fmac_f32_e32 v52, v69, v60
	;; [unrolled: 1-line block ×4, first 2 shown]
	s_add_nc_u64 s[48:49], s[48:49], 32
	s_wait_dscnt 0x4
	v_fmac_f32_e32 v51, v74, v30
	s_wait_dscnt 0x3
	v_dual_fmac_f32 v52, v73, v30 :: v_dual_fmac_f32 v13, v74, v53
	v_fmac_f32_e32 v50, v73, v53
	v_add_co_ci_u32_e64 v17, null, 0, v17, s5
	s_wait_dscnt 0x2
	s_delay_alu instid0(VALU_DEP_3) | instskip(NEXT) | instid1(VALU_DEP_3)
	v_dual_fmac_f32 v52, v71, v31 :: v_dual_fmac_f32 v13, v72, v54
	v_dual_fmac_f32 v51, v72, v31 :: v_dual_fmac_f32 v50, v71, v54
	s_wait_alu 0xfffe
	s_sub_co_i32 s5, s48, 32
	s_wait_dscnt 0x1
	v_dual_fmac_f32 v52, v57, v32 :: v_dual_fmac_f32 v13, v58, v55
	v_dual_fmac_f32 v51, v58, v32 :: v_dual_fmac_f32 v50, v57, v55
	s_wait_alu 0xfffe
	s_cmp_ge_i32 s5, s56
	s_wait_dscnt 0x0
	v_dual_fmac_f32 v52, v61, v33 :: v_dual_fmac_f32 v13, v62, v56
	v_dual_fmac_f32 v51, v62, v33 :: v_dual_fmac_f32 v50, v61, v56
	s_wait_loadcnt 0x0
	s_barrier_signal -1
	s_barrier_wait -1
	global_inv scope:SCOPE_SE
	s_cbranch_scc1 .LBB14_47
.LBB14_11:                              ;   Parent Loop BB14_4 Depth=1
                                        ;     Parent Loop BB14_8 Depth=2
                                        ; =>    This Inner Loop Header: Depth=3
	s_wait_alu 0xfffe
	v_add_co_u32 v30, s5, v34, s48
	s_wait_alu 0xf1ff
	v_add_co_ci_u32_e64 v31, null, 0, s49, s5
	v_cmp_eq_u64_e64 s7, s[48:49], v[22:23]
                                        ; implicit-def: $vgpr53
	s_delay_alu instid0(VALU_DEP_2)
	v_cmp_gt_i64_e64 s5, v[30:31], v[14:15]
	v_cmp_le_i64_e64 s6, s[10:11], v[30:31]
	s_and_b32 s57, s52, s7
	v_add_co_u32 v32, s7, v16, v36
	s_or_b32 s8, vcc_lo, s5
	v_add_co_ci_u32_e64 v33, null, 0, v17, s7
	s_wait_alu 0xfffe
	s_or_b32 s7, s8, s57
	s_wait_alu 0xfffe
	s_nor_b32 s7, s6, s7
	s_wait_alu 0xfffe
	s_and_saveexec_b32 s8, s7
	s_wait_alu 0xfffe
	s_xor_b32 s7, exec_lo, s8
	s_cbranch_execz .LBB14_13
; %bb.12:                               ;   in Loop: Header=BB14_11 Depth=3
	global_load_b32 v53, v[32:33], off
.LBB14_13:                              ;   in Loop: Header=BB14_11 Depth=3
	s_wait_alu 0xfffe
	s_and_not1_saveexec_b32 s7, s7
	s_cbranch_execz .LBB14_15
; %bb.14:                               ;   in Loop: Header=BB14_11 Depth=3
	s_wait_loadcnt 0x0
	v_cndmask_b32_e64 v53, 0, 1.0, s57
.LBB14_15:                              ;   in Loop: Header=BB14_11 Depth=3
	s_wait_alu 0xfffe
	s_or_b32 exec_lo, exec_lo, s7
	v_add_co_u32 v54, s7, v30, 16
	s_wait_alu 0xf1ff
	v_add_co_ci_u32_e64 v55, null, 0, v31, s7
	v_cmp_eq_u64_e64 s8, s[48:49], v[26:27]
	s_wait_loadcnt 0x0
	ds_store_b32 v40, v53
	v_cmp_gt_i64_e64 s9, v[54:55], v[14:15]
	v_cmp_le_i64_e64 s7, s[10:11], v[54:55]
	s_and_b32 s58, s52, s8
	s_or_b32 s8, vcc_lo, s9
	s_wait_alu 0xfffe
	s_or_b32 s8, s8, s58
	s_wait_alu 0xfffe
	s_nor_b32 s8, s7, s8
	s_wait_alu 0xfffe
	s_and_saveexec_b32 s9, s8
	s_wait_alu 0xfffe
	s_xor_b32 s8, exec_lo, s9
	s_cbranch_execz .LBB14_17
; %bb.16:                               ;   in Loop: Header=BB14_11 Depth=3
	global_load_b32 v32, v[32:33], off offset:64
	s_wait_loadcnt 0x0
	ds_store_b32 v40, v32 offset:64
.LBB14_17:                              ;   in Loop: Header=BB14_11 Depth=3
	s_wait_alu 0xfffe
	s_and_not1_saveexec_b32 s8, s8
	s_cbranch_execz .LBB14_23
; %bb.18:                               ;   in Loop: Header=BB14_11 Depth=3
	s_xor_b32 s9, s58, -1
	s_wait_alu 0xfffe
	s_and_saveexec_b32 s58, s9
	s_wait_alu 0xfffe
	s_xor_b32 s9, exec_lo, s58
; %bb.19:                               ;   in Loop: Header=BB14_11 Depth=3
	ds_store_b32 v40, v38 offset:64
; %bb.20:                               ;   in Loop: Header=BB14_11 Depth=3
	s_wait_alu 0xfffe
	s_and_not1_saveexec_b32 s9, s9
; %bb.21:                               ;   in Loop: Header=BB14_11 Depth=3
	ds_store_b32 v40, v45 offset:64
; %bb.22:                               ;   in Loop: Header=BB14_11 Depth=3
	s_wait_alu 0xfffe
	s_or_b32 exec_lo, exec_lo, s9
.LBB14_23:                              ;   in Loop: Header=BB14_11 Depth=3
	s_wait_alu 0xfffe
	s_or_b32 exec_lo, exec_lo, s8
	v_cmp_eq_u64_e64 s8, s[48:49], v[24:25]
	v_cmp_gt_i64_e64 s9, v[30:31], v[20:21]
                                        ; implicit-def: $vgpr32
	s_and_b32 s58, s52, s8
	v_add_co_u32 v30, s8, v18, v36
	s_or_b32 s9, s4, s9
	v_add_co_ci_u32_e64 v31, null, 0, v19, s8
	s_wait_alu 0xfffe
	s_or_b32 s8, s9, s58
	s_wait_alu 0xfffe
	s_nor_b32 s6, s6, s8
	s_wait_alu 0xfffe
	s_and_saveexec_b32 s8, s6
	s_wait_alu 0xfffe
	s_xor_b32 s6, exec_lo, s8
	s_cbranch_execz .LBB14_25
; %bb.24:                               ;   in Loop: Header=BB14_11 Depth=3
	global_load_b32 v32, v[30:31], off
.LBB14_25:                              ;   in Loop: Header=BB14_11 Depth=3
	s_wait_alu 0xfffe
	s_and_not1_saveexec_b32 s6, s6
	s_cbranch_execz .LBB14_27
; %bb.26:                               ;   in Loop: Header=BB14_11 Depth=3
	s_wait_loadcnt 0x0
	v_cndmask_b32_e64 v32, 0, 1.0, s58
.LBB14_27:                              ;   in Loop: Header=BB14_11 Depth=3
	s_wait_alu 0xfffe
	s_or_b32 exec_lo, exec_lo, s6
	s_or_b32 s5, s4, s5
	s_wait_loadcnt 0x0
	ds_store_b32 v40, v32 offset:2048
	s_wait_alu 0xfffe
	s_or_b32 s5, s5, s57
	s_wait_alu 0xfffe
	s_nor_b32 s5, s7, s5
	s_wait_alu 0xfffe
	s_and_saveexec_b32 s6, s5
	s_wait_alu 0xfffe
	s_xor_b32 s5, exec_lo, s6
	s_cbranch_execz .LBB14_29
; %bb.28:                               ;   in Loop: Header=BB14_11 Depth=3
	global_load_b32 v30, v[30:31], off offset:64
	s_wait_loadcnt 0x0
	ds_store_b32 v40, v30 offset:2112
.LBB14_29:                              ;   in Loop: Header=BB14_11 Depth=3
	s_wait_alu 0xfffe
	s_and_not1_saveexec_b32 s5, s5
	s_cbranch_execz .LBB14_35
; %bb.30:                               ;   in Loop: Header=BB14_11 Depth=3
	s_xor_b32 s6, s57, -1
	s_wait_alu 0xfffe
	s_and_saveexec_b32 s7, s6
	s_wait_alu 0xfffe
	s_xor_b32 s6, exec_lo, s7
; %bb.31:                               ;   in Loop: Header=BB14_11 Depth=3
	ds_store_b32 v40, v38 offset:2112
; %bb.32:                               ;   in Loop: Header=BB14_11 Depth=3
	s_wait_alu 0xfffe
	s_and_not1_saveexec_b32 s6, s6
; %bb.33:                               ;   in Loop: Header=BB14_11 Depth=3
	ds_store_b32 v40, v45 offset:2112
; %bb.34:                               ;   in Loop: Header=BB14_11 Depth=3
	s_wait_alu 0xfffe
	s_or_b32 exec_lo, exec_lo, s6
.LBB14_35:                              ;   in Loop: Header=BB14_11 Depth=3
	s_wait_alu 0xfffe
	s_or_b32 exec_lo, exec_lo, s5
	v_add_co_u32 v30, s5, v35, s48
	s_wait_alu 0xf1ff
	v_add_co_ci_u32_e64 v31, null, 0, s49, s5
	v_add_co_u32 v32, s6, v28, v4
	s_wait_alu 0xf1ff
	v_add_co_ci_u32_e64 v33, null, v29, v5, s6
	s_delay_alu instid0(VALU_DEP_3)
	v_cmp_le_i64_e64 s5, s[10:11], v[30:31]
	v_mov_b32_e32 v53, 0
	s_nor_b32 s7, s5, s0
	s_wait_alu 0xfffe
	s_and_saveexec_b32 s6, s7
	s_cbranch_execz .LBB14_37
; %bb.36:                               ;   in Loop: Header=BB14_11 Depth=3
	global_load_b32 v53, v[32:33], off offset:-64
.LBB14_37:                              ;   in Loop: Header=BB14_11 Depth=3
	s_wait_alu 0xfffe
	s_or_b32 exec_lo, exec_lo, s6
	s_nor_b32 s5, s5, s1
	s_wait_loadcnt 0x0
	ds_store_b32 v41, v53
	s_wait_alu 0xfffe
	s_and_saveexec_b32 s6, s5
	s_wait_alu 0xfffe
	s_xor_b32 s5, exec_lo, s6
	s_cbranch_execz .LBB14_39
; %bb.38:                               ;   in Loop: Header=BB14_11 Depth=3
	global_load_b32 v32, v[32:33], off
	s_wait_loadcnt 0x0
	ds_store_b32 v41, v32 offset:64
.LBB14_39:                              ;   in Loop: Header=BB14_11 Depth=3
	s_wait_alu 0xfffe
	s_and_not1_saveexec_b32 s5, s5
; %bb.40:                               ;   in Loop: Header=BB14_11 Depth=3
	ds_store_b32 v41, v38 offset:64
; %bb.41:                               ;   in Loop: Header=BB14_11 Depth=3
	s_wait_alu 0xfffe
	s_or_b32 exec_lo, exec_lo, s5
	v_cmp_le_i64_e64 s5, s[46:47], v[30:31]
	v_add_co_u32 v30, s6, v28, v0
	s_wait_alu 0xf1ff
	v_add_co_ci_u32_e64 v31, null, v29, v1, s6
	v_mov_b32_e32 v32, 0
	s_delay_alu instid0(VALU_DEP_4)
	s_nor_b32 s7, s5, s0
	s_wait_alu 0xfffe
	s_and_saveexec_b32 s6, s7
	s_cbranch_execz .LBB14_43
; %bb.42:                               ;   in Loop: Header=BB14_11 Depth=3
	global_load_b32 v32, v[30:31], off offset:-64
.LBB14_43:                              ;   in Loop: Header=BB14_11 Depth=3
	s_wait_alu 0xfffe
	s_or_b32 exec_lo, exec_lo, s6
	s_nor_b32 s5, s5, s1
	s_wait_loadcnt 0x0
	ds_store_b32 v41, v32 offset:2048
	s_wait_alu 0xfffe
	s_and_saveexec_b32 s6, s5
	s_wait_alu 0xfffe
	s_xor_b32 s5, exec_lo, s6
	s_cbranch_execz .LBB14_45
; %bb.44:                               ;   in Loop: Header=BB14_11 Depth=3
	global_load_b32 v30, v[30:31], off
	s_wait_loadcnt 0x0
	ds_store_b32 v41, v30 offset:2112
.LBB14_45:                              ;   in Loop: Header=BB14_11 Depth=3
	s_wait_alu 0xfffe
	s_and_not1_saveexec_b32 s5, s5
	s_cbranch_execz .LBB14_10
; %bb.46:                               ;   in Loop: Header=BB14_11 Depth=3
	ds_store_b32 v41, v38 offset:2112
	s_branch .LBB14_10
.LBB14_47:                              ;   in Loop: Header=BB14_8 Depth=2
	v_mul_lo_u32 v17, s29, v14
	s_delay_alu instid0(VALU_DEP_2) | instskip(SKIP_2) | instid1(VALU_DEP_2)
	v_mul_lo_u32 v18, s28, v15
	v_mad_co_u64_u32 v[15:16], null, s28, v14, 0
	v_cmp_gt_i32_e32 vcc_lo, s38, v14
	v_add3_u32 v16, v16, v18, v17
	s_delay_alu instid0(VALU_DEP_1) | instskip(NEXT) | instid1(VALU_DEP_1)
	v_lshlrev_b64_e32 v[15:16], 2, v[15:16]
	v_add_co_u32 v15, s4, s26, v15
	s_wait_alu 0xf1ff
	s_delay_alu instid0(VALU_DEP_2)
	v_add_co_ci_u32_e64 v16, null, s27, v16, s4
	s_and_b32 s4, s2, vcc_lo
	s_wait_alu 0xfffe
	s_and_saveexec_b32 s5, s4
	s_cbranch_execz .LBB14_49
; %bb.48:                               ;   in Loop: Header=BB14_8 Depth=2
	v_add_co_u32 v17, s4, v15, v2
	s_wait_alu 0xf1ff
	v_add_co_ci_u32_e64 v18, null, v16, v3, s4
	global_load_b32 v19, v[17:18], off
	s_wait_loadcnt 0x0
	v_fmac_f32_e32 v19, v49, v52
	global_store_b32 v[17:18], v19, off
.LBB14_49:                              ;   in Loop: Header=BB14_8 Depth=2
	s_wait_alu 0xfffe
	s_or_b32 exec_lo, exec_lo, s5
	s_and_b32 s5, s3, vcc_lo
	s_wait_alu 0xfffe
	s_and_saveexec_b32 s4, s5
	s_cbranch_execz .LBB14_51
; %bb.50:                               ;   in Loop: Header=BB14_8 Depth=2
	v_add_co_u32 v15, vcc_lo, v15, v8
	s_wait_alu 0xfffd
	v_add_co_ci_u32_e64 v16, null, v16, v9, vcc_lo
	global_load_b32 v17, v[15:16], off
	s_wait_loadcnt 0x0
	v_fmac_f32_e32 v17, v49, v51
	global_store_b32 v[15:16], v17, off
.LBB14_51:                              ;   in Loop: Header=BB14_8 Depth=2
	s_wait_alu 0xfffe
	s_or_b32 exec_lo, exec_lo, s4
	v_add_nc_u32_e32 v16, 16, v14
	s_delay_alu instid0(VALU_DEP_1) | instskip(SKIP_3) | instid1(VALU_DEP_4)
	v_ashrrev_i32_e32 v17, 31, v16
	v_mul_lo_u32 v18, s29, v16
	v_mad_co_u64_u32 v[14:15], null, s28, v16, 0
	v_cmp_gt_i32_e32 vcc_lo, s38, v16
	v_mul_lo_u32 v17, s28, v17
	s_delay_alu instid0(VALU_DEP_1) | instskip(NEXT) | instid1(VALU_DEP_1)
	v_add3_u32 v15, v15, v17, v18
	v_lshlrev_b64_e32 v[14:15], 2, v[14:15]
	s_delay_alu instid0(VALU_DEP_1) | instskip(SKIP_1) | instid1(VALU_DEP_2)
	v_add_co_u32 v14, s4, s26, v14
	s_wait_alu 0xf1ff
	v_add_co_ci_u32_e64 v15, null, s27, v15, s4
	s_and_b32 s4, s2, vcc_lo
	s_wait_alu 0xfffe
	s_and_saveexec_b32 s5, s4
	s_cbranch_execz .LBB14_53
; %bb.52:                               ;   in Loop: Header=BB14_8 Depth=2
	v_add_co_u32 v16, s4, v14, v2
	s_wait_alu 0xf1ff
	v_add_co_ci_u32_e64 v17, null, v15, v3, s4
	global_load_b32 v18, v[16:17], off
	s_wait_loadcnt 0x0
	v_fmac_f32_e32 v18, v49, v50
	global_store_b32 v[16:17], v18, off
.LBB14_53:                              ;   in Loop: Header=BB14_8 Depth=2
	s_wait_alu 0xfffe
	s_or_b32 exec_lo, exec_lo, s5
	s_and_b32 s5, s3, vcc_lo
	s_wait_alu 0xfffe
	s_and_saveexec_b32 s4, s5
	s_cbranch_execz .LBB14_7
; %bb.54:                               ;   in Loop: Header=BB14_8 Depth=2
	v_add_co_u32 v14, vcc_lo, v14, v8
	s_wait_alu 0xfffd
	v_add_co_ci_u32_e64 v15, null, v15, v9, vcc_lo
	global_load_b32 v16, v[14:15], off
	s_wait_loadcnt 0x0
	v_fmac_f32_e32 v16, v49, v13
	global_store_b32 v[14:15], v16, off
	s_branch .LBB14_7
.LBB14_55:
	s_endpgm
	.section	.rodata,"a",@progbits
	.p2align	6, 0x0
	.amdhsa_kernel _ZL30rocblas_trmm_outofplace_kernelIfLi32ELi2ELb0ELb1ELb0ELb0EPKfS0_fEv17rocblas_diagonal_iiT6_lPT7_lllS5_lllPT8_llli
		.amdhsa_group_segment_fixed_size 8192
		.amdhsa_private_segment_fixed_size 0
		.amdhsa_kernarg_size 392
		.amdhsa_user_sgpr_count 2
		.amdhsa_user_sgpr_dispatch_ptr 0
		.amdhsa_user_sgpr_queue_ptr 0
		.amdhsa_user_sgpr_kernarg_segment_ptr 1
		.amdhsa_user_sgpr_dispatch_id 0
		.amdhsa_user_sgpr_private_segment_size 0
		.amdhsa_wavefront_size32 1
		.amdhsa_uses_dynamic_stack 0
		.amdhsa_enable_private_segment 0
		.amdhsa_system_sgpr_workgroup_id_x 1
		.amdhsa_system_sgpr_workgroup_id_y 1
		.amdhsa_system_sgpr_workgroup_id_z 1
		.amdhsa_system_sgpr_workgroup_info 0
		.amdhsa_system_vgpr_workitem_id 1
		.amdhsa_next_free_vgpr 93
		.amdhsa_next_free_sgpr 59
		.amdhsa_reserve_vcc 1
		.amdhsa_float_round_mode_32 0
		.amdhsa_float_round_mode_16_64 0
		.amdhsa_float_denorm_mode_32 3
		.amdhsa_float_denorm_mode_16_64 3
		.amdhsa_fp16_overflow 0
		.amdhsa_workgroup_processor_mode 1
		.amdhsa_memory_ordered 1
		.amdhsa_forward_progress 1
		.amdhsa_inst_pref_size 28
		.amdhsa_round_robin_scheduling 0
		.amdhsa_exception_fp_ieee_invalid_op 0
		.amdhsa_exception_fp_denorm_src 0
		.amdhsa_exception_fp_ieee_div_zero 0
		.amdhsa_exception_fp_ieee_overflow 0
		.amdhsa_exception_fp_ieee_underflow 0
		.amdhsa_exception_fp_ieee_inexact 0
		.amdhsa_exception_int_div_zero 0
	.end_amdhsa_kernel
	.section	.text._ZL30rocblas_trmm_outofplace_kernelIfLi32ELi2ELb0ELb1ELb0ELb0EPKfS0_fEv17rocblas_diagonal_iiT6_lPT7_lllS5_lllPT8_llli,"axG",@progbits,_ZL30rocblas_trmm_outofplace_kernelIfLi32ELi2ELb0ELb1ELb0ELb0EPKfS0_fEv17rocblas_diagonal_iiT6_lPT7_lllS5_lllPT8_llli,comdat
.Lfunc_end14:
	.size	_ZL30rocblas_trmm_outofplace_kernelIfLi32ELi2ELb0ELb1ELb0ELb0EPKfS0_fEv17rocblas_diagonal_iiT6_lPT7_lllS5_lllPT8_llli, .Lfunc_end14-_ZL30rocblas_trmm_outofplace_kernelIfLi32ELi2ELb0ELb1ELb0ELb0EPKfS0_fEv17rocblas_diagonal_iiT6_lPT7_lllS5_lllPT8_llli
                                        ; -- End function
	.set _ZL30rocblas_trmm_outofplace_kernelIfLi32ELi2ELb0ELb1ELb0ELb0EPKfS0_fEv17rocblas_diagonal_iiT6_lPT7_lllS5_lllPT8_llli.num_vgpr, 93
	.set _ZL30rocblas_trmm_outofplace_kernelIfLi32ELi2ELb0ELb1ELb0ELb0EPKfS0_fEv17rocblas_diagonal_iiT6_lPT7_lllS5_lllPT8_llli.num_agpr, 0
	.set _ZL30rocblas_trmm_outofplace_kernelIfLi32ELi2ELb0ELb1ELb0ELb0EPKfS0_fEv17rocblas_diagonal_iiT6_lPT7_lllS5_lllPT8_llli.numbered_sgpr, 59
	.set _ZL30rocblas_trmm_outofplace_kernelIfLi32ELi2ELb0ELb1ELb0ELb0EPKfS0_fEv17rocblas_diagonal_iiT6_lPT7_lllS5_lllPT8_llli.num_named_barrier, 0
	.set _ZL30rocblas_trmm_outofplace_kernelIfLi32ELi2ELb0ELb1ELb0ELb0EPKfS0_fEv17rocblas_diagonal_iiT6_lPT7_lllS5_lllPT8_llli.private_seg_size, 0
	.set _ZL30rocblas_trmm_outofplace_kernelIfLi32ELi2ELb0ELb1ELb0ELb0EPKfS0_fEv17rocblas_diagonal_iiT6_lPT7_lllS5_lllPT8_llli.uses_vcc, 1
	.set _ZL30rocblas_trmm_outofplace_kernelIfLi32ELi2ELb0ELb1ELb0ELb0EPKfS0_fEv17rocblas_diagonal_iiT6_lPT7_lllS5_lllPT8_llli.uses_flat_scratch, 0
	.set _ZL30rocblas_trmm_outofplace_kernelIfLi32ELi2ELb0ELb1ELb0ELb0EPKfS0_fEv17rocblas_diagonal_iiT6_lPT7_lllS5_lllPT8_llli.has_dyn_sized_stack, 0
	.set _ZL30rocblas_trmm_outofplace_kernelIfLi32ELi2ELb0ELb1ELb0ELb0EPKfS0_fEv17rocblas_diagonal_iiT6_lPT7_lllS5_lllPT8_llli.has_recursion, 0
	.set _ZL30rocblas_trmm_outofplace_kernelIfLi32ELi2ELb0ELb1ELb0ELb0EPKfS0_fEv17rocblas_diagonal_iiT6_lPT7_lllS5_lllPT8_llli.has_indirect_call, 0
	.section	.AMDGPU.csdata,"",@progbits
; Kernel info:
; codeLenInByte = 3524
; TotalNumSgprs: 61
; NumVgprs: 93
; ScratchSize: 0
; MemoryBound: 0
; FloatMode: 240
; IeeeMode: 1
; LDSByteSize: 8192 bytes/workgroup (compile time only)
; SGPRBlocks: 0
; VGPRBlocks: 11
; NumSGPRsForWavesPerEU: 61
; NumVGPRsForWavesPerEU: 93
; Occupancy: 16
; WaveLimiterHint : 0
; COMPUTE_PGM_RSRC2:SCRATCH_EN: 0
; COMPUTE_PGM_RSRC2:USER_SGPR: 2
; COMPUTE_PGM_RSRC2:TRAP_HANDLER: 0
; COMPUTE_PGM_RSRC2:TGID_X_EN: 1
; COMPUTE_PGM_RSRC2:TGID_Y_EN: 1
; COMPUTE_PGM_RSRC2:TGID_Z_EN: 1
; COMPUTE_PGM_RSRC2:TIDIG_COMP_CNT: 1
	.section	.text._ZL30rocblas_trmm_outofplace_kernelIfLi32ELi2ELb0ELb1ELb0ELb0EfKffEv17rocblas_diagonal_iiT6_lPT7_lllS4_lllPT8_llli,"axG",@progbits,_ZL30rocblas_trmm_outofplace_kernelIfLi32ELi2ELb0ELb1ELb0ELb0EfKffEv17rocblas_diagonal_iiT6_lPT7_lllS4_lllPT8_llli,comdat
	.globl	_ZL30rocblas_trmm_outofplace_kernelIfLi32ELi2ELb0ELb1ELb0ELb0EfKffEv17rocblas_diagonal_iiT6_lPT7_lllS4_lllPT8_llli ; -- Begin function _ZL30rocblas_trmm_outofplace_kernelIfLi32ELi2ELb0ELb1ELb0ELb0EfKffEv17rocblas_diagonal_iiT6_lPT7_lllS4_lllPT8_llli
	.p2align	8
	.type	_ZL30rocblas_trmm_outofplace_kernelIfLi32ELi2ELb0ELb1ELb0ELb0EfKffEv17rocblas_diagonal_iiT6_lPT7_lllS4_lllPT8_llli,@function
_ZL30rocblas_trmm_outofplace_kernelIfLi32ELi2ELb0ELb1ELb0ELb0EfKffEv17rocblas_diagonal_iiT6_lPT7_lllS4_lllPT8_llli: ; @_ZL30rocblas_trmm_outofplace_kernelIfLi32ELi2ELb0ELb1ELb0ELb0EfKffEv17rocblas_diagonal_iiT6_lPT7_lllS4_lllPT8_llli
; %bb.0:
	s_load_b32 s33, s[0:1], 0x78
	s_lshr_b32 s34, ttmp7, 16
	s_wait_kmcnt 0x0
	s_cmp_ge_u32 s34, s33
	s_cbranch_scc1 .LBB15_54
; %bb.1:
	s_load_b128 s[36:39], s[0:1], 0x0
	s_mov_b32 s35, 0
	s_wait_kmcnt 0x0
	s_cmp_eq_f32 s39, 0
	s_cbranch_scc1 .LBB15_54
; %bb.2:
	s_load_b512 s[8:23], s[0:1], 0x18
	s_add_co_i32 s2, s38, -1
	v_dual_mov_b32 v37, 0 :: v_dual_and_b32 v34, 0x3ff, v0
	s_load_b256 s[24:31], s[0:1], 0x58
	s_ashr_i32 s3, s2, 31
	s_and_b32 s46, ttmp7, 0xffff
	s_lshr_b32 s3, s3, 27
	v_lshl_add_u32 v2, ttmp9, 5, v34
	s_add_co_i32 s2, s2, s3
	v_bfe_u32 v35, v0, 10, 10
	s_ashr_i32 s47, s2, 5
	v_mov_b32_e32 v45, 1.0
	s_cmp_le_i32 s46, s47
	v_ashrrev_i32_e32 v3, 31, v2
	s_cselect_b32 s48, -1, 0
	s_cmp_eq_u32 s36, 0x84
	v_sub_co_u32 v0, vcc_lo, s37, v2
	s_cselect_b32 s49, -1, 0
	s_wait_kmcnt 0x0
	v_mad_co_u64_u32 v[4:5], null, s20, v35, 0
	s_ashr_i32 s4, s37, 31
	v_lshl_add_u32 v7, v35, 2, 64
	v_sub_co_ci_u32_e64 v1, null, s4, v3, vcc_lo
	s_lshl_b64 s[2:3], s[26:27], 2
	s_add_nc_u64 s[26:27], s[0:1], 0x80
	s_add_nc_u64 s[24:25], s[24:25], s[2:3]
	v_cmp_gt_i64_e64 s0, 1, v[0:1]
	v_cmp_gt_i64_e64 s1, 17, v[0:1]
	v_mov_b32_e32 v0, v5
	v_add_nc_u32_e32 v8, 16, v2
	v_cmp_gt_i32_e64 s2, s37, v2
	v_lshlrev_b64_e32 v[2:3], 2, v[2:3]
	v_sub_co_u32 v42, s4, 0, v34
	v_mad_co_u64_u32 v[5:6], null, s21, v35, v[0:1]
	v_mad_co_u64_u32 v[0:1], null, s20, v7, 0
	s_wait_alu 0xf1ff
	v_sub_co_ci_u32_e64 v43, null, 0, 0, s4
	s_lshl_b64 s[4:5], s[18:19], 2
	v_ashrrev_i32_e32 v9, 31, v8
	s_wait_alu 0xfffe
	s_add_nc_u64 s[4:5], s[16:17], s[4:5]
	v_lshlrev_b32_e32 v38, 7, v35
	v_mad_co_u64_u32 v[10:11], null, s21, v7, v[1:2]
	v_lshlrev_b32_e32 v36, 2, v34
	s_wait_alu 0xfffe
	v_add_co_u32 v6, vcc_lo, s4, v2
	s_wait_alu 0xfffd
	v_add_co_ci_u32_e64 v12, null, s5, v3, vcc_lo
	v_cmp_gt_i32_e64 s3, s37, v8
	v_mov_b32_e32 v1, v10
	v_or_b32_e32 v39, 0x1000, v36
	v_add_co_u32 v6, vcc_lo, v6, 64
	v_lshlrev_b64_e32 v[4:5], 2, v[4:5]
	v_lshlrev_b64_e32 v[8:9], 2, v[8:9]
	v_add_nc_u32_e32 v40, v38, v36
	v_add_nc_u32_e32 v41, v39, v38
	v_lshl_add_u32 v44, s46, 5, v35
	s_wait_alu 0xfffd
	v_add_co_ci_u32_e64 v7, null, 0, v12, vcc_lo
	v_add_nc_u32_e32 v46, 0x400, v39
	v_add_nc_u32_e32 v47, 0x800, v39
	;; [unrolled: 1-line block ×3, first 2 shown]
	s_ashr_i32 s41, s38, 31
	s_mov_b32 s40, s38
	s_lshl_b64 s[4:5], s[10:11], 2
	s_lshl_b64 s[42:43], s[20:21], 7
	s_add_nc_u64 s[44:45], s[40:41], -16
	s_lshl_b64 s[16:17], s[22:23], 2
	s_wait_alu 0xfffe
	s_add_nc_u64 s[10:11], s[8:9], s[4:5]
	s_lshl_b64 s[14:15], s[14:15], 2
	s_lshl_b64 s[18:19], s[12:13], 2
	s_branch .LBB15_4
.LBB15_3:                               ;   in Loop: Header=BB15_4 Depth=1
	s_add_co_i32 s34, s34, 0x10000
	s_wait_alu 0xfffe
	s_cmp_ge_u32 s34, s33
	s_cbranch_scc1 .LBB15_54
.LBB15_4:                               ; =>This Loop Header: Depth=1
                                        ;     Child Loop BB15_7 Depth 2
                                        ;       Child Loop BB15_10 Depth 3
	s_and_not1_b32 vcc_lo, exec_lo, s48
	s_wait_alu 0xfffe
	s_cbranch_vccnz .LBB15_3
; %bb.5:                                ;   in Loop: Header=BB15_4 Depth=1
	s_load_b32 s50, s[26:27], 0x4
	v_mad_co_u64_u32 v[10:11], null, s16, s34, v[6:7]
	s_mul_u64 s[4:5], s[30:31], s[34:35]
	s_mul_u64 s[6:7], s[14:15], s[34:35]
	s_wait_alu 0xfffe
	s_lshl_b64 s[4:5], s[4:5], 2
	s_add_nc_u64 s[22:23], s[10:11], s[6:7]
	s_wait_alu 0xfffe
	s_add_nc_u64 s[20:21], s[24:25], s[4:5]
	s_mov_b32 s52, s46
	v_mad_co_u64_u32 v[11:12], null, s17, s34, v[11:12]
	v_mov_b32_e32 v12, v44
	s_wait_kmcnt 0x0
	s_lshl_b32 s51, s50, 5
	s_branch .LBB15_7
.LBB15_6:                               ;   in Loop: Header=BB15_7 Depth=2
	s_wait_alu 0xfffe
	s_or_b32 exec_lo, exec_lo, s4
	v_add_nc_u32_e32 v12, s51, v12
	s_add_co_i32 s52, s50, s52
	s_wait_alu 0xfffe
	s_cmp_gt_i32 s52, s47
	s_cbranch_scc1 .LBB15_3
.LBB15_7:                               ;   Parent Loop BB15_4 Depth=1
                                        ; =>  This Loop Header: Depth=2
                                        ;       Child Loop BB15_10 Depth 3
	s_wait_alu 0xfffe
	s_lshl_b32 s53, s52, 5
	v_dual_mov_b32 v50, 0 :: v_dual_mov_b32 v49, 0
	s_wait_alu 0xfffe
	v_dual_mov_b32 v51, 0 :: v_dual_add_nc_u32 v14, s53, v35
	v_mov_b32_e32 v13, 0
	s_cmp_lt_i32 s52, 0
	s_delay_alu instid0(VALU_DEP_2)
	v_ashrrev_i32_e32 v15, 31, v14
	s_cbranch_scc1 .LBB15_46
; %bb.8:                                ;   in Loop: Header=BB15_7 Depth=2
	v_ashrrev_i32_e32 v13, 31, v12
	v_mul_lo_u32 v24, s19, v12
	v_add_co_u32 v20, s4, v14, 16
	s_wait_alu 0xf1ff
	v_add_co_ci_u32_e64 v21, null, 0, v15, s4
	v_lshlrev_b64_e32 v[16:17], 2, v[12:13]
	v_mul_lo_u32 v25, s18, v13
	v_add_co_u32 v22, s4, v42, v12
	s_wait_alu 0xf1ff
	v_add_co_ci_u32_e64 v23, null, v43, v13, s4
	s_delay_alu instid0(VALU_DEP_4) | instskip(SKIP_3) | instid1(VALU_DEP_3)
	v_add_co_u32 v18, vcc_lo, v16, 64
	s_wait_alu 0xfffd
	v_add_co_ci_u32_e64 v19, null, 0, v17, vcc_lo
	v_mad_co_u64_u32 v[16:17], null, s18, v12, s[22:23]
	v_mul_lo_u32 v27, s13, v18
	s_delay_alu instid0(VALU_DEP_3)
	v_mul_lo_u32 v26, s12, v19
	v_mad_co_u64_u32 v[18:19], null, s12, v18, s[22:23]
	v_cmp_le_i64_e64 s4, s[40:41], v[20:21]
	v_dual_mov_b32 v29, v11 :: v_dual_mov_b32 v50, 0
	v_add3_u32 v17, v24, v17, v25
	v_add_co_u32 v24, s5, v22, 16
	v_add3_u32 v19, v27, v19, v26
	s_wait_alu 0xf1ff
	v_add_co_ci_u32_e64 v25, null, 0, v23, s5
	v_add_co_u32 v26, s5, v22, -16
	s_wait_alu 0xf1ff
	v_add_co_ci_u32_e64 v27, null, -1, v23, s5
	v_dual_mov_b32 v13, 0 :: v_dual_mov_b32 v28, v10
	v_mov_b32_e32 v49, 0
	v_mov_b32_e32 v51, 0
	s_mov_b64 s[36:37], 0
	v_cmp_le_i32_e32 vcc_lo, s38, v14
	s_branch .LBB15_10
.LBB15_9:                               ;   in Loop: Header=BB15_10 Depth=3
	s_wait_alu 0xfffe
	s_or_b32 exec_lo, exec_lo, s5
	s_wait_dscnt 0x0
	s_barrier_signal -1
	s_barrier_wait -1
	global_inv scope:SCOPE_SE
	ds_load_b128 v[30:33], v38
	ds_load_2addr_b32 v[72:73], v39 offset1:16
	ds_load_b128 v[52:55], v38 offset:2048
	ds_load_2addr_b32 v[74:75], v39 offset0:32 offset1:48
	ds_load_b128 v[56:59], v38 offset:16
	ds_load_2addr_b32 v[76:77], v39 offset0:64 offset1:80
	ds_load_b128 v[60:63], v38 offset:32
	ds_load_b128 v[64:67], v38 offset:48
	ds_load_2addr_b32 v[78:79], v39 offset0:96 offset1:112
	ds_load_2addr_b32 v[80:81], v39 offset0:128 offset1:144
	ds_load_b128 v[68:71], v38 offset:2064
	ds_load_2addr_b32 v[82:83], v39 offset0:160 offset1:176
	ds_load_2addr_b32 v[84:85], v39 offset0:192 offset1:208
	;; [unrolled: 1-line block ×3, first 2 shown]
	ds_load_2addr_b32 v[88:89], v46 offset1:16
	ds_load_2addr_b32 v[90:91], v46 offset0:32 offset1:48
	v_add_co_u32 v28, s5, v28, s42
	s_wait_alu 0xf1ff
	v_add_co_ci_u32_e64 v29, null, s43, v29, s5
	v_add_co_u32 v18, s5, 0x80, v18
	s_wait_dscnt 0xd
	v_dual_fmac_f32 v50, v73, v30 :: v_dual_fmac_f32 v49, v72, v52
	v_fmac_f32_e32 v51, v72, v30
	s_wait_alu 0xf1ff
	v_add_co_ci_u32_e64 v19, null, 0, v19, s5
	s_wait_dscnt 0xc
	v_fmac_f32_e32 v50, v75, v31
	v_add_co_u32 v16, s5, 0x80, v16
	v_fmac_f32_e32 v51, v74, v31
	s_add_nc_u64 s[36:37], s[36:37], 32
	s_wait_dscnt 0xa
	v_fmac_f32_e32 v50, v77, v32
	v_fmac_f32_e32 v13, v73, v52
	ds_load_2addr_b32 v[72:73], v46 offset0:64 offset1:80
	v_add_co_ci_u32_e64 v17, null, 0, v17, s5
	s_wait_dscnt 0x8
	v_fmac_f32_e32 v50, v79, v33
	v_fmac_f32_e32 v49, v74, v53
	s_wait_alu 0xfffe
	s_sub_co_i32 s5, s36, 32
	s_wait_alu 0xfffe
	s_cmp_ge_i32 s5, s53
	s_wait_dscnt 0x7
	v_fmac_f32_e32 v50, v81, v56
	s_wait_dscnt 0x5
	s_delay_alu instid0(VALU_DEP_1)
	v_dual_fmac_f32 v51, v76, v32 :: v_dual_fmac_f32 v50, v83, v57
	v_fmac_f32_e32 v13, v75, v53
	ds_load_2addr_b32 v[74:75], v46 offset0:96 offset1:112
	s_wait_dscnt 0x5
	v_fmac_f32_e32 v50, v85, v58
	s_wait_dscnt 0x4
	s_delay_alu instid0(VALU_DEP_1) | instskip(SKIP_1) | instid1(VALU_DEP_1)
	v_dual_fmac_f32 v49, v76, v54 :: v_dual_fmac_f32 v50, v87, v59
	s_wait_dscnt 0x3
	v_dual_fmac_f32 v51, v78, v33 :: v_dual_fmac_f32 v50, v89, v60
	v_fmac_f32_e32 v13, v77, v54
	ds_load_2addr_b32 v[76:77], v46 offset0:128 offset1:144
	s_wait_dscnt 0x3
	v_dual_fmac_f32 v50, v91, v61 :: v_dual_fmac_f32 v49, v78, v55
	s_wait_dscnt 0x2
	s_delay_alu instid0(VALU_DEP_1) | instskip(SKIP_1) | instid1(VALU_DEP_1)
	v_dual_fmac_f32 v50, v73, v62 :: v_dual_fmac_f32 v51, v80, v56
	s_wait_dscnt 0x1
	v_fmac_f32_e32 v50, v75, v63
	v_fmac_f32_e32 v13, v79, v55
	ds_load_b128 v[30:33], v38 offset:2080
	ds_load_b128 v[52:55], v38 offset:2096
	ds_load_2addr_b32 v[78:79], v46 offset0:160 offset1:176
	s_wait_dscnt 0x3
	v_fmac_f32_e32 v50, v77, v64
	v_fmac_f32_e32 v49, v80, v68
	;; [unrolled: 1-line block ×3, first 2 shown]
	ds_load_2addr_b32 v[80:81], v46 offset0:192 offset1:208
	s_wait_dscnt 0x1
	v_fmac_f32_e32 v50, v79, v65
	s_wait_dscnt 0x0
	s_delay_alu instid0(VALU_DEP_1) | instskip(NEXT) | instid1(VALU_DEP_1)
	v_dual_fmac_f32 v51, v82, v57 :: v_dual_fmac_f32 v50, v81, v66
	v_fmac_f32_e32 v51, v84, v58
	s_delay_alu instid0(VALU_DEP_1)
	v_fmac_f32_e32 v51, v86, v59
	ds_load_b128 v[56:59], v38 offset:64
	v_fmac_f32_e32 v49, v82, v69
	v_fmac_f32_e32 v13, v83, v69
	ds_load_2addr_b32 v[82:83], v46 offset0:224 offset1:240
	v_fmac_f32_e32 v51, v88, v60
	v_fmac_f32_e32 v13, v85, v70
	s_delay_alu instid0(VALU_DEP_2) | instskip(SKIP_3) | instid1(VALU_DEP_2)
	v_fmac_f32_e32 v51, v90, v61
	ds_load_2addr_b32 v[60:61], v47 offset0:32 offset1:48
	v_fmac_f32_e32 v13, v87, v71
	v_fmac_f32_e32 v51, v72, v62
	;; [unrolled: 1-line block ×3, first 2 shown]
	s_delay_alu instid0(VALU_DEP_2) | instskip(SKIP_4) | instid1(VALU_DEP_2)
	v_fmac_f32_e32 v51, v74, v63
	ds_load_2addr_b32 v[62:63], v47 offset0:64 offset1:80
	v_fmac_f32_e32 v13, v91, v31
	s_wait_dscnt 0x2
	v_dual_fmac_f32 v50, v83, v67 :: v_dual_fmac_f32 v51, v76, v64
	v_fmac_f32_e32 v13, v73, v32
	s_delay_alu instid0(VALU_DEP_2) | instskip(SKIP_3) | instid1(VALU_DEP_2)
	v_fmac_f32_e32 v51, v78, v65
	ds_load_2addr_b32 v[64:65], v47 offset0:128 offset1:144
	v_fmac_f32_e32 v13, v75, v33
	v_fmac_f32_e32 v51, v80, v66
	;; [unrolled: 1-line block ×3, first 2 shown]
	s_delay_alu instid0(VALU_DEP_2)
	v_fmac_f32_e32 v51, v82, v67
	ds_load_2addr_b32 v[66:67], v47 offset0:160 offset1:176
	v_fmac_f32_e32 v49, v84, v70
	ds_load_2addr_b32 v[84:85], v47 offset1:16
	v_fmac_f32_e32 v13, v79, v53
	v_fmac_f32_e32 v49, v86, v71
	ds_load_b128 v[68:71], v38 offset:2112
	v_fmac_f32_e32 v13, v81, v54
	v_fmac_f32_e32 v49, v88, v30
	s_delay_alu instid0(VALU_DEP_2) | instskip(NEXT) | instid1(VALU_DEP_2)
	v_fmac_f32_e32 v13, v83, v55
	v_fmac_f32_e32 v49, v90, v31
	s_delay_alu instid0(VALU_DEP_1)
	v_fmac_f32_e32 v49, v72, v32
	ds_load_2addr_b32 v[72:73], v47 offset0:96 offset1:112
	v_fmac_f32_e32 v49, v74, v33
	ds_load_b128 v[30:33], v38 offset:80
	s_wait_dscnt 0x3
	v_fmac_f32_e32 v51, v84, v56
	v_fmac_f32_e32 v50, v85, v56
	ds_load_2addr_b32 v[74:75], v47 offset0:224 offset1:240
	v_fmac_f32_e32 v49, v76, v52
	v_fmac_f32_e32 v51, v60, v57
	;; [unrolled: 1-line block ×3, first 2 shown]
	s_delay_alu instid0(VALU_DEP_3) | instskip(NEXT) | instid1(VALU_DEP_3)
	v_fmac_f32_e32 v49, v78, v53
	v_fmac_f32_e32 v51, v62, v58
	s_delay_alu instid0(VALU_DEP_3) | instskip(NEXT) | instid1(VALU_DEP_3)
	v_fmac_f32_e32 v50, v63, v58
	v_fmac_f32_e32 v49, v80, v54
	s_wait_dscnt 0x2
	s_delay_alu instid0(VALU_DEP_3) | instskip(NEXT) | instid1(VALU_DEP_3)
	v_fmac_f32_e32 v51, v72, v59
	v_fmac_f32_e32 v50, v73, v59
	s_delay_alu instid0(VALU_DEP_3)
	v_fmac_f32_e32 v49, v82, v55
	ds_load_b128 v[52:55], v38 offset:2128
	v_fmac_f32_e32 v13, v85, v68
	s_wait_dscnt 0x2
	v_fmac_f32_e32 v51, v64, v30
	v_dual_fmac_f32 v50, v65, v30 :: v_dual_fmac_f32 v49, v84, v68
	s_delay_alu instid0(VALU_DEP_3) | instskip(NEXT) | instid1(VALU_DEP_3)
	v_fmac_f32_e32 v13, v61, v69
	v_fmac_f32_e32 v51, v66, v31
	s_delay_alu instid0(VALU_DEP_3) | instskip(SKIP_3) | instid1(VALU_DEP_2)
	v_dual_fmac_f32 v50, v67, v31 :: v_dual_fmac_f32 v49, v60, v69
	ds_load_2addr_b32 v[68:69], v47 offset0:192 offset1:208
	v_fmac_f32_e32 v13, v63, v70
	v_fmac_f32_e32 v49, v62, v70
	;; [unrolled: 1-line block ×3, first 2 shown]
	s_delay_alu instid0(VALU_DEP_2)
	v_fmac_f32_e32 v49, v72, v71
	ds_load_b128 v[56:59], v38 offset:96
	ds_load_2addr_b32 v[70:71], v48 offset1:16
	s_wait_dscnt 0x3
	v_fmac_f32_e32 v13, v65, v52
	ds_load_b128 v[60:63], v38 offset:2144
	v_fmac_f32_e32 v49, v64, v52
	ds_load_2addr_b32 v[64:65], v48 offset0:32 offset1:48
	v_fmac_f32_e32 v13, v67, v53
	v_fmac_f32_e32 v49, v66, v53
	s_wait_dscnt 0x4
	v_fmac_f32_e32 v51, v68, v32
	v_fmac_f32_e32 v50, v69, v32
	ds_load_2addr_b32 v[66:67], v48 offset0:64 offset1:80
	v_fmac_f32_e32 v13, v69, v54
	v_fmac_f32_e32 v49, v68, v54
	v_fmac_f32_e32 v51, v74, v33
	v_fmac_f32_e32 v50, v75, v33
	ds_load_2addr_b32 v[68:69], v48 offset0:96 offset1:112
	v_fmac_f32_e32 v13, v75, v55
	v_fmac_f32_e32 v49, v74, v55
	ds_load_b128 v[30:33], v38 offset:112
	s_wait_dscnt 0x5
	v_fmac_f32_e32 v51, v70, v56
	v_fmac_f32_e32 v50, v71, v56
	ds_load_2addr_b32 v[72:73], v48 offset0:128 offset1:144
	ds_load_b128 v[52:55], v38 offset:2160
	s_wait_dscnt 0x6
	v_fmac_f32_e32 v49, v70, v60
	v_fmac_f32_e32 v13, v71, v60
	s_wait_dscnt 0x5
	v_fmac_f32_e32 v51, v64, v57
	ds_load_2addr_b32 v[70:71], v48 offset0:160 offset1:176
	v_fmac_f32_e32 v50, v65, v57
	v_fmac_f32_e32 v49, v64, v61
	;; [unrolled: 1-line block ×3, first 2 shown]
	ds_load_2addr_b32 v[56:57], v48 offset0:192 offset1:208
	s_wait_dscnt 0x6
	v_fmac_f32_e32 v51, v66, v58
	v_fmac_f32_e32 v50, v67, v58
	;; [unrolled: 1-line block ×4, first 2 shown]
	ds_load_2addr_b32 v[60:61], v48 offset0:224 offset1:240
	s_wait_dscnt 0x6
	v_fmac_f32_e32 v51, v68, v59
	v_fmac_f32_e32 v50, v69, v59
	;; [unrolled: 1-line block ×4, first 2 shown]
	s_wait_loadcnt_dscnt 0x0
	v_fmac_f32_e32 v51, v72, v30
	s_delay_alu instid0(VALU_DEP_3) | instskip(NEXT) | instid1(VALU_DEP_3)
	v_dual_fmac_f32 v50, v73, v30 :: v_dual_fmac_f32 v49, v72, v52
	v_fmac_f32_e32 v13, v73, v52
	s_barrier_signal -1
	s_delay_alu instid0(VALU_DEP_3) | instskip(NEXT) | instid1(VALU_DEP_3)
	v_fmac_f32_e32 v51, v70, v31
	v_dual_fmac_f32 v50, v71, v31 :: v_dual_fmac_f32 v49, v70, v53
	s_delay_alu instid0(VALU_DEP_3) | instskip(SKIP_1) | instid1(VALU_DEP_3)
	v_fmac_f32_e32 v13, v71, v53
	s_barrier_wait -1
	v_fmac_f32_e32 v51, v56, v32
	s_delay_alu instid0(VALU_DEP_3) | instskip(NEXT) | instid1(VALU_DEP_3)
	v_dual_fmac_f32 v50, v57, v32 :: v_dual_fmac_f32 v49, v56, v54
	v_fmac_f32_e32 v13, v57, v54
	global_inv scope:SCOPE_SE
	v_fmac_f32_e32 v51, v60, v33
	v_dual_fmac_f32 v50, v61, v33 :: v_dual_fmac_f32 v49, v60, v55
	v_fmac_f32_e32 v13, v61, v55
	s_cbranch_scc1 .LBB15_46
.LBB15_10:                              ;   Parent Loop BB15_4 Depth=1
                                        ;     Parent Loop BB15_7 Depth=2
                                        ; =>    This Inner Loop Header: Depth=3
	s_wait_alu 0xfffe
	v_add_co_u32 v30, s5, v34, s36
	s_wait_alu 0xf1ff
	v_add_co_ci_u32_e64 v31, null, 0, s37, s5
	v_cmp_eq_u64_e64 s7, s[36:37], v[22:23]
                                        ; implicit-def: $vgpr52
	s_delay_alu instid0(VALU_DEP_2)
	v_cmp_gt_i64_e64 s5, v[30:31], v[14:15]
	v_cmp_le_i64_e64 s6, s[40:41], v[30:31]
	s_and_b32 s54, s49, s7
	v_add_co_u32 v32, s7, v16, v36
	s_or_b32 s8, vcc_lo, s5
	v_add_co_ci_u32_e64 v33, null, 0, v17, s7
	s_wait_alu 0xfffe
	s_or_b32 s7, s8, s54
	s_wait_alu 0xfffe
	s_nor_b32 s7, s6, s7
	s_wait_alu 0xfffe
	s_and_saveexec_b32 s8, s7
	s_wait_alu 0xfffe
	s_xor_b32 s7, exec_lo, s8
	s_cbranch_execz .LBB15_12
; %bb.11:                               ;   in Loop: Header=BB15_10 Depth=3
	global_load_b32 v52, v[32:33], off
.LBB15_12:                              ;   in Loop: Header=BB15_10 Depth=3
	s_wait_alu 0xfffe
	s_and_not1_saveexec_b32 s7, s7
	s_cbranch_execz .LBB15_14
; %bb.13:                               ;   in Loop: Header=BB15_10 Depth=3
	s_wait_loadcnt 0x0
	v_cndmask_b32_e64 v52, 0, 1.0, s54
.LBB15_14:                              ;   in Loop: Header=BB15_10 Depth=3
	s_wait_alu 0xfffe
	s_or_b32 exec_lo, exec_lo, s7
	v_add_co_u32 v53, s7, v30, 16
	s_wait_alu 0xf1ff
	v_add_co_ci_u32_e64 v54, null, 0, v31, s7
	v_cmp_eq_u64_e64 s8, s[36:37], v[26:27]
	s_wait_loadcnt 0x0
	ds_store_b32 v40, v52
	v_cmp_gt_i64_e64 s9, v[53:54], v[14:15]
	v_cmp_le_i64_e64 s7, s[40:41], v[53:54]
	s_and_b32 s55, s49, s8
	s_or_b32 s8, vcc_lo, s9
	s_wait_alu 0xfffe
	s_or_b32 s8, s8, s55
	s_wait_alu 0xfffe
	s_nor_b32 s8, s7, s8
	s_wait_alu 0xfffe
	s_and_saveexec_b32 s9, s8
	s_wait_alu 0xfffe
	s_xor_b32 s8, exec_lo, s9
	s_cbranch_execz .LBB15_16
; %bb.15:                               ;   in Loop: Header=BB15_10 Depth=3
	global_load_b32 v32, v[32:33], off offset:64
	s_wait_loadcnt 0x0
	ds_store_b32 v40, v32 offset:64
.LBB15_16:                              ;   in Loop: Header=BB15_10 Depth=3
	s_wait_alu 0xfffe
	s_and_not1_saveexec_b32 s8, s8
	s_cbranch_execz .LBB15_22
; %bb.17:                               ;   in Loop: Header=BB15_10 Depth=3
	s_xor_b32 s9, s55, -1
	s_wait_alu 0xfffe
	s_and_saveexec_b32 s55, s9
	s_wait_alu 0xfffe
	s_xor_b32 s9, exec_lo, s55
; %bb.18:                               ;   in Loop: Header=BB15_10 Depth=3
	ds_store_b32 v40, v37 offset:64
; %bb.19:                               ;   in Loop: Header=BB15_10 Depth=3
	s_wait_alu 0xfffe
	s_and_not1_saveexec_b32 s9, s9
; %bb.20:                               ;   in Loop: Header=BB15_10 Depth=3
	ds_store_b32 v40, v45 offset:64
; %bb.21:                               ;   in Loop: Header=BB15_10 Depth=3
	s_wait_alu 0xfffe
	s_or_b32 exec_lo, exec_lo, s9
.LBB15_22:                              ;   in Loop: Header=BB15_10 Depth=3
	s_wait_alu 0xfffe
	s_or_b32 exec_lo, exec_lo, s8
	v_cmp_eq_u64_e64 s8, s[36:37], v[24:25]
	v_cmp_gt_i64_e64 s9, v[30:31], v[20:21]
                                        ; implicit-def: $vgpr32
	s_and_b32 s55, s49, s8
	v_add_co_u32 v30, s8, v18, v36
	s_or_b32 s9, s4, s9
	v_add_co_ci_u32_e64 v31, null, 0, v19, s8
	s_wait_alu 0xfffe
	s_or_b32 s8, s9, s55
	s_wait_alu 0xfffe
	s_nor_b32 s6, s6, s8
	s_wait_alu 0xfffe
	s_and_saveexec_b32 s8, s6
	s_wait_alu 0xfffe
	s_xor_b32 s6, exec_lo, s8
	s_cbranch_execz .LBB15_24
; %bb.23:                               ;   in Loop: Header=BB15_10 Depth=3
	global_load_b32 v32, v[30:31], off
.LBB15_24:                              ;   in Loop: Header=BB15_10 Depth=3
	s_wait_alu 0xfffe
	s_and_not1_saveexec_b32 s6, s6
	s_cbranch_execz .LBB15_26
; %bb.25:                               ;   in Loop: Header=BB15_10 Depth=3
	s_wait_loadcnt 0x0
	v_cndmask_b32_e64 v32, 0, 1.0, s55
.LBB15_26:                              ;   in Loop: Header=BB15_10 Depth=3
	s_wait_alu 0xfffe
	s_or_b32 exec_lo, exec_lo, s6
	s_or_b32 s5, s4, s5
	s_wait_loadcnt 0x0
	ds_store_b32 v40, v32 offset:2048
	s_wait_alu 0xfffe
	s_or_b32 s5, s5, s54
	s_wait_alu 0xfffe
	s_nor_b32 s5, s7, s5
	s_wait_alu 0xfffe
	s_and_saveexec_b32 s6, s5
	s_wait_alu 0xfffe
	s_xor_b32 s5, exec_lo, s6
	s_cbranch_execz .LBB15_28
; %bb.27:                               ;   in Loop: Header=BB15_10 Depth=3
	global_load_b32 v30, v[30:31], off offset:64
	s_wait_loadcnt 0x0
	ds_store_b32 v40, v30 offset:2112
.LBB15_28:                              ;   in Loop: Header=BB15_10 Depth=3
	s_wait_alu 0xfffe
	s_and_not1_saveexec_b32 s5, s5
	s_cbranch_execz .LBB15_34
; %bb.29:                               ;   in Loop: Header=BB15_10 Depth=3
	s_xor_b32 s6, s54, -1
	s_wait_alu 0xfffe
	s_and_saveexec_b32 s7, s6
	s_wait_alu 0xfffe
	s_xor_b32 s6, exec_lo, s7
; %bb.30:                               ;   in Loop: Header=BB15_10 Depth=3
	ds_store_b32 v40, v37 offset:2112
; %bb.31:                               ;   in Loop: Header=BB15_10 Depth=3
	s_wait_alu 0xfffe
	s_and_not1_saveexec_b32 s6, s6
; %bb.32:                               ;   in Loop: Header=BB15_10 Depth=3
	ds_store_b32 v40, v45 offset:2112
; %bb.33:                               ;   in Loop: Header=BB15_10 Depth=3
	s_wait_alu 0xfffe
	s_or_b32 exec_lo, exec_lo, s6
.LBB15_34:                              ;   in Loop: Header=BB15_10 Depth=3
	s_wait_alu 0xfffe
	s_or_b32 exec_lo, exec_lo, s5
	v_add_co_u32 v30, s5, v35, s36
	s_wait_alu 0xf1ff
	v_add_co_ci_u32_e64 v31, null, 0, s37, s5
	v_add_co_u32 v32, s6, v28, v4
	s_wait_alu 0xf1ff
	v_add_co_ci_u32_e64 v33, null, v29, v5, s6
	s_delay_alu instid0(VALU_DEP_3)
	v_cmp_le_i64_e64 s5, s[40:41], v[30:31]
	v_mov_b32_e32 v52, 0
	s_nor_b32 s7, s5, s0
	s_wait_alu 0xfffe
	s_and_saveexec_b32 s6, s7
	s_cbranch_execz .LBB15_36
; %bb.35:                               ;   in Loop: Header=BB15_10 Depth=3
	global_load_b32 v52, v[32:33], off offset:-64
.LBB15_36:                              ;   in Loop: Header=BB15_10 Depth=3
	s_wait_alu 0xfffe
	s_or_b32 exec_lo, exec_lo, s6
	s_nor_b32 s5, s5, s1
	s_wait_loadcnt 0x0
	ds_store_b32 v41, v52
	s_wait_alu 0xfffe
	s_and_saveexec_b32 s6, s5
	s_wait_alu 0xfffe
	s_xor_b32 s5, exec_lo, s6
	s_cbranch_execz .LBB15_38
; %bb.37:                               ;   in Loop: Header=BB15_10 Depth=3
	global_load_b32 v32, v[32:33], off
	s_wait_loadcnt 0x0
	ds_store_b32 v41, v32 offset:64
.LBB15_38:                              ;   in Loop: Header=BB15_10 Depth=3
	s_wait_alu 0xfffe
	s_and_not1_saveexec_b32 s5, s5
; %bb.39:                               ;   in Loop: Header=BB15_10 Depth=3
	ds_store_b32 v41, v37 offset:64
; %bb.40:                               ;   in Loop: Header=BB15_10 Depth=3
	s_wait_alu 0xfffe
	s_or_b32 exec_lo, exec_lo, s5
	v_cmp_le_i64_e64 s5, s[44:45], v[30:31]
	v_add_co_u32 v30, s6, v28, v0
	s_wait_alu 0xf1ff
	v_add_co_ci_u32_e64 v31, null, v29, v1, s6
	v_mov_b32_e32 v32, 0
	s_delay_alu instid0(VALU_DEP_4)
	s_nor_b32 s7, s5, s0
	s_wait_alu 0xfffe
	s_and_saveexec_b32 s6, s7
	s_cbranch_execz .LBB15_42
; %bb.41:                               ;   in Loop: Header=BB15_10 Depth=3
	global_load_b32 v32, v[30:31], off offset:-64
.LBB15_42:                              ;   in Loop: Header=BB15_10 Depth=3
	s_wait_alu 0xfffe
	s_or_b32 exec_lo, exec_lo, s6
	s_nor_b32 s5, s5, s1
	s_wait_loadcnt 0x0
	ds_store_b32 v41, v32 offset:2048
	s_wait_alu 0xfffe
	s_and_saveexec_b32 s6, s5
	s_wait_alu 0xfffe
	s_xor_b32 s5, exec_lo, s6
	s_cbranch_execz .LBB15_44
; %bb.43:                               ;   in Loop: Header=BB15_10 Depth=3
	global_load_b32 v30, v[30:31], off
	s_wait_loadcnt 0x0
	ds_store_b32 v41, v30 offset:2112
.LBB15_44:                              ;   in Loop: Header=BB15_10 Depth=3
	s_wait_alu 0xfffe
	s_and_not1_saveexec_b32 s5, s5
	s_cbranch_execz .LBB15_9
; %bb.45:                               ;   in Loop: Header=BB15_10 Depth=3
	ds_store_b32 v41, v37 offset:2112
	s_branch .LBB15_9
.LBB15_46:                              ;   in Loop: Header=BB15_7 Depth=2
	v_mul_lo_u32 v17, s29, v14
	s_delay_alu instid0(VALU_DEP_2) | instskip(SKIP_2) | instid1(VALU_DEP_2)
	v_mul_lo_u32 v18, s28, v15
	v_mad_co_u64_u32 v[15:16], null, s28, v14, 0
	v_cmp_gt_i32_e32 vcc_lo, s38, v14
	v_add3_u32 v16, v16, v18, v17
	s_delay_alu instid0(VALU_DEP_1) | instskip(SKIP_1) | instid1(VALU_DEP_1)
	v_lshlrev_b64_e32 v[15:16], 2, v[15:16]
	s_wait_alu 0xfffe
	v_add_co_u32 v15, s4, s20, v15
	s_wait_alu 0xf1ff
	s_delay_alu instid0(VALU_DEP_2)
	v_add_co_ci_u32_e64 v16, null, s21, v16, s4
	s_and_b32 s4, s2, vcc_lo
	s_wait_alu 0xfffe
	s_and_saveexec_b32 s5, s4
	s_cbranch_execz .LBB15_48
; %bb.47:                               ;   in Loop: Header=BB15_7 Depth=2
	v_add_co_u32 v17, s4, v15, v2
	s_wait_alu 0xf1ff
	v_add_co_ci_u32_e64 v18, null, v16, v3, s4
	global_load_b32 v19, v[17:18], off
	s_wait_loadcnt 0x0
	v_fmac_f32_e32 v19, s39, v51
	global_store_b32 v[17:18], v19, off
.LBB15_48:                              ;   in Loop: Header=BB15_7 Depth=2
	s_wait_alu 0xfffe
	s_or_b32 exec_lo, exec_lo, s5
	s_and_b32 s5, s3, vcc_lo
	s_wait_alu 0xfffe
	s_and_saveexec_b32 s4, s5
	s_cbranch_execz .LBB15_50
; %bb.49:                               ;   in Loop: Header=BB15_7 Depth=2
	v_add_co_u32 v15, vcc_lo, v15, v8
	s_wait_alu 0xfffd
	v_add_co_ci_u32_e64 v16, null, v16, v9, vcc_lo
	global_load_b32 v17, v[15:16], off
	s_wait_loadcnt 0x0
	v_fmac_f32_e32 v17, s39, v50
	global_store_b32 v[15:16], v17, off
.LBB15_50:                              ;   in Loop: Header=BB15_7 Depth=2
	s_wait_alu 0xfffe
	s_or_b32 exec_lo, exec_lo, s4
	v_add_nc_u32_e32 v16, 16, v14
	s_delay_alu instid0(VALU_DEP_1) | instskip(SKIP_3) | instid1(VALU_DEP_4)
	v_ashrrev_i32_e32 v17, 31, v16
	v_mul_lo_u32 v18, s29, v16
	v_mad_co_u64_u32 v[14:15], null, s28, v16, 0
	v_cmp_gt_i32_e32 vcc_lo, s38, v16
	v_mul_lo_u32 v17, s28, v17
	s_delay_alu instid0(VALU_DEP_1) | instskip(NEXT) | instid1(VALU_DEP_1)
	v_add3_u32 v15, v15, v17, v18
	v_lshlrev_b64_e32 v[14:15], 2, v[14:15]
	s_delay_alu instid0(VALU_DEP_1) | instskip(SKIP_1) | instid1(VALU_DEP_2)
	v_add_co_u32 v14, s4, s20, v14
	s_wait_alu 0xf1ff
	v_add_co_ci_u32_e64 v15, null, s21, v15, s4
	s_and_b32 s4, s2, vcc_lo
	s_wait_alu 0xfffe
	s_and_saveexec_b32 s5, s4
	s_cbranch_execz .LBB15_52
; %bb.51:                               ;   in Loop: Header=BB15_7 Depth=2
	v_add_co_u32 v16, s4, v14, v2
	s_wait_alu 0xf1ff
	v_add_co_ci_u32_e64 v17, null, v15, v3, s4
	global_load_b32 v18, v[16:17], off
	s_wait_loadcnt 0x0
	v_fmac_f32_e32 v18, s39, v49
	global_store_b32 v[16:17], v18, off
.LBB15_52:                              ;   in Loop: Header=BB15_7 Depth=2
	s_wait_alu 0xfffe
	s_or_b32 exec_lo, exec_lo, s5
	s_and_b32 s5, s3, vcc_lo
	s_wait_alu 0xfffe
	s_and_saveexec_b32 s4, s5
	s_cbranch_execz .LBB15_6
; %bb.53:                               ;   in Loop: Header=BB15_7 Depth=2
	v_add_co_u32 v14, vcc_lo, v14, v8
	s_wait_alu 0xfffd
	v_add_co_ci_u32_e64 v15, null, v15, v9, vcc_lo
	global_load_b32 v16, v[14:15], off
	s_wait_loadcnt 0x0
	v_fmac_f32_e32 v16, s39, v13
	global_store_b32 v[14:15], v16, off
	s_branch .LBB15_6
.LBB15_54:
	s_endpgm
	.section	.rodata,"a",@progbits
	.p2align	6, 0x0
	.amdhsa_kernel _ZL30rocblas_trmm_outofplace_kernelIfLi32ELi2ELb0ELb1ELb0ELb0EfKffEv17rocblas_diagonal_iiT6_lPT7_lllS4_lllPT8_llli
		.amdhsa_group_segment_fixed_size 8192
		.amdhsa_private_segment_fixed_size 0
		.amdhsa_kernarg_size 384
		.amdhsa_user_sgpr_count 2
		.amdhsa_user_sgpr_dispatch_ptr 0
		.amdhsa_user_sgpr_queue_ptr 0
		.amdhsa_user_sgpr_kernarg_segment_ptr 1
		.amdhsa_user_sgpr_dispatch_id 0
		.amdhsa_user_sgpr_private_segment_size 0
		.amdhsa_wavefront_size32 1
		.amdhsa_uses_dynamic_stack 0
		.amdhsa_enable_private_segment 0
		.amdhsa_system_sgpr_workgroup_id_x 1
		.amdhsa_system_sgpr_workgroup_id_y 1
		.amdhsa_system_sgpr_workgroup_id_z 1
		.amdhsa_system_sgpr_workgroup_info 0
		.amdhsa_system_vgpr_workitem_id 1
		.amdhsa_next_free_vgpr 92
		.amdhsa_next_free_sgpr 56
		.amdhsa_reserve_vcc 1
		.amdhsa_float_round_mode_32 0
		.amdhsa_float_round_mode_16_64 0
		.amdhsa_float_denorm_mode_32 3
		.amdhsa_float_denorm_mode_16_64 3
		.amdhsa_fp16_overflow 0
		.amdhsa_workgroup_processor_mode 1
		.amdhsa_memory_ordered 1
		.amdhsa_forward_progress 1
		.amdhsa_inst_pref_size 28
		.amdhsa_round_robin_scheduling 0
		.amdhsa_exception_fp_ieee_invalid_op 0
		.amdhsa_exception_fp_denorm_src 0
		.amdhsa_exception_fp_ieee_div_zero 0
		.amdhsa_exception_fp_ieee_overflow 0
		.amdhsa_exception_fp_ieee_underflow 0
		.amdhsa_exception_fp_ieee_inexact 0
		.amdhsa_exception_int_div_zero 0
	.end_amdhsa_kernel
	.section	.text._ZL30rocblas_trmm_outofplace_kernelIfLi32ELi2ELb0ELb1ELb0ELb0EfKffEv17rocblas_diagonal_iiT6_lPT7_lllS4_lllPT8_llli,"axG",@progbits,_ZL30rocblas_trmm_outofplace_kernelIfLi32ELi2ELb0ELb1ELb0ELb0EfKffEv17rocblas_diagonal_iiT6_lPT7_lllS4_lllPT8_llli,comdat
.Lfunc_end15:
	.size	_ZL30rocblas_trmm_outofplace_kernelIfLi32ELi2ELb0ELb1ELb0ELb0EfKffEv17rocblas_diagonal_iiT6_lPT7_lllS4_lllPT8_llli, .Lfunc_end15-_ZL30rocblas_trmm_outofplace_kernelIfLi32ELi2ELb0ELb1ELb0ELb0EfKffEv17rocblas_diagonal_iiT6_lPT7_lllS4_lllPT8_llli
                                        ; -- End function
	.set _ZL30rocblas_trmm_outofplace_kernelIfLi32ELi2ELb0ELb1ELb0ELb0EfKffEv17rocblas_diagonal_iiT6_lPT7_lllS4_lllPT8_llli.num_vgpr, 92
	.set _ZL30rocblas_trmm_outofplace_kernelIfLi32ELi2ELb0ELb1ELb0ELb0EfKffEv17rocblas_diagonal_iiT6_lPT7_lllS4_lllPT8_llli.num_agpr, 0
	.set _ZL30rocblas_trmm_outofplace_kernelIfLi32ELi2ELb0ELb1ELb0ELb0EfKffEv17rocblas_diagonal_iiT6_lPT7_lllS4_lllPT8_llli.numbered_sgpr, 56
	.set _ZL30rocblas_trmm_outofplace_kernelIfLi32ELi2ELb0ELb1ELb0ELb0EfKffEv17rocblas_diagonal_iiT6_lPT7_lllS4_lllPT8_llli.num_named_barrier, 0
	.set _ZL30rocblas_trmm_outofplace_kernelIfLi32ELi2ELb0ELb1ELb0ELb0EfKffEv17rocblas_diagonal_iiT6_lPT7_lllS4_lllPT8_llli.private_seg_size, 0
	.set _ZL30rocblas_trmm_outofplace_kernelIfLi32ELi2ELb0ELb1ELb0ELb0EfKffEv17rocblas_diagonal_iiT6_lPT7_lllS4_lllPT8_llli.uses_vcc, 1
	.set _ZL30rocblas_trmm_outofplace_kernelIfLi32ELi2ELb0ELb1ELb0ELb0EfKffEv17rocblas_diagonal_iiT6_lPT7_lllS4_lllPT8_llli.uses_flat_scratch, 0
	.set _ZL30rocblas_trmm_outofplace_kernelIfLi32ELi2ELb0ELb1ELb0ELb0EfKffEv17rocblas_diagonal_iiT6_lPT7_lllS4_lllPT8_llli.has_dyn_sized_stack, 0
	.set _ZL30rocblas_trmm_outofplace_kernelIfLi32ELi2ELb0ELb1ELb0ELb0EfKffEv17rocblas_diagonal_iiT6_lPT7_lllS4_lllPT8_llli.has_recursion, 0
	.set _ZL30rocblas_trmm_outofplace_kernelIfLi32ELi2ELb0ELb1ELb0ELb0EfKffEv17rocblas_diagonal_iiT6_lPT7_lllS4_lllPT8_llli.has_indirect_call, 0
	.section	.AMDGPU.csdata,"",@progbits
; Kernel info:
; codeLenInByte = 3512
; TotalNumSgprs: 58
; NumVgprs: 92
; ScratchSize: 0
; MemoryBound: 0
; FloatMode: 240
; IeeeMode: 1
; LDSByteSize: 8192 bytes/workgroup (compile time only)
; SGPRBlocks: 0
; VGPRBlocks: 11
; NumSGPRsForWavesPerEU: 58
; NumVGPRsForWavesPerEU: 92
; Occupancy: 16
; WaveLimiterHint : 0
; COMPUTE_PGM_RSRC2:SCRATCH_EN: 0
; COMPUTE_PGM_RSRC2:USER_SGPR: 2
; COMPUTE_PGM_RSRC2:TRAP_HANDLER: 0
; COMPUTE_PGM_RSRC2:TGID_X_EN: 1
; COMPUTE_PGM_RSRC2:TGID_Y_EN: 1
; COMPUTE_PGM_RSRC2:TGID_Z_EN: 1
; COMPUTE_PGM_RSRC2:TIDIG_COMP_CNT: 1
	.section	.text._ZL30rocblas_trmm_outofplace_kernelIfLi32ELi2ELb0ELb0ELb1ELb0EPKfS0_fEv17rocblas_diagonal_iiT6_lPT7_lllS5_lllPT8_llli,"axG",@progbits,_ZL30rocblas_trmm_outofplace_kernelIfLi32ELi2ELb0ELb0ELb1ELb0EPKfS0_fEv17rocblas_diagonal_iiT6_lPT7_lllS5_lllPT8_llli,comdat
	.globl	_ZL30rocblas_trmm_outofplace_kernelIfLi32ELi2ELb0ELb0ELb1ELb0EPKfS0_fEv17rocblas_diagonal_iiT6_lPT7_lllS5_lllPT8_llli ; -- Begin function _ZL30rocblas_trmm_outofplace_kernelIfLi32ELi2ELb0ELb0ELb1ELb0EPKfS0_fEv17rocblas_diagonal_iiT6_lPT7_lllS5_lllPT8_llli
	.p2align	8
	.type	_ZL30rocblas_trmm_outofplace_kernelIfLi32ELi2ELb0ELb0ELb1ELb0EPKfS0_fEv17rocblas_diagonal_iiT6_lPT7_lllS5_lllPT8_llli,@function
_ZL30rocblas_trmm_outofplace_kernelIfLi32ELi2ELb0ELb0ELb1ELb0EPKfS0_fEv17rocblas_diagonal_iiT6_lPT7_lllS5_lllPT8_llli: ; @_ZL30rocblas_trmm_outofplace_kernelIfLi32ELi2ELb0ELb0ELb1ELb0EPKfS0_fEv17rocblas_diagonal_iiT6_lPT7_lllS5_lllPT8_llli
; %bb.0:
	s_load_b32 s33, s[0:1], 0x80
	s_lshr_b32 s34, ttmp7, 16
	s_wait_kmcnt 0x0
	s_cmp_ge_u32 s34, s33
	s_cbranch_scc1 .LBB16_55
; %bb.1:
	s_clause 0x3
	s_load_b96 s[36:38], s[0:1], 0x0
	s_load_b256 s[4:11], s[0:1], 0x50
	s_load_b512 s[12:27], s[0:1], 0x10
	s_load_b128 s[28:31], s[0:1], 0x70
	s_add_nc_u64 s[40:41], s[0:1], 0x88
	v_and_b32_e32 v44, 0x3ff, v0
	v_bfe_u32 v45, v0, 10, 10
	s_and_b32 s39, ttmp7, 0xffff
	v_mov_b32_e32 v46, 0
	s_mov_b32 s35, 0
	v_lshl_add_u32 v6, ttmp9, 5, v44
	v_lshl_add_u32 v11, v45, 2, 64
	v_lshlrev_b32_e32 v47, 7, v45
	v_lshl_add_u32 v53, s39, 5, v45
	v_mov_b32_e32 v54, 1.0
	v_ashrrev_i32_e32 v7, 31, v6
	s_wait_kmcnt 0x0
	s_add_co_i32 s0, s38, -1
	v_mad_co_u64_u32 v[4:5], null, s4, v45, 0
	s_wait_alu 0xfffe
	s_ashr_i32 s1, s0, 31
	v_sub_co_u32 v0, vcc_lo, s37, v6
	s_wait_alu 0xfffe
	s_lshr_b32 s1, s1, 27
	s_wait_alu 0xfffe
	s_add_co_i32 s2, s0, s1
	s_lshl_b64 s[0:1], s[10:11], 2
	s_ashr_i32 s50, s2, 5
	s_wait_alu 0xfffe
	s_add_nc_u64 s[42:43], s[8:9], s[0:1]
	s_cmp_le_i32 s39, s50
	v_cmp_gt_i32_e64 s2, s37, v6
	s_cselect_b32 s51, -1, 0
	s_cmp_eq_u32 s36, 0x84
	s_mov_b32 s10, s38
	s_cselect_b32 s36, -1, 0
	s_ashr_i32 s0, s37, 31
	s_ashr_i32 s11, s38, 31
	s_wait_alu 0xfffe
	v_sub_co_ci_u32_e64 v1, null, s0, v7, vcc_lo
	s_lshl_b64 s[44:45], s[20:21], 7
	s_lshl_b64 s[46:47], s[4:5], 7
	s_add_nc_u64 s[48:49], s[10:11], -16
	v_cmp_gt_i64_e64 s0, 1, v[0:1]
	v_cmp_gt_i64_e64 s1, 17, v[0:1]
	v_mov_b32_e32 v0, v5
	s_delay_alu instid0(VALU_DEP_1) | instskip(SKIP_1) | instid1(VALU_DEP_2)
	v_mad_co_u64_u32 v[2:3], null, s5, v45, v[0:1]
	v_mad_co_u64_u32 v[0:1], null, s4, v11, 0
	v_dual_mov_b32 v5, v2 :: v_dual_lshlrev_b32 v10, 2, v44
	v_sub_co_u32 v51, s8, 0, v44
	s_delay_alu instid0(VALU_DEP_1) | instskip(NEXT) | instid1(VALU_DEP_3)
	v_sub_co_ci_u32_e64 v52, null, 0, 0, s8
	v_add_nc_u32_e32 v14, 64, v10
	s_lshl_b64 s[8:9], s[18:19], 2
	v_mad_co_u64_u32 v[8:9], null, s20, v44, 0
	s_wait_alu 0xfffe
	s_add_nc_u64 s[8:9], s[16:17], s[8:9]
	v_or_b32_e32 v48, 0x1000, v10
	s_wait_alu 0xfffe
	v_mad_co_u64_u32 v[2:3], null, s20, v14, s[8:9]
	v_add_nc_u32_e32 v49, v47, v10
	v_lshlrev_b64_e32 v[4:5], 2, v[4:5]
	v_mad_co_u64_u32 v[9:10], null, s21, v44, v[9:10]
	s_lshl_b64 s[16:17], s[26:27], 2
	v_add_nc_u32_e32 v50, v48, v47
	v_mad_co_u64_u32 v[10:11], null, s5, v11, v[1:2]
	v_add_nc_u32_e32 v12, 16, v6
	v_lshlrev_b64_e32 v[6:7], 2, v[6:7]
	s_add_nc_u64 s[16:17], s[24:25], s[16:17]
	v_mad_co_u64_u32 v[14:15], null, s21, v14, v[3:4]
	v_lshlrev_b64_e32 v[15:16], 2, v[8:9]
	v_add_nc_u32_e32 v55, 0x400, v48
	s_delay_alu instid0(VALU_DEP_4) | instskip(SKIP_3) | instid1(VALU_DEP_3)
	v_add_co_u32 v1, vcc_lo, s16, v6
	s_wait_alu 0xfffd
	v_add_co_ci_u32_e64 v3, null, s17, v7, vcc_lo
	v_add_nc_u32_e32 v56, 0x800, v48
	v_add_co_u32 v8, vcc_lo, v1, 64
	v_mov_b32_e32 v1, v10
	v_ashrrev_i32_e32 v13, 31, v12
	s_wait_alu 0xfffd
	v_add_co_ci_u32_e64 v9, null, 0, v3, vcc_lo
	v_add_co_u32 v10, vcc_lo, s8, v15
	v_cmp_gt_i32_e64 s3, s37, v12
	v_lshlrev_b64_e32 v[12:13], 2, v[12:13]
	v_mov_b32_e32 v3, v14
	s_wait_alu 0xfffd
	v_add_co_ci_u32_e64 v11, null, s9, v16, vcc_lo
	v_add_nc_u32_e32 v57, 0xc00, v48
	s_lshl_b64 s[16:17], s[6:7], 2
	s_lshl_b64 s[18:19], s[22:23], 2
	s_branch .LBB16_4
.LBB16_2:                               ;   in Loop: Header=BB16_4 Depth=1
	s_add_co_i32 s34, s34, 0x10000
	s_wait_alu 0xfffe
	s_cmp_ge_u32 s34, s33
	s_cselect_b32 s4, -1, 0
.LBB16_3:                               ;   in Loop: Header=BB16_4 Depth=1
	s_wait_alu 0xfffe
	s_and_b32 vcc_lo, exec_lo, s4
	s_wait_alu 0xfffe
	s_cbranch_vccnz .LBB16_55
.LBB16_4:                               ; =>This Loop Header: Depth=1
                                        ;     Child Loop BB16_8 Depth 2
                                        ;       Child Loop BB16_11 Depth 3
	s_mul_u64 s[4:5], s[14:15], s[34:35]
	s_wait_alu 0xfffe
	s_lshl_b64 s[4:5], s[4:5], 2
	s_wait_alu 0xfffe
	s_add_nc_u64 s[4:5], s[12:13], s[4:5]
	global_load_b32 v58, v46, s[4:5]
	s_mov_b32 s4, -1
	s_wait_loadcnt 0x0
	v_cmp_eq_f32_e32 vcc_lo, 0, v58
	s_cbranch_vccnz .LBB16_3
; %bb.5:                                ;   in Loop: Header=BB16_4 Depth=1
	s_and_not1_b32 vcc_lo, exec_lo, s51
	s_wait_alu 0xfffe
	s_cbranch_vccnz .LBB16_2
; %bb.6:                                ;   in Loop: Header=BB16_4 Depth=1
	s_load_b32 s24, s[40:41], 0x4
	v_mad_co_u64_u32 v[14:15], null, s16, s34, v[8:9]
	v_mad_co_u64_u32 v[16:17], null, s18, s34, v[2:3]
	;; [unrolled: 1-line block ×3, first 2 shown]
	s_mul_i32 s6, s19, s34
	s_mul_u64 s[4:5], s[30:31], s[34:35]
	s_mov_b32 s26, s39
	s_wait_alu 0xfffe
	s_lshl_b64 s[4:5], s[4:5], 2
	v_mad_co_u64_u32 v[20:21], null, s17, s34, v[15:16]
	v_add_nc_u32_e32 v17, s6, v17
	v_add_nc_u32_e32 v19, s6, v19
	s_wait_alu 0xfffe
	s_add_nc_u64 s[20:21], s[42:43], s[4:5]
	s_delay_alu instid0(VALU_DEP_3)
	v_dual_mov_b32 v15, v20 :: v_dual_mov_b32 v20, v53
	s_wait_kmcnt 0x0
	s_lshl_b32 s25, s24, 5
	s_branch .LBB16_8
.LBB16_7:                               ;   in Loop: Header=BB16_8 Depth=2
	s_wait_alu 0xfffe
	s_or_b32 exec_lo, exec_lo, s4
	v_add_nc_u32_e32 v20, s25, v20
	s_add_co_i32 s26, s24, s26
	s_wait_alu 0xfffe
	s_cmp_gt_i32 s26, s50
	s_cbranch_scc1 .LBB16_2
.LBB16_8:                               ;   Parent Loop BB16_4 Depth=1
                                        ; =>  This Loop Header: Depth=2
                                        ;       Child Loop BB16_11 Depth 3
	s_lshl_b32 s27, s26, 5
	v_dual_mov_b32 v60, 0 :: v_dual_mov_b32 v59, 0
	s_wait_alu 0xfffe
	v_dual_mov_b32 v61, 0 :: v_dual_add_nc_u32 v22, s27, v45
	v_mov_b32_e32 v21, 0
	s_cmp_lt_i32 s26, 0
	s_delay_alu instid0(VALU_DEP_2)
	v_ashrrev_i32_e32 v23, 31, v22
	s_cbranch_scc1 .LBB16_47
; %bb.9:                                ;   in Loop: Header=BB16_8 Depth=2
	v_ashrrev_i32_e32 v21, 31, v20
	v_add_co_u32 v24, vcc_lo, v22, 16
	s_wait_alu 0xfffd
	v_add_co_ci_u32_e64 v25, null, 0, v23, vcc_lo
	v_add_co_u32 v26, vcc_lo, v51, v20
	s_wait_alu 0xfffd
	v_add_co_ci_u32_e64 v27, null, v52, v21, vcc_lo
	v_lshlrev_b64_e32 v[28:29], 2, v[20:21]
	s_delay_alu instid0(VALU_DEP_3) | instskip(SKIP_1) | instid1(VALU_DEP_3)
	v_add_co_u32 v30, s5, v26, 16
	s_wait_alu 0xf1ff
	v_add_co_ci_u32_e64 v31, null, 0, v27, s5
	v_add_co_u32 v32, s5, v26, -16
	v_cmp_le_i64_e64 s4, s[10:11], v[24:25]
	v_mov_b32_e32 v35, v19
	v_mov_b32_e32 v37, v17
	v_dual_mov_b32 v39, v15 :: v_dual_mov_b32 v60, 0
	s_wait_alu 0xf1ff
	v_add_co_ci_u32_e64 v33, null, -1, v27, s5
	v_dual_mov_b32 v21, 0 :: v_dual_mov_b32 v34, v18
	v_mov_b32_e32 v36, v16
	v_dual_mov_b32 v38, v14 :: v_dual_mov_b32 v59, 0
	v_mov_b32_e32 v61, 0
	s_mov_b64 s[22:23], 0
	v_cmp_le_i32_e32 vcc_lo, s38, v22
	s_branch .LBB16_11
.LBB16_10:                              ;   in Loop: Header=BB16_11 Depth=3
	s_wait_alu 0xfffe
	s_or_b32 exec_lo, exec_lo, s5
	s_wait_dscnt 0x0
	s_barrier_signal -1
	s_barrier_wait -1
	global_inv scope:SCOPE_SE
	ds_load_b128 v[40:43], v47
	ds_load_b128 v[62:65], v47 offset:16
	ds_load_b128 v[66:69], v47 offset:32
	;; [unrolled: 1-line block ×3, first 2 shown]
	ds_load_2addr_b32 v[78:79], v48 offset1:16
	ds_load_b128 v[74:77], v47 offset:2048
	v_add_co_u32 v38, s5, v38, s46
	s_wait_alu 0xf1ff
	v_add_co_ci_u32_e64 v39, null, s47, v39, s5
	v_add_co_u32 v36, s5, v36, s44
	s_wait_alu 0xf1ff
	v_add_co_ci_u32_e64 v37, null, s45, v37, s5
	v_add_co_u32 v34, s5, v34, s44
	s_add_nc_u64 s[22:23], s[22:23], 32
	v_add_co_ci_u32_e64 v35, null, s45, v35, s5
	s_wait_alu 0xfffe
	s_sub_co_i32 s5, s22, 32
	s_wait_alu 0xfffe
	s_cmp_ge_i32 s5, s27
	s_wait_dscnt 0x0
	v_dual_fmac_f32 v60, v79, v40 :: v_dual_fmac_f32 v59, v78, v74
	v_fmac_f32_e32 v61, v78, v40
	v_fmac_f32_e32 v21, v79, v74
	ds_load_2addr_b32 v[78:79], v48 offset0:32 offset1:48
	s_wait_dscnt 0x0
	v_fmac_f32_e32 v60, v79, v41
	v_fmac_f32_e32 v61, v78, v41
	ds_load_2addr_b32 v[40:41], v48 offset0:64 offset1:80
	v_fmac_f32_e32 v59, v78, v75
	v_fmac_f32_e32 v21, v79, v75
	ds_load_2addr_b32 v[74:75], v48 offset0:128 offset1:144
	s_wait_dscnt 0x1
	v_fmac_f32_e32 v60, v41, v42
	v_fmac_f32_e32 v61, v40, v42
	;; [unrolled: 1-line block ×4, first 2 shown]
	ds_load_2addr_b32 v[40:41], v48 offset0:96 offset1:112
	s_wait_dscnt 0x0
	v_fmac_f32_e32 v61, v40, v43
	v_dual_fmac_f32 v60, v41, v43 :: v_dual_fmac_f32 v59, v40, v77
	v_fmac_f32_e32 v21, v41, v77
	ds_load_b128 v[40:43], v47 offset:2064
	v_fmac_f32_e32 v61, v74, v62
	s_wait_dscnt 0x0
	v_dual_fmac_f32 v60, v75, v62 :: v_dual_fmac_f32 v59, v74, v40
	v_fmac_f32_e32 v21, v75, v40
	ds_load_2addr_b32 v[74:75], v48 offset0:160 offset1:176
	s_wait_dscnt 0x0
	v_fmac_f32_e32 v59, v74, v41
	v_fmac_f32_e32 v21, v75, v41
	ds_load_2addr_b32 v[40:41], v48 offset0:192 offset1:208
	v_fmac_f32_e32 v61, v74, v63
	v_fmac_f32_e32 v60, v75, v63
	ds_load_2addr_b32 v[62:63], v55 offset1:16
	s_wait_dscnt 0x1
	v_fmac_f32_e32 v61, v40, v64
	v_dual_fmac_f32 v60, v41, v64 :: v_dual_fmac_f32 v59, v40, v42
	v_fmac_f32_e32 v21, v41, v42
	ds_load_2addr_b32 v[40:41], v48 offset0:224 offset1:240
	s_wait_dscnt 0x0
	v_fmac_f32_e32 v61, v40, v65
	v_dual_fmac_f32 v60, v41, v65 :: v_dual_fmac_f32 v59, v40, v43
	v_fmac_f32_e32 v21, v41, v43
	ds_load_b128 v[40:43], v47 offset:2080
	v_fmac_f32_e32 v61, v62, v66
	s_wait_dscnt 0x0
	v_dual_fmac_f32 v60, v63, v66 :: v_dual_fmac_f32 v59, v62, v40
	v_fmac_f32_e32 v21, v63, v40
	ds_load_2addr_b32 v[62:63], v55 offset0:32 offset1:48
	s_wait_dscnt 0x0
	v_fmac_f32_e32 v59, v62, v41
	v_fmac_f32_e32 v21, v63, v41
	ds_load_2addr_b32 v[40:41], v55 offset0:64 offset1:80
	v_fmac_f32_e32 v61, v62, v67
	v_fmac_f32_e32 v60, v63, v67
	ds_load_2addr_b32 v[62:63], v55 offset0:128 offset1:144
	s_wait_dscnt 0x1
	v_fmac_f32_e32 v61, v40, v68
	v_dual_fmac_f32 v60, v41, v68 :: v_dual_fmac_f32 v59, v40, v42
	v_fmac_f32_e32 v21, v41, v42
	ds_load_2addr_b32 v[40:41], v55 offset0:96 offset1:112
	s_wait_dscnt 0x0
	v_fmac_f32_e32 v61, v40, v69
	v_dual_fmac_f32 v60, v41, v69 :: v_dual_fmac_f32 v59, v40, v43
	v_fmac_f32_e32 v21, v41, v43
	ds_load_b128 v[40:43], v47 offset:2096
	v_fmac_f32_e32 v61, v62, v70
	s_wait_dscnt 0x0
	v_dual_fmac_f32 v60, v63, v70 :: v_dual_fmac_f32 v59, v62, v40
	v_fmac_f32_e32 v21, v63, v40
	ds_load_2addr_b32 v[62:63], v55 offset0:160 offset1:176
	s_wait_dscnt 0x0
	v_fmac_f32_e32 v59, v62, v41
	v_fmac_f32_e32 v21, v63, v41
	ds_load_2addr_b32 v[40:41], v55 offset0:192 offset1:208
	v_fmac_f32_e32 v61, v62, v71
	s_wait_dscnt 0x0
	s_delay_alu instid0(VALU_DEP_1) | instskip(NEXT) | instid1(VALU_DEP_1)
	v_dual_fmac_f32 v60, v63, v71 :: v_dual_fmac_f32 v61, v40, v72
	v_dual_fmac_f32 v60, v41, v72 :: v_dual_fmac_f32 v59, v40, v42
	v_fmac_f32_e32 v21, v41, v42
	ds_load_2addr_b32 v[40:41], v55 offset0:224 offset1:240
	s_wait_dscnt 0x0
	v_fmac_f32_e32 v61, v40, v73
	v_dual_fmac_f32 v60, v41, v73 :: v_dual_fmac_f32 v59, v40, v43
	v_fmac_f32_e32 v21, v41, v43
	ds_load_b128 v[40:43], v47 offset:64
	ds_load_2addr_b32 v[66:67], v56 offset1:16
	ds_load_b128 v[62:65], v47 offset:2112
	s_wait_dscnt 0x1
	v_fmac_f32_e32 v61, v66, v40
	s_wait_dscnt 0x0
	v_dual_fmac_f32 v60, v67, v40 :: v_dual_fmac_f32 v59, v66, v62
	v_fmac_f32_e32 v21, v67, v62
	ds_load_2addr_b32 v[66:67], v56 offset0:32 offset1:48
	s_wait_dscnt 0x0
	v_fmac_f32_e32 v61, v66, v41
	v_fmac_f32_e32 v60, v67, v41
	ds_load_2addr_b32 v[40:41], v56 offset0:64 offset1:80
	v_fmac_f32_e32 v59, v66, v63
	v_fmac_f32_e32 v21, v67, v63
	s_wait_dscnt 0x0
	v_fmac_f32_e32 v61, v40, v42
	s_delay_alu instid0(VALU_DEP_3) | instskip(NEXT) | instid1(VALU_DEP_3)
	v_dual_fmac_f32 v60, v41, v42 :: v_dual_fmac_f32 v59, v40, v64
	v_fmac_f32_e32 v21, v41, v64
	ds_load_2addr_b32 v[40:41], v56 offset0:96 offset1:112
	s_wait_dscnt 0x0
	v_fmac_f32_e32 v61, v40, v43
	v_dual_fmac_f32 v60, v41, v43 :: v_dual_fmac_f32 v59, v40, v65
	v_fmac_f32_e32 v21, v41, v65
	ds_load_b128 v[40:43], v47 offset:80
	ds_load_2addr_b32 v[66:67], v56 offset0:128 offset1:144
	ds_load_b128 v[62:65], v47 offset:2128
	s_wait_dscnt 0x1
	v_fmac_f32_e32 v61, v66, v40
	s_wait_dscnt 0x0
	v_dual_fmac_f32 v60, v67, v40 :: v_dual_fmac_f32 v59, v66, v62
	v_fmac_f32_e32 v21, v67, v62
	ds_load_2addr_b32 v[66:67], v56 offset0:160 offset1:176
	s_wait_dscnt 0x0
	v_fmac_f32_e32 v61, v66, v41
	v_fmac_f32_e32 v60, v67, v41
	ds_load_2addr_b32 v[40:41], v56 offset0:192 offset1:208
	v_fmac_f32_e32 v59, v66, v63
	v_fmac_f32_e32 v21, v67, v63
	s_wait_dscnt 0x0
	v_fmac_f32_e32 v61, v40, v42
	s_delay_alu instid0(VALU_DEP_3) | instskip(NEXT) | instid1(VALU_DEP_3)
	v_dual_fmac_f32 v60, v41, v42 :: v_dual_fmac_f32 v59, v40, v64
	v_fmac_f32_e32 v21, v41, v64
	ds_load_2addr_b32 v[40:41], v56 offset0:224 offset1:240
	s_wait_dscnt 0x0
	v_fmac_f32_e32 v61, v40, v43
	v_dual_fmac_f32 v60, v41, v43 :: v_dual_fmac_f32 v59, v40, v65
	v_fmac_f32_e32 v21, v41, v65
	ds_load_b128 v[40:43], v47 offset:96
	ds_load_2addr_b32 v[66:67], v57 offset1:16
	ds_load_b128 v[62:65], v47 offset:2144
	s_wait_dscnt 0x1
	v_fmac_f32_e32 v61, v66, v40
	s_wait_dscnt 0x0
	v_dual_fmac_f32 v60, v67, v40 :: v_dual_fmac_f32 v59, v66, v62
	v_fmac_f32_e32 v21, v67, v62
	ds_load_2addr_b32 v[66:67], v57 offset0:32 offset1:48
	s_wait_dscnt 0x0
	v_fmac_f32_e32 v61, v66, v41
	v_fmac_f32_e32 v60, v67, v41
	ds_load_2addr_b32 v[40:41], v57 offset0:64 offset1:80
	v_fmac_f32_e32 v59, v66, v63
	v_fmac_f32_e32 v21, v67, v63
	s_wait_dscnt 0x0
	v_fmac_f32_e32 v61, v40, v42
	s_delay_alu instid0(VALU_DEP_3) | instskip(NEXT) | instid1(VALU_DEP_3)
	v_dual_fmac_f32 v60, v41, v42 :: v_dual_fmac_f32 v59, v40, v64
	v_fmac_f32_e32 v21, v41, v64
	ds_load_2addr_b32 v[40:41], v57 offset0:96 offset1:112
	s_wait_dscnt 0x0
	v_fmac_f32_e32 v61, v40, v43
	v_dual_fmac_f32 v60, v41, v43 :: v_dual_fmac_f32 v59, v40, v65
	v_fmac_f32_e32 v21, v41, v65
	ds_load_b128 v[40:43], v47 offset:112
	ds_load_2addr_b32 v[66:67], v57 offset0:128 offset1:144
	ds_load_b128 v[62:65], v47 offset:2160
	s_wait_dscnt 0x1
	v_fmac_f32_e32 v61, v66, v40
	s_wait_dscnt 0x0
	v_dual_fmac_f32 v60, v67, v40 :: v_dual_fmac_f32 v59, v66, v62
	v_fmac_f32_e32 v21, v67, v62
	ds_load_2addr_b32 v[66:67], v57 offset0:160 offset1:176
	s_wait_dscnt 0x0
	v_fmac_f32_e32 v61, v66, v41
	v_fmac_f32_e32 v60, v67, v41
	ds_load_2addr_b32 v[40:41], v57 offset0:192 offset1:208
	v_fmac_f32_e32 v59, v66, v63
	v_fmac_f32_e32 v21, v67, v63
	s_wait_dscnt 0x0
	v_fmac_f32_e32 v61, v40, v42
	s_delay_alu instid0(VALU_DEP_3) | instskip(NEXT) | instid1(VALU_DEP_3)
	v_dual_fmac_f32 v60, v41, v42 :: v_dual_fmac_f32 v59, v40, v64
	v_fmac_f32_e32 v21, v41, v64
	ds_load_2addr_b32 v[40:41], v57 offset0:224 offset1:240
	s_wait_loadcnt_dscnt 0x0
	s_barrier_signal -1
	s_barrier_wait -1
	global_inv scope:SCOPE_SE
	v_fmac_f32_e32 v61, v40, v43
	v_dual_fmac_f32 v60, v41, v43 :: v_dual_fmac_f32 v59, v40, v65
	v_fmac_f32_e32 v21, v41, v65
	s_cbranch_scc1 .LBB16_47
.LBB16_11:                              ;   Parent Loop BB16_4 Depth=1
                                        ;     Parent Loop BB16_8 Depth=2
                                        ; =>    This Inner Loop Header: Depth=3
	s_wait_alu 0xfffe
	v_add_co_u32 v40, s5, v44, s22
	s_wait_alu 0xf1ff
	v_add_co_ci_u32_e64 v41, null, 0, s23, s5
	v_cmp_eq_u64_e64 s7, s[22:23], v[26:27]
                                        ; implicit-def: $vgpr62
	s_delay_alu instid0(VALU_DEP_2)
	v_cmp_gt_i64_e64 s5, v[40:41], v[22:23]
	v_cmp_le_i64_e64 s6, s[10:11], v[40:41]
	s_and_b32 s37, s36, s7
	v_add_co_u32 v42, s7, v34, v28
	s_or_b32 s8, vcc_lo, s5
	v_add_co_ci_u32_e64 v43, null, v35, v29, s7
	s_wait_alu 0xfffe
	s_or_b32 s7, s8, s37
	s_wait_alu 0xfffe
	s_nor_b32 s7, s6, s7
	s_wait_alu 0xfffe
	s_and_saveexec_b32 s8, s7
	s_wait_alu 0xfffe
	s_xor_b32 s7, exec_lo, s8
	s_cbranch_execz .LBB16_13
; %bb.12:                               ;   in Loop: Header=BB16_11 Depth=3
	global_load_b32 v62, v[42:43], off
.LBB16_13:                              ;   in Loop: Header=BB16_11 Depth=3
	s_wait_alu 0xfffe
	s_and_not1_saveexec_b32 s7, s7
	s_cbranch_execz .LBB16_15
; %bb.14:                               ;   in Loop: Header=BB16_11 Depth=3
	s_wait_loadcnt 0x0
	v_cndmask_b32_e64 v62, 0, 1.0, s37
.LBB16_15:                              ;   in Loop: Header=BB16_11 Depth=3
	s_wait_alu 0xfffe
	s_or_b32 exec_lo, exec_lo, s7
	v_add_co_u32 v63, s7, v40, 16
	s_wait_alu 0xf1ff
	v_add_co_ci_u32_e64 v64, null, 0, v41, s7
	v_cmp_eq_u64_e64 s8, s[22:23], v[32:33]
	s_wait_loadcnt 0x0
	ds_store_b32 v49, v62
	v_cmp_gt_i64_e64 s9, v[63:64], v[22:23]
	v_cmp_le_i64_e64 s7, s[10:11], v[63:64]
	s_and_b32 s52, s36, s8
	s_or_b32 s8, vcc_lo, s9
	s_wait_alu 0xfffe
	s_or_b32 s8, s8, s52
	s_wait_alu 0xfffe
	s_nor_b32 s8, s7, s8
	s_wait_alu 0xfffe
	s_and_saveexec_b32 s9, s8
	s_wait_alu 0xfffe
	s_xor_b32 s9, exec_lo, s9
	s_cbranch_execz .LBB16_17
; %bb.16:                               ;   in Loop: Header=BB16_11 Depth=3
	v_add_co_u32 v62, s8, v36, v28
	s_wait_alu 0xf1ff
	v_add_co_ci_u32_e64 v63, null, v37, v29, s8
	global_load_b32 v62, v[62:63], off
	s_wait_loadcnt 0x0
	ds_store_b32 v49, v62 offset:64
.LBB16_17:                              ;   in Loop: Header=BB16_11 Depth=3
	s_wait_alu 0xfffe
	s_and_not1_saveexec_b32 s8, s9
	s_cbranch_execz .LBB16_23
; %bb.18:                               ;   in Loop: Header=BB16_11 Depth=3
	s_xor_b32 s9, s52, -1
	s_wait_alu 0xfffe
	s_and_saveexec_b32 s52, s9
	s_delay_alu instid0(SALU_CYCLE_1)
	s_xor_b32 s9, exec_lo, s52
; %bb.19:                               ;   in Loop: Header=BB16_11 Depth=3
	ds_store_b32 v49, v46 offset:64
; %bb.20:                               ;   in Loop: Header=BB16_11 Depth=3
	s_wait_alu 0xfffe
	s_and_not1_saveexec_b32 s9, s9
; %bb.21:                               ;   in Loop: Header=BB16_11 Depth=3
	ds_store_b32 v49, v54 offset:64
; %bb.22:                               ;   in Loop: Header=BB16_11 Depth=3
	s_wait_alu 0xfffe
	s_or_b32 exec_lo, exec_lo, s9
.LBB16_23:                              ;   in Loop: Header=BB16_11 Depth=3
	s_wait_alu 0xfffe
	s_or_b32 exec_lo, exec_lo, s8
	v_cmp_eq_u64_e64 s8, s[22:23], v[30:31]
	v_cmp_gt_i64_e64 s9, v[40:41], v[24:25]
                                        ; implicit-def: $vgpr40
	s_and_b32 s8, s36, s8
	s_or_b32 s9, s4, s9
	s_wait_alu 0xfffe
	s_or_b32 s9, s9, s8
	s_wait_alu 0xfffe
	s_nor_b32 s6, s6, s9
	s_wait_alu 0xfffe
	s_and_saveexec_b32 s9, s6
	s_wait_alu 0xfffe
	s_xor_b32 s6, exec_lo, s9
	s_cbranch_execz .LBB16_25
; %bb.24:                               ;   in Loop: Header=BB16_11 Depth=3
	global_load_b32 v40, v[42:43], off offset:64
.LBB16_25:                              ;   in Loop: Header=BB16_11 Depth=3
	s_wait_alu 0xfffe
	s_and_not1_saveexec_b32 s6, s6
	s_cbranch_execz .LBB16_27
; %bb.26:                               ;   in Loop: Header=BB16_11 Depth=3
	s_wait_loadcnt 0x0
	v_cndmask_b32_e64 v40, 0, 1.0, s8
.LBB16_27:                              ;   in Loop: Header=BB16_11 Depth=3
	s_wait_alu 0xfffe
	s_or_b32 exec_lo, exec_lo, s6
	s_or_b32 s5, s4, s5
	s_wait_loadcnt 0x0
	ds_store_b32 v49, v40 offset:2048
	s_wait_alu 0xfffe
	s_or_b32 s5, s5, s37
	s_wait_alu 0xfffe
	s_nor_b32 s5, s7, s5
	s_wait_alu 0xfffe
	s_and_saveexec_b32 s6, s5
	s_wait_alu 0xfffe
	s_xor_b32 s6, exec_lo, s6
	s_cbranch_execz .LBB16_29
; %bb.28:                               ;   in Loop: Header=BB16_11 Depth=3
	v_add_co_u32 v40, s5, v36, v28
	s_wait_alu 0xf1ff
	v_add_co_ci_u32_e64 v41, null, v37, v29, s5
	global_load_b32 v40, v[40:41], off offset:64
	s_wait_loadcnt 0x0
	ds_store_b32 v49, v40 offset:2112
.LBB16_29:                              ;   in Loop: Header=BB16_11 Depth=3
	s_wait_alu 0xfffe
	s_and_not1_saveexec_b32 s5, s6
	s_cbranch_execz .LBB16_35
; %bb.30:                               ;   in Loop: Header=BB16_11 Depth=3
	s_xor_b32 s6, s37, -1
	s_wait_alu 0xfffe
	s_and_saveexec_b32 s7, s6
	s_wait_alu 0xfffe
	s_xor_b32 s6, exec_lo, s7
; %bb.31:                               ;   in Loop: Header=BB16_11 Depth=3
	ds_store_b32 v49, v46 offset:2112
; %bb.32:                               ;   in Loop: Header=BB16_11 Depth=3
	s_wait_alu 0xfffe
	s_and_not1_saveexec_b32 s6, s6
; %bb.33:                               ;   in Loop: Header=BB16_11 Depth=3
	ds_store_b32 v49, v54 offset:2112
; %bb.34:                               ;   in Loop: Header=BB16_11 Depth=3
	s_wait_alu 0xfffe
	s_or_b32 exec_lo, exec_lo, s6
.LBB16_35:                              ;   in Loop: Header=BB16_11 Depth=3
	s_wait_alu 0xfffe
	s_or_b32 exec_lo, exec_lo, s5
	v_add_co_u32 v40, s5, v45, s22
	s_wait_alu 0xf1ff
	v_add_co_ci_u32_e64 v41, null, 0, s23, s5
	v_add_co_u32 v42, s6, v38, v4
	s_wait_alu 0xf1ff
	v_add_co_ci_u32_e64 v43, null, v39, v5, s6
	s_delay_alu instid0(VALU_DEP_3)
	v_cmp_le_i64_e64 s5, s[10:11], v[40:41]
	v_mov_b32_e32 v62, 0
	s_nor_b32 s7, s5, s0
	s_wait_alu 0xfffe
	s_and_saveexec_b32 s6, s7
	s_cbranch_execz .LBB16_37
; %bb.36:                               ;   in Loop: Header=BB16_11 Depth=3
	global_load_b32 v62, v[42:43], off offset:-64
.LBB16_37:                              ;   in Loop: Header=BB16_11 Depth=3
	s_wait_alu 0xfffe
	s_or_b32 exec_lo, exec_lo, s6
	s_nor_b32 s5, s5, s1
	s_wait_loadcnt 0x0
	ds_store_b32 v50, v62
	s_wait_alu 0xfffe
	s_and_saveexec_b32 s6, s5
	s_wait_alu 0xfffe
	s_xor_b32 s5, exec_lo, s6
	s_cbranch_execz .LBB16_39
; %bb.38:                               ;   in Loop: Header=BB16_11 Depth=3
	global_load_b32 v42, v[42:43], off
	s_wait_loadcnt 0x0
	ds_store_b32 v50, v42 offset:64
.LBB16_39:                              ;   in Loop: Header=BB16_11 Depth=3
	s_wait_alu 0xfffe
	s_and_not1_saveexec_b32 s5, s5
; %bb.40:                               ;   in Loop: Header=BB16_11 Depth=3
	ds_store_b32 v50, v46 offset:64
; %bb.41:                               ;   in Loop: Header=BB16_11 Depth=3
	s_wait_alu 0xfffe
	s_or_b32 exec_lo, exec_lo, s5
	v_cmp_le_i64_e64 s5, s[48:49], v[40:41]
	v_add_co_u32 v40, s6, v38, v0
	s_wait_alu 0xf1ff
	v_add_co_ci_u32_e64 v41, null, v39, v1, s6
	v_mov_b32_e32 v42, 0
	s_delay_alu instid0(VALU_DEP_4)
	s_nor_b32 s7, s5, s0
	s_wait_alu 0xfffe
	s_and_saveexec_b32 s6, s7
	s_cbranch_execz .LBB16_43
; %bb.42:                               ;   in Loop: Header=BB16_11 Depth=3
	global_load_b32 v42, v[40:41], off offset:-64
.LBB16_43:                              ;   in Loop: Header=BB16_11 Depth=3
	s_wait_alu 0xfffe
	s_or_b32 exec_lo, exec_lo, s6
	s_nor_b32 s5, s5, s1
	s_wait_loadcnt 0x0
	ds_store_b32 v50, v42 offset:2048
	s_wait_alu 0xfffe
	s_and_saveexec_b32 s6, s5
	s_wait_alu 0xfffe
	s_xor_b32 s5, exec_lo, s6
	s_cbranch_execz .LBB16_45
; %bb.44:                               ;   in Loop: Header=BB16_11 Depth=3
	global_load_b32 v40, v[40:41], off
	s_wait_loadcnt 0x0
	ds_store_b32 v50, v40 offset:2112
.LBB16_45:                              ;   in Loop: Header=BB16_11 Depth=3
	s_wait_alu 0xfffe
	s_and_not1_saveexec_b32 s5, s5
	s_cbranch_execz .LBB16_10
; %bb.46:                               ;   in Loop: Header=BB16_11 Depth=3
	ds_store_b32 v50, v46 offset:2112
	s_branch .LBB16_10
.LBB16_47:                              ;   in Loop: Header=BB16_8 Depth=2
	v_mul_lo_u32 v25, s29, v22
	s_delay_alu instid0(VALU_DEP_2) | instskip(SKIP_2) | instid1(VALU_DEP_2)
	v_mul_lo_u32 v26, s28, v23
	v_mad_co_u64_u32 v[23:24], null, s28, v22, 0
	v_cmp_gt_i32_e32 vcc_lo, s38, v22
	v_add3_u32 v24, v24, v26, v25
	s_delay_alu instid0(VALU_DEP_1) | instskip(SKIP_1) | instid1(VALU_DEP_1)
	v_lshlrev_b64_e32 v[23:24], 2, v[23:24]
	s_wait_alu 0xfffe
	v_add_co_u32 v23, s4, s20, v23
	s_wait_alu 0xf1ff
	s_delay_alu instid0(VALU_DEP_2)
	v_add_co_ci_u32_e64 v24, null, s21, v24, s4
	s_and_b32 s4, s2, vcc_lo
	s_wait_alu 0xfffe
	s_and_saveexec_b32 s5, s4
	s_cbranch_execz .LBB16_49
; %bb.48:                               ;   in Loop: Header=BB16_8 Depth=2
	v_add_co_u32 v25, s4, v23, v6
	s_wait_alu 0xf1ff
	v_add_co_ci_u32_e64 v26, null, v24, v7, s4
	global_load_b32 v27, v[25:26], off
	s_wait_loadcnt 0x0
	v_fmac_f32_e32 v27, v58, v61
	global_store_b32 v[25:26], v27, off
.LBB16_49:                              ;   in Loop: Header=BB16_8 Depth=2
	s_wait_alu 0xfffe
	s_or_b32 exec_lo, exec_lo, s5
	s_and_b32 s5, s3, vcc_lo
	s_wait_alu 0xfffe
	s_and_saveexec_b32 s4, s5
	s_cbranch_execz .LBB16_51
; %bb.50:                               ;   in Loop: Header=BB16_8 Depth=2
	v_add_co_u32 v23, vcc_lo, v23, v12
	s_wait_alu 0xfffd
	v_add_co_ci_u32_e64 v24, null, v24, v13, vcc_lo
	global_load_b32 v25, v[23:24], off
	s_wait_loadcnt 0x0
	v_fmac_f32_e32 v25, v58, v60
	global_store_b32 v[23:24], v25, off
.LBB16_51:                              ;   in Loop: Header=BB16_8 Depth=2
	s_wait_alu 0xfffe
	s_or_b32 exec_lo, exec_lo, s4
	v_add_nc_u32_e32 v24, 16, v22
	s_delay_alu instid0(VALU_DEP_1) | instskip(SKIP_3) | instid1(VALU_DEP_4)
	v_ashrrev_i32_e32 v25, 31, v24
	v_mul_lo_u32 v26, s29, v24
	v_mad_co_u64_u32 v[22:23], null, s28, v24, 0
	v_cmp_gt_i32_e32 vcc_lo, s38, v24
	v_mul_lo_u32 v25, s28, v25
	s_delay_alu instid0(VALU_DEP_1) | instskip(NEXT) | instid1(VALU_DEP_1)
	v_add3_u32 v23, v23, v25, v26
	v_lshlrev_b64_e32 v[22:23], 2, v[22:23]
	s_delay_alu instid0(VALU_DEP_1) | instskip(SKIP_1) | instid1(VALU_DEP_2)
	v_add_co_u32 v22, s4, s20, v22
	s_wait_alu 0xf1ff
	v_add_co_ci_u32_e64 v23, null, s21, v23, s4
	s_and_b32 s4, s2, vcc_lo
	s_wait_alu 0xfffe
	s_and_saveexec_b32 s5, s4
	s_cbranch_execz .LBB16_53
; %bb.52:                               ;   in Loop: Header=BB16_8 Depth=2
	v_add_co_u32 v24, s4, v22, v6
	s_wait_alu 0xf1ff
	v_add_co_ci_u32_e64 v25, null, v23, v7, s4
	global_load_b32 v26, v[24:25], off
	s_wait_loadcnt 0x0
	v_fmac_f32_e32 v26, v58, v59
	global_store_b32 v[24:25], v26, off
.LBB16_53:                              ;   in Loop: Header=BB16_8 Depth=2
	s_wait_alu 0xfffe
	s_or_b32 exec_lo, exec_lo, s5
	s_and_b32 s5, s3, vcc_lo
	s_wait_alu 0xfffe
	s_and_saveexec_b32 s4, s5
	s_cbranch_execz .LBB16_7
; %bb.54:                               ;   in Loop: Header=BB16_8 Depth=2
	v_add_co_u32 v22, vcc_lo, v22, v12
	s_wait_alu 0xfffd
	v_add_co_ci_u32_e64 v23, null, v23, v13, vcc_lo
	global_load_b32 v24, v[22:23], off
	s_wait_loadcnt 0x0
	v_fmac_f32_e32 v24, v58, v21
	global_store_b32 v[22:23], v24, off
	s_branch .LBB16_7
.LBB16_55:
	s_endpgm
	.section	.rodata,"a",@progbits
	.p2align	6, 0x0
	.amdhsa_kernel _ZL30rocblas_trmm_outofplace_kernelIfLi32ELi2ELb0ELb0ELb1ELb0EPKfS0_fEv17rocblas_diagonal_iiT6_lPT7_lllS5_lllPT8_llli
		.amdhsa_group_segment_fixed_size 8192
		.amdhsa_private_segment_fixed_size 0
		.amdhsa_kernarg_size 392
		.amdhsa_user_sgpr_count 2
		.amdhsa_user_sgpr_dispatch_ptr 0
		.amdhsa_user_sgpr_queue_ptr 0
		.amdhsa_user_sgpr_kernarg_segment_ptr 1
		.amdhsa_user_sgpr_dispatch_id 0
		.amdhsa_user_sgpr_private_segment_size 0
		.amdhsa_wavefront_size32 1
		.amdhsa_uses_dynamic_stack 0
		.amdhsa_enable_private_segment 0
		.amdhsa_system_sgpr_workgroup_id_x 1
		.amdhsa_system_sgpr_workgroup_id_y 1
		.amdhsa_system_sgpr_workgroup_id_z 1
		.amdhsa_system_sgpr_workgroup_info 0
		.amdhsa_system_vgpr_workitem_id 1
		.amdhsa_next_free_vgpr 80
		.amdhsa_next_free_sgpr 53
		.amdhsa_reserve_vcc 1
		.amdhsa_float_round_mode_32 0
		.amdhsa_float_round_mode_16_64 0
		.amdhsa_float_denorm_mode_32 3
		.amdhsa_float_denorm_mode_16_64 3
		.amdhsa_fp16_overflow 0
		.amdhsa_workgroup_processor_mode 1
		.amdhsa_memory_ordered 1
		.amdhsa_forward_progress 1
		.amdhsa_inst_pref_size 29
		.amdhsa_round_robin_scheduling 0
		.amdhsa_exception_fp_ieee_invalid_op 0
		.amdhsa_exception_fp_denorm_src 0
		.amdhsa_exception_fp_ieee_div_zero 0
		.amdhsa_exception_fp_ieee_overflow 0
		.amdhsa_exception_fp_ieee_underflow 0
		.amdhsa_exception_fp_ieee_inexact 0
		.amdhsa_exception_int_div_zero 0
	.end_amdhsa_kernel
	.section	.text._ZL30rocblas_trmm_outofplace_kernelIfLi32ELi2ELb0ELb0ELb1ELb0EPKfS0_fEv17rocblas_diagonal_iiT6_lPT7_lllS5_lllPT8_llli,"axG",@progbits,_ZL30rocblas_trmm_outofplace_kernelIfLi32ELi2ELb0ELb0ELb1ELb0EPKfS0_fEv17rocblas_diagonal_iiT6_lPT7_lllS5_lllPT8_llli,comdat
.Lfunc_end16:
	.size	_ZL30rocblas_trmm_outofplace_kernelIfLi32ELi2ELb0ELb0ELb1ELb0EPKfS0_fEv17rocblas_diagonal_iiT6_lPT7_lllS5_lllPT8_llli, .Lfunc_end16-_ZL30rocblas_trmm_outofplace_kernelIfLi32ELi2ELb0ELb0ELb1ELb0EPKfS0_fEv17rocblas_diagonal_iiT6_lPT7_lllS5_lllPT8_llli
                                        ; -- End function
	.set _ZL30rocblas_trmm_outofplace_kernelIfLi32ELi2ELb0ELb0ELb1ELb0EPKfS0_fEv17rocblas_diagonal_iiT6_lPT7_lllS5_lllPT8_llli.num_vgpr, 80
	.set _ZL30rocblas_trmm_outofplace_kernelIfLi32ELi2ELb0ELb0ELb1ELb0EPKfS0_fEv17rocblas_diagonal_iiT6_lPT7_lllS5_lllPT8_llli.num_agpr, 0
	.set _ZL30rocblas_trmm_outofplace_kernelIfLi32ELi2ELb0ELb0ELb1ELb0EPKfS0_fEv17rocblas_diagonal_iiT6_lPT7_lllS5_lllPT8_llli.numbered_sgpr, 53
	.set _ZL30rocblas_trmm_outofplace_kernelIfLi32ELi2ELb0ELb0ELb1ELb0EPKfS0_fEv17rocblas_diagonal_iiT6_lPT7_lllS5_lllPT8_llli.num_named_barrier, 0
	.set _ZL30rocblas_trmm_outofplace_kernelIfLi32ELi2ELb0ELb0ELb1ELb0EPKfS0_fEv17rocblas_diagonal_iiT6_lPT7_lllS5_lllPT8_llli.private_seg_size, 0
	.set _ZL30rocblas_trmm_outofplace_kernelIfLi32ELi2ELb0ELb0ELb1ELb0EPKfS0_fEv17rocblas_diagonal_iiT6_lPT7_lllS5_lllPT8_llli.uses_vcc, 1
	.set _ZL30rocblas_trmm_outofplace_kernelIfLi32ELi2ELb0ELb0ELb1ELb0EPKfS0_fEv17rocblas_diagonal_iiT6_lPT7_lllS5_lllPT8_llli.uses_flat_scratch, 0
	.set _ZL30rocblas_trmm_outofplace_kernelIfLi32ELi2ELb0ELb0ELb1ELb0EPKfS0_fEv17rocblas_diagonal_iiT6_lPT7_lllS5_lllPT8_llli.has_dyn_sized_stack, 0
	.set _ZL30rocblas_trmm_outofplace_kernelIfLi32ELi2ELb0ELb0ELb1ELb0EPKfS0_fEv17rocblas_diagonal_iiT6_lPT7_lllS5_lllPT8_llli.has_recursion, 0
	.set _ZL30rocblas_trmm_outofplace_kernelIfLi32ELi2ELb0ELb0ELb1ELb0EPKfS0_fEv17rocblas_diagonal_iiT6_lPT7_lllS5_lllPT8_llli.has_indirect_call, 0
	.section	.AMDGPU.csdata,"",@progbits
; Kernel info:
; codeLenInByte = 3604
; TotalNumSgprs: 55
; NumVgprs: 80
; ScratchSize: 0
; MemoryBound: 0
; FloatMode: 240
; IeeeMode: 1
; LDSByteSize: 8192 bytes/workgroup (compile time only)
; SGPRBlocks: 0
; VGPRBlocks: 9
; NumSGPRsForWavesPerEU: 55
; NumVGPRsForWavesPerEU: 80
; Occupancy: 16
; WaveLimiterHint : 0
; COMPUTE_PGM_RSRC2:SCRATCH_EN: 0
; COMPUTE_PGM_RSRC2:USER_SGPR: 2
; COMPUTE_PGM_RSRC2:TRAP_HANDLER: 0
; COMPUTE_PGM_RSRC2:TGID_X_EN: 1
; COMPUTE_PGM_RSRC2:TGID_Y_EN: 1
; COMPUTE_PGM_RSRC2:TGID_Z_EN: 1
; COMPUTE_PGM_RSRC2:TIDIG_COMP_CNT: 1
	.section	.text._ZL30rocblas_trmm_outofplace_kernelIfLi32ELi2ELb0ELb0ELb1ELb0EfKffEv17rocblas_diagonal_iiT6_lPT7_lllS4_lllPT8_llli,"axG",@progbits,_ZL30rocblas_trmm_outofplace_kernelIfLi32ELi2ELb0ELb0ELb1ELb0EfKffEv17rocblas_diagonal_iiT6_lPT7_lllS4_lllPT8_llli,comdat
	.globl	_ZL30rocblas_trmm_outofplace_kernelIfLi32ELi2ELb0ELb0ELb1ELb0EfKffEv17rocblas_diagonal_iiT6_lPT7_lllS4_lllPT8_llli ; -- Begin function _ZL30rocblas_trmm_outofplace_kernelIfLi32ELi2ELb0ELb0ELb1ELb0EfKffEv17rocblas_diagonal_iiT6_lPT7_lllS4_lllPT8_llli
	.p2align	8
	.type	_ZL30rocblas_trmm_outofplace_kernelIfLi32ELi2ELb0ELb0ELb1ELb0EfKffEv17rocblas_diagonal_iiT6_lPT7_lllS4_lllPT8_llli,@function
_ZL30rocblas_trmm_outofplace_kernelIfLi32ELi2ELb0ELb0ELb1ELb0EfKffEv17rocblas_diagonal_iiT6_lPT7_lllS4_lllPT8_llli: ; @_ZL30rocblas_trmm_outofplace_kernelIfLi32ELi2ELb0ELb0ELb1ELb0EfKffEv17rocblas_diagonal_iiT6_lPT7_lllS4_lllPT8_llli
; %bb.0:
	s_load_b32 s33, s[0:1], 0x78
	s_lshr_b32 s34, ttmp7, 16
	s_wait_kmcnt 0x0
	s_cmp_ge_u32 s34, s33
	s_cbranch_scc1 .LBB17_54
; %bb.1:
	s_load_b128 s[28:31], s[0:1], 0x0
	s_mov_b32 s35, 0
	s_wait_kmcnt 0x0
	s_cmp_eq_f32 s31, 0
	s_cbranch_scc1 .LBB17_54
; %bb.2:
	s_clause 0x1
	s_load_b512 s[4:19], s[0:1], 0x18
	s_load_b256 s[20:27], s[0:1], 0x58
	s_add_co_i32 s2, s30, -1
	v_and_b32_e32 v44, 0x3ff, v0
	s_ashr_i32 s3, s2, 31
	s_and_b32 s44, ttmp7, 0xffff
	s_lshr_b32 s3, s3, 27
	v_bfe_u32 v45, v0, 10, 10
	s_add_co_i32 s2, s2, s3
	v_lshl_add_u32 v6, ttmp9, 5, v44
	s_ashr_i32 s45, s2, 5
	s_add_nc_u64 s[42:43], s[0:1], 0x80
	s_cmp_le_i32 s44, s45
	v_lshl_add_u32 v11, v45, 2, 64
	v_ashrrev_i32_e32 v7, 31, v6
	s_cselect_b32 s46, -1, 0
	s_cmp_eq_u32 s28, 0x84
	v_sub_co_u32 v0, vcc_lo, s29, v6
	s_cselect_b32 s28, -1, 0
	s_wait_kmcnt 0x0
	v_mad_co_u64_u32 v[4:5], null, s16, v45, 0
	s_ashr_i32 s2, s29, 31
	s_lshl_b64 s[0:1], s[22:23], 2
	v_sub_co_ci_u32_e64 v1, null, s2, v7, vcc_lo
	s_wait_alu 0xfffe
	s_add_nc_u64 s[20:21], s[20:21], s[0:1]
	s_lshl_b64 s[6:7], s[6:7], 2
	v_dual_mov_b32 v46, 0 :: v_dual_lshlrev_b32 v47, 7, v45
	v_cmp_gt_i64_e64 s0, 1, v[0:1]
	v_cmp_gt_i64_e64 s1, 17, v[0:1]
	v_mov_b32_e32 v0, v5
	s_add_nc_u64 s[4:5], s[4:5], s[6:7]
	v_add_nc_u32_e32 v12, 16, v6
	v_cmp_gt_i32_e64 s2, s29, v6
	v_lshlrev_b64_e32 v[6:7], 2, v[6:7]
	v_mad_co_u64_u32 v[2:3], null, s17, v45, v[0:1]
	v_mad_co_u64_u32 v[0:1], null, s16, v11, 0
	s_lshl_b64 s[6:7], s[14:15], 2
	v_ashrrev_i32_e32 v13, 31, v12
	s_add_nc_u64 s[6:7], s[12:13], s[6:7]
	v_cmp_gt_i32_e64 s3, s29, v12
	v_dual_mov_b32 v5, v2 :: v_dual_lshlrev_b32 v10, 2, v44
	v_mad_co_u64_u32 v[8:9], null, s8, v44, 0
	v_sub_co_u32 v51, s22, 0, v44
	s_delay_alu instid0(VALU_DEP_3) | instskip(SKIP_3) | instid1(VALU_DEP_4)
	v_add_nc_u32_e32 v14, 64, v10
	v_or_b32_e32 v48, 0x1000, v10
	v_dual_mov_b32 v54, 1.0 :: v_dual_add_nc_u32 v49, v47, v10
	v_mad_co_u64_u32 v[9:10], null, s9, v44, v[9:10]
	v_mad_co_u64_u32 v[2:3], null, s8, v14, s[4:5]
	v_lshlrev_b64_e32 v[4:5], 2, v[4:5]
	v_lshlrev_b64_e32 v[12:13], 2, v[12:13]
	v_sub_co_ci_u32_e64 v52, null, 0, 0, s22
	v_lshl_add_u32 v53, s44, 5, v45
	v_add_nc_u32_e32 v55, 0x400, v48
	v_mad_co_u64_u32 v[10:11], null, s17, v11, v[1:2]
	v_mad_co_u64_u32 v[14:15], null, s9, v14, v[3:4]
	v_add_co_u32 v1, vcc_lo, s6, v6
	v_lshlrev_b64_e32 v[15:16], 2, v[8:9]
	s_wait_alu 0xfffd
	v_add_co_ci_u32_e64 v3, null, s7, v7, vcc_lo
	s_delay_alu instid0(VALU_DEP_3) | instskip(SKIP_2) | instid1(VALU_DEP_3)
	v_add_co_u32 v8, vcc_lo, v1, 64
	v_dual_mov_b32 v1, v10 :: v_dual_add_nc_u32 v50, v48, v47
	s_wait_alu 0xfffd
	v_add_co_ci_u32_e64 v9, null, 0, v3, vcc_lo
	v_add_co_u32 v10, vcc_lo, s4, v15
	v_mov_b32_e32 v3, v14
	s_wait_alu 0xfffd
	v_add_co_ci_u32_e64 v11, null, s5, v16, vcc_lo
	v_add_nc_u32_e32 v56, 0x800, v48
	v_add_nc_u32_e32 v57, 0xc00, v48
	s_ashr_i32 s37, s30, 31
	s_mov_b32 s36, s30
	s_lshl_b64 s[38:39], s[8:9], 7
	s_lshl_b64 s[40:41], s[16:17], 7
	s_add_nc_u64 s[12:13], s[36:37], -16
	s_lshl_b64 s[14:15], s[18:19], 2
	s_lshl_b64 s[10:11], s[10:11], 2
	s_branch .LBB17_4
.LBB17_3:                               ;   in Loop: Header=BB17_4 Depth=1
	s_add_co_i32 s34, s34, 0x10000
	s_wait_alu 0xfffe
	s_cmp_ge_u32 s34, s33
	s_cbranch_scc1 .LBB17_54
.LBB17_4:                               ; =>This Loop Header: Depth=1
                                        ;     Child Loop BB17_7 Depth 2
                                        ;       Child Loop BB17_10 Depth 3
	s_and_not1_b32 vcc_lo, exec_lo, s46
	s_wait_alu 0xfffe
	s_cbranch_vccnz .LBB17_3
; %bb.5:                                ;   in Loop: Header=BB17_4 Depth=1
	s_load_b32 s22, s[42:43], 0x4
	v_mad_co_u64_u32 v[14:15], null, s14, s34, v[8:9]
	v_mad_co_u64_u32 v[16:17], null, s10, s34, v[2:3]
	;; [unrolled: 1-line block ×3, first 2 shown]
	s_mul_i32 s6, s11, s34
	s_mul_u64 s[4:5], s[26:27], s[34:35]
	s_mov_b32 s29, s44
	s_wait_alu 0xfffe
	s_lshl_b64 s[4:5], s[4:5], 2
	v_mad_co_u64_u32 v[20:21], null, s15, s34, v[15:16]
	v_add_nc_u32_e32 v17, s6, v17
	v_add_nc_u32_e32 v19, s6, v19
	s_wait_alu 0xfffe
	s_add_nc_u64 s[16:17], s[20:21], s[4:5]
	s_delay_alu instid0(VALU_DEP_3)
	v_dual_mov_b32 v15, v20 :: v_dual_mov_b32 v20, v53
	s_wait_kmcnt 0x0
	s_lshl_b32 s23, s22, 5
	s_branch .LBB17_7
.LBB17_6:                               ;   in Loop: Header=BB17_7 Depth=2
	s_wait_alu 0xfffe
	s_or_b32 exec_lo, exec_lo, s4
	v_add_nc_u32_e32 v20, s23, v20
	s_add_co_i32 s29, s22, s29
	s_wait_alu 0xfffe
	s_cmp_gt_i32 s29, s45
	s_cbranch_scc1 .LBB17_3
.LBB17_7:                               ;   Parent Loop BB17_4 Depth=1
                                        ; =>  This Loop Header: Depth=2
                                        ;       Child Loop BB17_10 Depth 3
	s_lshl_b32 s47, s29, 5
	v_dual_mov_b32 v60, 0 :: v_dual_mov_b32 v21, 0
	s_wait_alu 0xfffe
	v_dual_mov_b32 v59, 0 :: v_dual_add_nc_u32 v22, s47, v45
	v_mov_b32_e32 v58, 0
	s_cmp_lt_i32 s29, 0
	s_delay_alu instid0(VALU_DEP_2)
	v_ashrrev_i32_e32 v23, 31, v22
	s_cbranch_scc1 .LBB17_46
; %bb.8:                                ;   in Loop: Header=BB17_7 Depth=2
	v_ashrrev_i32_e32 v21, 31, v20
	v_add_co_u32 v24, vcc_lo, v22, 16
	s_wait_alu 0xfffd
	v_add_co_ci_u32_e64 v25, null, 0, v23, vcc_lo
	v_add_co_u32 v26, vcc_lo, v51, v20
	s_wait_alu 0xfffd
	v_add_co_ci_u32_e64 v27, null, v52, v21, vcc_lo
	v_lshlrev_b64_e32 v[28:29], 2, v[20:21]
	s_delay_alu instid0(VALU_DEP_3) | instskip(SKIP_1) | instid1(VALU_DEP_3)
	v_add_co_u32 v30, s5, v26, 16
	s_wait_alu 0xf1ff
	v_add_co_ci_u32_e64 v31, null, 0, v27, s5
	v_add_co_u32 v32, s5, v26, -16
	v_cmp_le_i64_e64 s4, s[36:37], v[24:25]
	v_mov_b32_e32 v35, v19
	v_mov_b32_e32 v37, v17
	v_dual_mov_b32 v39, v15 :: v_dual_mov_b32 v58, 0
	s_wait_alu 0xf1ff
	v_add_co_ci_u32_e64 v33, null, -1, v27, s5
	v_dual_mov_b32 v21, 0 :: v_dual_mov_b32 v34, v18
	v_mov_b32_e32 v36, v16
	v_dual_mov_b32 v38, v14 :: v_dual_mov_b32 v59, 0
	v_mov_b32_e32 v60, 0
	s_mov_b64 s[18:19], 0
	v_cmp_le_i32_e32 vcc_lo, s30, v22
	s_branch .LBB17_10
.LBB17_9:                               ;   in Loop: Header=BB17_10 Depth=3
	s_wait_alu 0xfffe
	s_or_b32 exec_lo, exec_lo, s5
	s_wait_dscnt 0x0
	s_barrier_signal -1
	s_barrier_wait -1
	global_inv scope:SCOPE_SE
	ds_load_b128 v[40:43], v47
	ds_load_b128 v[61:64], v47 offset:16
	ds_load_b128 v[65:68], v47 offset:32
	;; [unrolled: 1-line block ×3, first 2 shown]
	ds_load_2addr_b32 v[77:78], v48 offset1:16
	ds_load_b128 v[73:76], v47 offset:2048
	v_add_co_u32 v38, s5, v38, s40
	s_wait_alu 0xf1ff
	v_add_co_ci_u32_e64 v39, null, s41, v39, s5
	v_add_co_u32 v36, s5, v36, s38
	s_wait_alu 0xf1ff
	v_add_co_ci_u32_e64 v37, null, s39, v37, s5
	v_add_co_u32 v34, s5, v34, s38
	s_add_nc_u64 s[18:19], s[18:19], 32
	v_add_co_ci_u32_e64 v35, null, s39, v35, s5
	s_wait_alu 0xfffe
	s_sub_co_i32 s5, s18, 32
	s_wait_alu 0xfffe
	s_cmp_ge_i32 s5, s47
	s_wait_dscnt 0x0
	v_dual_fmac_f32 v60, v77, v40 :: v_dual_fmac_f32 v21, v78, v73
	v_dual_fmac_f32 v59, v78, v40 :: v_dual_fmac_f32 v58, v77, v73
	ds_load_2addr_b32 v[77:78], v48 offset0:32 offset1:48
	s_wait_dscnt 0x0
	v_dual_fmac_f32 v60, v77, v41 :: v_dual_fmac_f32 v21, v78, v74
	v_dual_fmac_f32 v59, v78, v41 :: v_dual_fmac_f32 v58, v77, v74
	ds_load_2addr_b32 v[40:41], v48 offset0:64 offset1:80
	ds_load_2addr_b32 v[73:74], v48 offset0:128 offset1:144
	s_wait_dscnt 0x1
	v_dual_fmac_f32 v60, v40, v42 :: v_dual_fmac_f32 v21, v41, v75
	v_dual_fmac_f32 v59, v41, v42 :: v_dual_fmac_f32 v58, v40, v75
	ds_load_2addr_b32 v[40:41], v48 offset0:96 offset1:112
	s_wait_dscnt 0x0
	v_dual_fmac_f32 v60, v40, v43 :: v_dual_fmac_f32 v21, v41, v76
	v_dual_fmac_f32 v59, v41, v43 :: v_dual_fmac_f32 v58, v40, v76
	ds_load_b128 v[40:43], v47 offset:2064
	v_fmac_f32_e32 v60, v73, v61
	s_wait_dscnt 0x0
	v_dual_fmac_f32 v59, v74, v61 :: v_dual_fmac_f32 v58, v73, v40
	v_fmac_f32_e32 v21, v74, v40
	ds_load_2addr_b32 v[73:74], v48 offset0:160 offset1:176
	s_wait_dscnt 0x0
	v_dual_fmac_f32 v60, v73, v62 :: v_dual_fmac_f32 v21, v74, v41
	v_dual_fmac_f32 v59, v74, v62 :: v_dual_fmac_f32 v58, v73, v41
	ds_load_2addr_b32 v[40:41], v48 offset0:192 offset1:208
	ds_load_2addr_b32 v[61:62], v55 offset1:16
	s_wait_dscnt 0x1
	v_dual_fmac_f32 v60, v40, v63 :: v_dual_fmac_f32 v21, v41, v42
	v_dual_fmac_f32 v59, v41, v63 :: v_dual_fmac_f32 v58, v40, v42
	ds_load_2addr_b32 v[40:41], v48 offset0:224 offset1:240
	s_wait_dscnt 0x0
	v_dual_fmac_f32 v60, v40, v64 :: v_dual_fmac_f32 v21, v41, v43
	v_dual_fmac_f32 v59, v41, v64 :: v_dual_fmac_f32 v58, v40, v43
	ds_load_b128 v[40:43], v47 offset:2080
	v_fmac_f32_e32 v60, v61, v65
	s_wait_dscnt 0x0
	v_dual_fmac_f32 v59, v62, v65 :: v_dual_fmac_f32 v58, v61, v40
	v_fmac_f32_e32 v21, v62, v40
	ds_load_2addr_b32 v[61:62], v55 offset0:32 offset1:48
	s_wait_dscnt 0x0
	v_dual_fmac_f32 v60, v61, v66 :: v_dual_fmac_f32 v21, v62, v41
	v_dual_fmac_f32 v59, v62, v66 :: v_dual_fmac_f32 v58, v61, v41
	ds_load_2addr_b32 v[40:41], v55 offset0:64 offset1:80
	ds_load_2addr_b32 v[61:62], v55 offset0:128 offset1:144
	s_wait_dscnt 0x1
	v_dual_fmac_f32 v60, v40, v67 :: v_dual_fmac_f32 v21, v41, v42
	v_dual_fmac_f32 v59, v41, v67 :: v_dual_fmac_f32 v58, v40, v42
	ds_load_2addr_b32 v[40:41], v55 offset0:96 offset1:112
	s_wait_dscnt 0x0
	v_dual_fmac_f32 v60, v40, v68 :: v_dual_fmac_f32 v21, v41, v43
	v_dual_fmac_f32 v59, v41, v68 :: v_dual_fmac_f32 v58, v40, v43
	ds_load_b128 v[40:43], v47 offset:2096
	v_fmac_f32_e32 v60, v61, v69
	s_wait_dscnt 0x0
	v_dual_fmac_f32 v59, v62, v69 :: v_dual_fmac_f32 v58, v61, v40
	v_fmac_f32_e32 v21, v62, v40
	ds_load_2addr_b32 v[61:62], v55 offset0:160 offset1:176
	s_wait_dscnt 0x0
	v_dual_fmac_f32 v60, v61, v70 :: v_dual_fmac_f32 v21, v62, v41
	v_dual_fmac_f32 v59, v62, v70 :: v_dual_fmac_f32 v58, v61, v41
	ds_load_2addr_b32 v[40:41], v55 offset0:192 offset1:208
	s_wait_dscnt 0x0
	v_dual_fmac_f32 v60, v40, v71 :: v_dual_fmac_f32 v21, v41, v42
	v_dual_fmac_f32 v59, v41, v71 :: v_dual_fmac_f32 v58, v40, v42
	;; [unrolled: 4-line block ×3, first 2 shown]
	ds_load_b128 v[40:43], v47 offset:64
	ds_load_2addr_b32 v[65:66], v56 offset1:16
	ds_load_b128 v[61:64], v47 offset:2112
	s_wait_dscnt 0x0
	v_dual_fmac_f32 v60, v65, v40 :: v_dual_fmac_f32 v21, v66, v61
	v_dual_fmac_f32 v59, v66, v40 :: v_dual_fmac_f32 v58, v65, v61
	ds_load_2addr_b32 v[65:66], v56 offset0:32 offset1:48
	s_wait_dscnt 0x0
	v_dual_fmac_f32 v60, v65, v41 :: v_dual_fmac_f32 v21, v66, v62
	v_dual_fmac_f32 v59, v66, v41 :: v_dual_fmac_f32 v58, v65, v62
	ds_load_2addr_b32 v[40:41], v56 offset0:64 offset1:80
	;; [unrolled: 4-line block ×3, first 2 shown]
	s_wait_dscnt 0x0
	v_dual_fmac_f32 v60, v40, v43 :: v_dual_fmac_f32 v21, v41, v64
	v_dual_fmac_f32 v59, v41, v43 :: v_dual_fmac_f32 v58, v40, v64
	ds_load_b128 v[40:43], v47 offset:80
	ds_load_2addr_b32 v[65:66], v56 offset0:128 offset1:144
	ds_load_b128 v[61:64], v47 offset:2128
	s_wait_dscnt 0x0
	v_dual_fmac_f32 v60, v65, v40 :: v_dual_fmac_f32 v21, v66, v61
	v_dual_fmac_f32 v59, v66, v40 :: v_dual_fmac_f32 v58, v65, v61
	ds_load_2addr_b32 v[65:66], v56 offset0:160 offset1:176
	s_wait_dscnt 0x0
	v_dual_fmac_f32 v60, v65, v41 :: v_dual_fmac_f32 v21, v66, v62
	v_dual_fmac_f32 v59, v66, v41 :: v_dual_fmac_f32 v58, v65, v62
	ds_load_2addr_b32 v[40:41], v56 offset0:192 offset1:208
	;; [unrolled: 4-line block ×3, first 2 shown]
	s_wait_dscnt 0x0
	v_dual_fmac_f32 v60, v40, v43 :: v_dual_fmac_f32 v21, v41, v64
	v_dual_fmac_f32 v59, v41, v43 :: v_dual_fmac_f32 v58, v40, v64
	ds_load_b128 v[40:43], v47 offset:96
	ds_load_2addr_b32 v[65:66], v57 offset1:16
	ds_load_b128 v[61:64], v47 offset:2144
	s_wait_dscnt 0x0
	v_dual_fmac_f32 v60, v65, v40 :: v_dual_fmac_f32 v21, v66, v61
	v_dual_fmac_f32 v59, v66, v40 :: v_dual_fmac_f32 v58, v65, v61
	ds_load_2addr_b32 v[65:66], v57 offset0:32 offset1:48
	s_wait_dscnt 0x0
	v_dual_fmac_f32 v60, v65, v41 :: v_dual_fmac_f32 v21, v66, v62
	v_dual_fmac_f32 v59, v66, v41 :: v_dual_fmac_f32 v58, v65, v62
	ds_load_2addr_b32 v[40:41], v57 offset0:64 offset1:80
	;; [unrolled: 4-line block ×3, first 2 shown]
	s_wait_dscnt 0x0
	v_dual_fmac_f32 v60, v40, v43 :: v_dual_fmac_f32 v21, v41, v64
	v_dual_fmac_f32 v59, v41, v43 :: v_dual_fmac_f32 v58, v40, v64
	ds_load_b128 v[40:43], v47 offset:112
	ds_load_2addr_b32 v[65:66], v57 offset0:128 offset1:144
	ds_load_b128 v[61:64], v47 offset:2160
	s_wait_dscnt 0x0
	v_dual_fmac_f32 v60, v65, v40 :: v_dual_fmac_f32 v21, v66, v61
	v_dual_fmac_f32 v59, v66, v40 :: v_dual_fmac_f32 v58, v65, v61
	ds_load_2addr_b32 v[65:66], v57 offset0:160 offset1:176
	s_wait_dscnt 0x0
	v_dual_fmac_f32 v60, v65, v41 :: v_dual_fmac_f32 v21, v66, v62
	v_dual_fmac_f32 v59, v66, v41 :: v_dual_fmac_f32 v58, v65, v62
	ds_load_2addr_b32 v[40:41], v57 offset0:192 offset1:208
	;; [unrolled: 4-line block ×3, first 2 shown]
	s_wait_loadcnt_dscnt 0x0
	s_barrier_signal -1
	s_barrier_wait -1
	global_inv scope:SCOPE_SE
	v_dual_fmac_f32 v60, v40, v43 :: v_dual_fmac_f32 v21, v41, v64
	v_dual_fmac_f32 v59, v41, v43 :: v_dual_fmac_f32 v58, v40, v64
	s_cbranch_scc1 .LBB17_46
.LBB17_10:                              ;   Parent Loop BB17_4 Depth=1
                                        ;     Parent Loop BB17_7 Depth=2
                                        ; =>    This Inner Loop Header: Depth=3
	s_wait_alu 0xfffe
	v_add_co_u32 v40, s5, v44, s18
	s_wait_alu 0xf1ff
	v_add_co_ci_u32_e64 v41, null, 0, s19, s5
	v_cmp_eq_u64_e64 s7, s[18:19], v[26:27]
                                        ; implicit-def: $vgpr61
	s_delay_alu instid0(VALU_DEP_2)
	v_cmp_gt_i64_e64 s5, v[40:41], v[22:23]
	v_cmp_le_i64_e64 s6, s[36:37], v[40:41]
	s_and_b32 s48, s28, s7
	v_add_co_u32 v42, s7, v34, v28
	s_or_b32 s8, vcc_lo, s5
	v_add_co_ci_u32_e64 v43, null, v35, v29, s7
	s_wait_alu 0xfffe
	s_or_b32 s7, s8, s48
	s_wait_alu 0xfffe
	s_nor_b32 s7, s6, s7
	s_wait_alu 0xfffe
	s_and_saveexec_b32 s8, s7
	s_wait_alu 0xfffe
	s_xor_b32 s7, exec_lo, s8
	s_cbranch_execz .LBB17_12
; %bb.11:                               ;   in Loop: Header=BB17_10 Depth=3
	global_load_b32 v61, v[42:43], off
.LBB17_12:                              ;   in Loop: Header=BB17_10 Depth=3
	s_wait_alu 0xfffe
	s_and_not1_saveexec_b32 s7, s7
	s_cbranch_execz .LBB17_14
; %bb.13:                               ;   in Loop: Header=BB17_10 Depth=3
	s_wait_loadcnt 0x0
	v_cndmask_b32_e64 v61, 0, 1.0, s48
.LBB17_14:                              ;   in Loop: Header=BB17_10 Depth=3
	s_wait_alu 0xfffe
	s_or_b32 exec_lo, exec_lo, s7
	v_add_co_u32 v62, s7, v40, 16
	s_wait_alu 0xf1ff
	v_add_co_ci_u32_e64 v63, null, 0, v41, s7
	v_cmp_eq_u64_e64 s8, s[18:19], v[32:33]
	s_wait_loadcnt 0x0
	ds_store_b32 v49, v61
	v_cmp_gt_i64_e64 s9, v[62:63], v[22:23]
	v_cmp_le_i64_e64 s7, s[36:37], v[62:63]
	s_and_b32 s49, s28, s8
	s_or_b32 s8, vcc_lo, s9
	s_wait_alu 0xfffe
	s_or_b32 s8, s8, s49
	s_wait_alu 0xfffe
	s_nor_b32 s8, s7, s8
	s_wait_alu 0xfffe
	s_and_saveexec_b32 s9, s8
	s_wait_alu 0xfffe
	s_xor_b32 s9, exec_lo, s9
	s_cbranch_execz .LBB17_16
; %bb.15:                               ;   in Loop: Header=BB17_10 Depth=3
	v_add_co_u32 v61, s8, v36, v28
	s_wait_alu 0xf1ff
	v_add_co_ci_u32_e64 v62, null, v37, v29, s8
	global_load_b32 v61, v[61:62], off
	s_wait_loadcnt 0x0
	ds_store_b32 v49, v61 offset:64
.LBB17_16:                              ;   in Loop: Header=BB17_10 Depth=3
	s_wait_alu 0xfffe
	s_and_not1_saveexec_b32 s8, s9
	s_cbranch_execz .LBB17_22
; %bb.17:                               ;   in Loop: Header=BB17_10 Depth=3
	s_xor_b32 s9, s49, -1
	s_wait_alu 0xfffe
	s_and_saveexec_b32 s49, s9
	s_wait_alu 0xfffe
	s_xor_b32 s9, exec_lo, s49
; %bb.18:                               ;   in Loop: Header=BB17_10 Depth=3
	ds_store_b32 v49, v46 offset:64
; %bb.19:                               ;   in Loop: Header=BB17_10 Depth=3
	s_wait_alu 0xfffe
	s_and_not1_saveexec_b32 s9, s9
; %bb.20:                               ;   in Loop: Header=BB17_10 Depth=3
	ds_store_b32 v49, v54 offset:64
; %bb.21:                               ;   in Loop: Header=BB17_10 Depth=3
	s_wait_alu 0xfffe
	s_or_b32 exec_lo, exec_lo, s9
.LBB17_22:                              ;   in Loop: Header=BB17_10 Depth=3
	s_wait_alu 0xfffe
	s_or_b32 exec_lo, exec_lo, s8
	v_cmp_eq_u64_e64 s8, s[18:19], v[30:31]
	v_cmp_gt_i64_e64 s9, v[40:41], v[24:25]
                                        ; implicit-def: $vgpr40
	s_and_b32 s8, s28, s8
	s_or_b32 s9, s4, s9
	s_wait_alu 0xfffe
	s_or_b32 s9, s9, s8
	s_wait_alu 0xfffe
	s_nor_b32 s6, s6, s9
	s_wait_alu 0xfffe
	s_and_saveexec_b32 s9, s6
	s_wait_alu 0xfffe
	s_xor_b32 s6, exec_lo, s9
	s_cbranch_execz .LBB17_24
; %bb.23:                               ;   in Loop: Header=BB17_10 Depth=3
	global_load_b32 v40, v[42:43], off offset:64
.LBB17_24:                              ;   in Loop: Header=BB17_10 Depth=3
	s_wait_alu 0xfffe
	s_and_not1_saveexec_b32 s6, s6
	s_cbranch_execz .LBB17_26
; %bb.25:                               ;   in Loop: Header=BB17_10 Depth=3
	s_wait_loadcnt 0x0
	v_cndmask_b32_e64 v40, 0, 1.0, s8
.LBB17_26:                              ;   in Loop: Header=BB17_10 Depth=3
	s_wait_alu 0xfffe
	s_or_b32 exec_lo, exec_lo, s6
	s_or_b32 s5, s4, s5
	s_wait_loadcnt 0x0
	ds_store_b32 v49, v40 offset:2048
	s_wait_alu 0xfffe
	s_or_b32 s5, s5, s48
	s_wait_alu 0xfffe
	s_nor_b32 s5, s7, s5
	s_wait_alu 0xfffe
	s_and_saveexec_b32 s6, s5
	s_wait_alu 0xfffe
	s_xor_b32 s6, exec_lo, s6
	s_cbranch_execz .LBB17_28
; %bb.27:                               ;   in Loop: Header=BB17_10 Depth=3
	v_add_co_u32 v40, s5, v36, v28
	s_wait_alu 0xf1ff
	v_add_co_ci_u32_e64 v41, null, v37, v29, s5
	global_load_b32 v40, v[40:41], off offset:64
	s_wait_loadcnt 0x0
	ds_store_b32 v49, v40 offset:2112
.LBB17_28:                              ;   in Loop: Header=BB17_10 Depth=3
	s_wait_alu 0xfffe
	s_and_not1_saveexec_b32 s5, s6
	s_cbranch_execz .LBB17_34
; %bb.29:                               ;   in Loop: Header=BB17_10 Depth=3
	s_xor_b32 s6, s48, -1
	s_wait_alu 0xfffe
	s_and_saveexec_b32 s7, s6
	s_wait_alu 0xfffe
	s_xor_b32 s6, exec_lo, s7
; %bb.30:                               ;   in Loop: Header=BB17_10 Depth=3
	ds_store_b32 v49, v46 offset:2112
; %bb.31:                               ;   in Loop: Header=BB17_10 Depth=3
	s_wait_alu 0xfffe
	s_and_not1_saveexec_b32 s6, s6
; %bb.32:                               ;   in Loop: Header=BB17_10 Depth=3
	ds_store_b32 v49, v54 offset:2112
; %bb.33:                               ;   in Loop: Header=BB17_10 Depth=3
	s_wait_alu 0xfffe
	s_or_b32 exec_lo, exec_lo, s6
.LBB17_34:                              ;   in Loop: Header=BB17_10 Depth=3
	s_wait_alu 0xfffe
	s_or_b32 exec_lo, exec_lo, s5
	v_add_co_u32 v40, s5, v45, s18
	s_wait_alu 0xf1ff
	v_add_co_ci_u32_e64 v41, null, 0, s19, s5
	v_add_co_u32 v42, s6, v38, v4
	s_wait_alu 0xf1ff
	v_add_co_ci_u32_e64 v43, null, v39, v5, s6
	s_delay_alu instid0(VALU_DEP_3)
	v_cmp_le_i64_e64 s5, s[36:37], v[40:41]
	v_mov_b32_e32 v61, 0
	s_nor_b32 s7, s5, s0
	s_wait_alu 0xfffe
	s_and_saveexec_b32 s6, s7
	s_cbranch_execz .LBB17_36
; %bb.35:                               ;   in Loop: Header=BB17_10 Depth=3
	global_load_b32 v61, v[42:43], off offset:-64
.LBB17_36:                              ;   in Loop: Header=BB17_10 Depth=3
	s_wait_alu 0xfffe
	s_or_b32 exec_lo, exec_lo, s6
	s_nor_b32 s5, s5, s1
	s_wait_loadcnt 0x0
	ds_store_b32 v50, v61
	s_wait_alu 0xfffe
	s_and_saveexec_b32 s6, s5
	s_wait_alu 0xfffe
	s_xor_b32 s5, exec_lo, s6
	s_cbranch_execz .LBB17_38
; %bb.37:                               ;   in Loop: Header=BB17_10 Depth=3
	global_load_b32 v42, v[42:43], off
	s_wait_loadcnt 0x0
	ds_store_b32 v50, v42 offset:64
.LBB17_38:                              ;   in Loop: Header=BB17_10 Depth=3
	s_wait_alu 0xfffe
	s_and_not1_saveexec_b32 s5, s5
; %bb.39:                               ;   in Loop: Header=BB17_10 Depth=3
	ds_store_b32 v50, v46 offset:64
; %bb.40:                               ;   in Loop: Header=BB17_10 Depth=3
	s_wait_alu 0xfffe
	s_or_b32 exec_lo, exec_lo, s5
	v_cmp_le_i64_e64 s5, s[12:13], v[40:41]
	v_add_co_u32 v40, s6, v38, v0
	s_wait_alu 0xf1ff
	v_add_co_ci_u32_e64 v41, null, v39, v1, s6
	v_mov_b32_e32 v42, 0
	s_delay_alu instid0(VALU_DEP_4)
	s_nor_b32 s7, s5, s0
	s_wait_alu 0xfffe
	s_and_saveexec_b32 s6, s7
	s_cbranch_execz .LBB17_42
; %bb.41:                               ;   in Loop: Header=BB17_10 Depth=3
	global_load_b32 v42, v[40:41], off offset:-64
.LBB17_42:                              ;   in Loop: Header=BB17_10 Depth=3
	s_wait_alu 0xfffe
	s_or_b32 exec_lo, exec_lo, s6
	s_nor_b32 s5, s5, s1
	s_wait_loadcnt 0x0
	ds_store_b32 v50, v42 offset:2048
	s_wait_alu 0xfffe
	s_and_saveexec_b32 s6, s5
	s_wait_alu 0xfffe
	s_xor_b32 s5, exec_lo, s6
	s_cbranch_execz .LBB17_44
; %bb.43:                               ;   in Loop: Header=BB17_10 Depth=3
	global_load_b32 v40, v[40:41], off
	s_wait_loadcnt 0x0
	ds_store_b32 v50, v40 offset:2112
.LBB17_44:                              ;   in Loop: Header=BB17_10 Depth=3
	s_wait_alu 0xfffe
	s_and_not1_saveexec_b32 s5, s5
	s_cbranch_execz .LBB17_9
; %bb.45:                               ;   in Loop: Header=BB17_10 Depth=3
	ds_store_b32 v50, v46 offset:2112
	s_branch .LBB17_9
.LBB17_46:                              ;   in Loop: Header=BB17_7 Depth=2
	v_mul_lo_u32 v25, s25, v22
	s_delay_alu instid0(VALU_DEP_2) | instskip(SKIP_2) | instid1(VALU_DEP_2)
	v_mul_lo_u32 v26, s24, v23
	v_mad_co_u64_u32 v[23:24], null, s24, v22, 0
	v_cmp_gt_i32_e32 vcc_lo, s30, v22
	v_add3_u32 v24, v24, v26, v25
	s_delay_alu instid0(VALU_DEP_1) | instskip(SKIP_1) | instid1(VALU_DEP_1)
	v_lshlrev_b64_e32 v[23:24], 2, v[23:24]
	s_wait_alu 0xfffe
	v_add_co_u32 v23, s4, s16, v23
	s_wait_alu 0xf1ff
	s_delay_alu instid0(VALU_DEP_2)
	v_add_co_ci_u32_e64 v24, null, s17, v24, s4
	s_and_b32 s4, s2, vcc_lo
	s_wait_alu 0xfffe
	s_and_saveexec_b32 s5, s4
	s_cbranch_execz .LBB17_48
; %bb.47:                               ;   in Loop: Header=BB17_7 Depth=2
	v_add_co_u32 v25, s4, v23, v6
	s_wait_alu 0xf1ff
	v_add_co_ci_u32_e64 v26, null, v24, v7, s4
	global_load_b32 v27, v[25:26], off
	s_wait_loadcnt 0x0
	v_fmac_f32_e32 v27, s31, v60
	global_store_b32 v[25:26], v27, off
.LBB17_48:                              ;   in Loop: Header=BB17_7 Depth=2
	s_wait_alu 0xfffe
	s_or_b32 exec_lo, exec_lo, s5
	s_and_b32 s5, s3, vcc_lo
	s_wait_alu 0xfffe
	s_and_saveexec_b32 s4, s5
	s_cbranch_execz .LBB17_50
; %bb.49:                               ;   in Loop: Header=BB17_7 Depth=2
	v_add_co_u32 v23, vcc_lo, v23, v12
	s_wait_alu 0xfffd
	v_add_co_ci_u32_e64 v24, null, v24, v13, vcc_lo
	global_load_b32 v25, v[23:24], off
	s_wait_loadcnt 0x0
	v_fmac_f32_e32 v25, s31, v59
	global_store_b32 v[23:24], v25, off
.LBB17_50:                              ;   in Loop: Header=BB17_7 Depth=2
	s_wait_alu 0xfffe
	s_or_b32 exec_lo, exec_lo, s4
	v_add_nc_u32_e32 v24, 16, v22
	s_delay_alu instid0(VALU_DEP_1) | instskip(SKIP_3) | instid1(VALU_DEP_4)
	v_ashrrev_i32_e32 v25, 31, v24
	v_mul_lo_u32 v26, s25, v24
	v_mad_co_u64_u32 v[22:23], null, s24, v24, 0
	v_cmp_gt_i32_e32 vcc_lo, s30, v24
	v_mul_lo_u32 v25, s24, v25
	s_delay_alu instid0(VALU_DEP_1) | instskip(NEXT) | instid1(VALU_DEP_1)
	v_add3_u32 v23, v23, v25, v26
	v_lshlrev_b64_e32 v[22:23], 2, v[22:23]
	s_delay_alu instid0(VALU_DEP_1) | instskip(SKIP_1) | instid1(VALU_DEP_2)
	v_add_co_u32 v22, s4, s16, v22
	s_wait_alu 0xf1ff
	v_add_co_ci_u32_e64 v23, null, s17, v23, s4
	s_and_b32 s4, s2, vcc_lo
	s_wait_alu 0xfffe
	s_and_saveexec_b32 s5, s4
	s_cbranch_execz .LBB17_52
; %bb.51:                               ;   in Loop: Header=BB17_7 Depth=2
	v_add_co_u32 v24, s4, v22, v6
	s_wait_alu 0xf1ff
	v_add_co_ci_u32_e64 v25, null, v23, v7, s4
	global_load_b32 v26, v[24:25], off
	s_wait_loadcnt 0x0
	v_fmac_f32_e32 v26, s31, v58
	global_store_b32 v[24:25], v26, off
.LBB17_52:                              ;   in Loop: Header=BB17_7 Depth=2
	s_wait_alu 0xfffe
	s_or_b32 exec_lo, exec_lo, s5
	s_and_b32 s5, s3, vcc_lo
	s_wait_alu 0xfffe
	s_and_saveexec_b32 s4, s5
	s_cbranch_execz .LBB17_6
; %bb.53:                               ;   in Loop: Header=BB17_7 Depth=2
	v_add_co_u32 v22, vcc_lo, v22, v12
	s_wait_alu 0xfffd
	v_add_co_ci_u32_e64 v23, null, v23, v13, vcc_lo
	global_load_b32 v24, v[22:23], off
	s_wait_loadcnt 0x0
	v_fmac_f32_e32 v24, s31, v21
	global_store_b32 v[22:23], v24, off
	s_branch .LBB17_6
.LBB17_54:
	s_endpgm
	.section	.rodata,"a",@progbits
	.p2align	6, 0x0
	.amdhsa_kernel _ZL30rocblas_trmm_outofplace_kernelIfLi32ELi2ELb0ELb0ELb1ELb0EfKffEv17rocblas_diagonal_iiT6_lPT7_lllS4_lllPT8_llli
		.amdhsa_group_segment_fixed_size 8192
		.amdhsa_private_segment_fixed_size 0
		.amdhsa_kernarg_size 384
		.amdhsa_user_sgpr_count 2
		.amdhsa_user_sgpr_dispatch_ptr 0
		.amdhsa_user_sgpr_queue_ptr 0
		.amdhsa_user_sgpr_kernarg_segment_ptr 1
		.amdhsa_user_sgpr_dispatch_id 0
		.amdhsa_user_sgpr_private_segment_size 0
		.amdhsa_wavefront_size32 1
		.amdhsa_uses_dynamic_stack 0
		.amdhsa_enable_private_segment 0
		.amdhsa_system_sgpr_workgroup_id_x 1
		.amdhsa_system_sgpr_workgroup_id_y 1
		.amdhsa_system_sgpr_workgroup_id_z 1
		.amdhsa_system_sgpr_workgroup_info 0
		.amdhsa_system_vgpr_workitem_id 1
		.amdhsa_next_free_vgpr 79
		.amdhsa_next_free_sgpr 50
		.amdhsa_reserve_vcc 1
		.amdhsa_float_round_mode_32 0
		.amdhsa_float_round_mode_16_64 0
		.amdhsa_float_denorm_mode_32 3
		.amdhsa_float_denorm_mode_16_64 3
		.amdhsa_fp16_overflow 0
		.amdhsa_workgroup_processor_mode 1
		.amdhsa_memory_ordered 1
		.amdhsa_forward_progress 1
		.amdhsa_inst_pref_size 28
		.amdhsa_round_robin_scheduling 0
		.amdhsa_exception_fp_ieee_invalid_op 0
		.amdhsa_exception_fp_denorm_src 0
		.amdhsa_exception_fp_ieee_div_zero 0
		.amdhsa_exception_fp_ieee_overflow 0
		.amdhsa_exception_fp_ieee_underflow 0
		.amdhsa_exception_fp_ieee_inexact 0
		.amdhsa_exception_int_div_zero 0
	.end_amdhsa_kernel
	.section	.text._ZL30rocblas_trmm_outofplace_kernelIfLi32ELi2ELb0ELb0ELb1ELb0EfKffEv17rocblas_diagonal_iiT6_lPT7_lllS4_lllPT8_llli,"axG",@progbits,_ZL30rocblas_trmm_outofplace_kernelIfLi32ELi2ELb0ELb0ELb1ELb0EfKffEv17rocblas_diagonal_iiT6_lPT7_lllS4_lllPT8_llli,comdat
.Lfunc_end17:
	.size	_ZL30rocblas_trmm_outofplace_kernelIfLi32ELi2ELb0ELb0ELb1ELb0EfKffEv17rocblas_diagonal_iiT6_lPT7_lllS4_lllPT8_llli, .Lfunc_end17-_ZL30rocblas_trmm_outofplace_kernelIfLi32ELi2ELb0ELb0ELb1ELb0EfKffEv17rocblas_diagonal_iiT6_lPT7_lllS4_lllPT8_llli
                                        ; -- End function
	.set _ZL30rocblas_trmm_outofplace_kernelIfLi32ELi2ELb0ELb0ELb1ELb0EfKffEv17rocblas_diagonal_iiT6_lPT7_lllS4_lllPT8_llli.num_vgpr, 79
	.set _ZL30rocblas_trmm_outofplace_kernelIfLi32ELi2ELb0ELb0ELb1ELb0EfKffEv17rocblas_diagonal_iiT6_lPT7_lllS4_lllPT8_llli.num_agpr, 0
	.set _ZL30rocblas_trmm_outofplace_kernelIfLi32ELi2ELb0ELb0ELb1ELb0EfKffEv17rocblas_diagonal_iiT6_lPT7_lllS4_lllPT8_llli.numbered_sgpr, 50
	.set _ZL30rocblas_trmm_outofplace_kernelIfLi32ELi2ELb0ELb0ELb1ELb0EfKffEv17rocblas_diagonal_iiT6_lPT7_lllS4_lllPT8_llli.num_named_barrier, 0
	.set _ZL30rocblas_trmm_outofplace_kernelIfLi32ELi2ELb0ELb0ELb1ELb0EfKffEv17rocblas_diagonal_iiT6_lPT7_lllS4_lllPT8_llli.private_seg_size, 0
	.set _ZL30rocblas_trmm_outofplace_kernelIfLi32ELi2ELb0ELb0ELb1ELb0EfKffEv17rocblas_diagonal_iiT6_lPT7_lllS4_lllPT8_llli.uses_vcc, 1
	.set _ZL30rocblas_trmm_outofplace_kernelIfLi32ELi2ELb0ELb0ELb1ELb0EfKffEv17rocblas_diagonal_iiT6_lPT7_lllS4_lllPT8_llli.uses_flat_scratch, 0
	.set _ZL30rocblas_trmm_outofplace_kernelIfLi32ELi2ELb0ELb0ELb1ELb0EfKffEv17rocblas_diagonal_iiT6_lPT7_lllS4_lllPT8_llli.has_dyn_sized_stack, 0
	.set _ZL30rocblas_trmm_outofplace_kernelIfLi32ELi2ELb0ELb0ELb1ELb0EfKffEv17rocblas_diagonal_iiT6_lPT7_lllS4_lllPT8_llli.has_recursion, 0
	.set _ZL30rocblas_trmm_outofplace_kernelIfLi32ELi2ELb0ELb0ELb1ELb0EfKffEv17rocblas_diagonal_iiT6_lPT7_lllS4_lllPT8_llli.has_indirect_call, 0
	.section	.AMDGPU.csdata,"",@progbits
; Kernel info:
; codeLenInByte = 3480
; TotalNumSgprs: 52
; NumVgprs: 79
; ScratchSize: 0
; MemoryBound: 0
; FloatMode: 240
; IeeeMode: 1
; LDSByteSize: 8192 bytes/workgroup (compile time only)
; SGPRBlocks: 0
; VGPRBlocks: 9
; NumSGPRsForWavesPerEU: 52
; NumVGPRsForWavesPerEU: 79
; Occupancy: 16
; WaveLimiterHint : 0
; COMPUTE_PGM_RSRC2:SCRATCH_EN: 0
; COMPUTE_PGM_RSRC2:USER_SGPR: 2
; COMPUTE_PGM_RSRC2:TRAP_HANDLER: 0
; COMPUTE_PGM_RSRC2:TGID_X_EN: 1
; COMPUTE_PGM_RSRC2:TGID_Y_EN: 1
; COMPUTE_PGM_RSRC2:TGID_Z_EN: 1
; COMPUTE_PGM_RSRC2:TIDIG_COMP_CNT: 1
	.section	.text._ZL30rocblas_trmm_outofplace_kernelIfLi32ELi2ELb0ELb1ELb1ELb0EPKfS0_fEv17rocblas_diagonal_iiT6_lPT7_lllS5_lllPT8_llli,"axG",@progbits,_ZL30rocblas_trmm_outofplace_kernelIfLi32ELi2ELb0ELb1ELb1ELb0EPKfS0_fEv17rocblas_diagonal_iiT6_lPT7_lllS5_lllPT8_llli,comdat
	.globl	_ZL30rocblas_trmm_outofplace_kernelIfLi32ELi2ELb0ELb1ELb1ELb0EPKfS0_fEv17rocblas_diagonal_iiT6_lPT7_lllS5_lllPT8_llli ; -- Begin function _ZL30rocblas_trmm_outofplace_kernelIfLi32ELi2ELb0ELb1ELb1ELb0EPKfS0_fEv17rocblas_diagonal_iiT6_lPT7_lllS5_lllPT8_llli
	.p2align	8
	.type	_ZL30rocblas_trmm_outofplace_kernelIfLi32ELi2ELb0ELb1ELb1ELb0EPKfS0_fEv17rocblas_diagonal_iiT6_lPT7_lllS5_lllPT8_llli,@function
_ZL30rocblas_trmm_outofplace_kernelIfLi32ELi2ELb0ELb1ELb1ELb0EPKfS0_fEv17rocblas_diagonal_iiT6_lPT7_lllS5_lllPT8_llli: ; @_ZL30rocblas_trmm_outofplace_kernelIfLi32ELi2ELb0ELb1ELb1ELb0EPKfS0_fEv17rocblas_diagonal_iiT6_lPT7_lllS5_lllPT8_llli
; %bb.0:
	s_load_b32 s11, s[0:1], 0x80
	s_lshr_b32 s34, ttmp7, 16
	s_wait_kmcnt 0x0
	s_cmp_ge_u32 s34, s11
	s_cbranch_scc1 .LBB18_56
; %bb.1:
	s_clause 0x3
	s_load_b96 s[8:10], s[0:1], 0x0
	s_load_b256 s[36:43], s[0:1], 0x50
	s_load_b512 s[12:27], s[0:1], 0x10
	s_load_b128 s[28:31], s[0:1], 0x70
	s_add_nc_u64 s[44:45], s[0:1], 0x88
	v_dual_mov_b32 v45, 0 :: v_dual_and_b32 v6, 0x3ff, v0
	v_bfe_u32 v38, v0, 10, 10
	s_and_b32 s33, ttmp7, 0xffff
	v_mov_b32_e32 v46, 1.0
	s_delay_alu instid0(VALU_DEP_3) | instskip(SKIP_3) | instid1(VALU_DEP_3)
	v_lshl_add_u32 v2, ttmp9, 5, v6
	v_lshlrev_b32_e32 v0, 2, v6
	v_lshlrev_b32_e32 v39, 7, v38
	s_mov_b32 s35, 0
	v_ashrrev_i32_e32 v3, 31, v2
	s_delay_alu instid0(VALU_DEP_3) | instskip(NEXT) | instid1(VALU_DEP_3)
	v_or_b32_e32 v40, 0x1000, v0
	v_add_nc_u32_e32 v41, v39, v0
	v_add_nc_u32_e32 v0, 16, v2
	s_delay_alu instid0(VALU_DEP_3)
	v_add_nc_u32_e32 v42, v40, v39
	s_wait_kmcnt 0x0
	s_add_co_i32 s0, s10, -1
	s_lshl_b64 s[2:3], s[42:43], 2
	s_wait_alu 0xfffe
	s_ashr_i32 s1, s0, 31
	s_add_nc_u64 s[40:41], s[40:41], s[2:3]
	s_wait_alu 0xfffe
	s_lshr_b32 s1, s1, 27
	v_sub_co_u32 v4, vcc_lo, s9, v2
	s_wait_alu 0xfffe
	s_add_co_i32 s0, s0, s1
	v_cmp_gt_i32_e64 s1, s9, v0
	s_wait_alu 0xfffe
	s_ashr_i32 s56, s0, 5
	v_cmp_gt_i32_e64 s0, s9, v2
	s_cmp_le_i32 s33, s56
	v_ashrrev_i32_e32 v1, 31, v0
	s_cselect_b32 s57, -1, 0
	s_cmp_eq_u32 s8, 0x84
	v_add_nc_u32_e32 v47, 0x400, v40
	s_cselect_b32 s58, -1, 0
	s_ashr_i32 s2, s9, 31
	s_lshl_b32 s4, s33, 5
	v_sub_co_ci_u32_e64 v5, null, s2, v3, vcc_lo
	v_lshlrev_b64_e32 v[2:3], 2, v[2:3]
	v_add_nc_u32_e32 v43, s4, v6
	v_add_nc_u32_e32 v44, s4, v38
	s_lshl_b64 s[4:5], s[26:27], 2
	v_cmp_gt_i64_e64 s2, 1, v[4:5]
	s_wait_alu 0xfffe
	s_add_nc_u64 s[4:5], s[24:25], s[4:5]
	v_cmp_gt_i64_e64 s3, 17, v[4:5]
	s_wait_alu 0xfffe
	v_add_co_u32 v4, vcc_lo, s4, v2
	s_wait_alu 0xfffd
	v_add_co_ci_u32_e64 v5, null, s5, v3, vcc_lo
	v_add_nc_u32_e32 v48, 0x800, v40
	v_add_nc_u32_e32 v49, 0xc00, v40
	s_mov_b32 s42, s10
	s_ashr_i32 s43, s10, 31
	s_lshl_b64 s[4:5], s[18:19], 2
	s_lshl_b64 s[46:47], s[20:21], 7
	s_lshl_b64 s[48:49], s[36:37], 7
	s_add_nc_u64 s[50:51], s[42:43], -16
	s_lshl_b64 s[26:27], s[36:37], 2
	s_lshl_b64 s[18:19], s[38:39], 2
	s_wait_alu 0xfffe
	s_add_nc_u64 s[16:17], s[16:17], s[4:5]
	s_lshl_b64 s[22:23], s[22:23], 2
	s_lshl_b64 s[24:25], s[20:21], 2
	s_branch .LBB18_4
.LBB18_2:                               ;   in Loop: Header=BB18_4 Depth=1
	s_add_co_i32 s34, s34, 0x10000
	s_wait_alu 0xfffe
	s_cmp_ge_u32 s34, s11
	s_cselect_b32 s4, -1, 0
.LBB18_3:                               ;   in Loop: Header=BB18_4 Depth=1
	s_wait_alu 0xfffe
	s_and_b32 vcc_lo, exec_lo, s4
	s_wait_alu 0xfffe
	s_cbranch_vccnz .LBB18_56
.LBB18_4:                               ; =>This Loop Header: Depth=1
                                        ;     Child Loop BB18_8 Depth 2
                                        ;       Child Loop BB18_11 Depth 3
	s_mul_u64 s[4:5], s[14:15], s[34:35]
	s_wait_alu 0xfffe
	s_lshl_b64 s[4:5], s[4:5], 2
	s_wait_alu 0xfffe
	s_add_nc_u64 s[4:5], s[12:13], s[4:5]
	global_load_b32 v50, v45, s[4:5]
	s_mov_b32 s4, -1
	s_wait_loadcnt 0x0
	v_cmp_eq_f32_e32 vcc_lo, 0, v50
	s_cbranch_vccnz .LBB18_3
; %bb.5:                                ;   in Loop: Header=BB18_4 Depth=1
	s_and_not1_b32 vcc_lo, exec_lo, s57
	s_wait_alu 0xfffe
	s_cbranch_vccnz .LBB18_2
; %bb.6:                                ;   in Loop: Header=BB18_4 Depth=1
	s_load_b32 s59, s[44:45], 0x4
	v_mad_co_u64_u32 v[6:7], null, s18, s34, v[4:5]
	s_mul_u64 s[4:5], s[30:31], s[34:35]
	v_mov_b32_e32 v10, v43
	s_mul_u64 s[6:7], s[22:23], s[34:35]
	s_wait_alu 0xfffe
	s_lshl_b64 s[4:5], s[4:5], 2
	s_add_nc_u64 s[52:53], s[16:17], s[6:7]
	s_wait_alu 0xfffe
	s_add_nc_u64 s[38:39], s[40:41], s[4:5]
	v_mad_co_u64_u32 v[7:8], null, s19, s34, v[7:8]
	v_mov_b32_e32 v8, v44
	s_mov_b32 s61, s33
	s_wait_kmcnt 0x0
	s_lshl_b32 s60, s59, 5
	s_branch .LBB18_8
.LBB18_7:                               ;   in Loop: Header=BB18_8 Depth=2
	s_wait_alu 0xfffe
	s_or_b32 exec_lo, exec_lo, s4
	v_add_nc_u32_e32 v10, s60, v10
	v_add_nc_u32_e32 v8, s60, v8
	s_add_co_i32 s61, s59, s61
	s_wait_alu 0xfffe
	s_cmp_gt_i32 s61, s56
	s_cbranch_scc1 .LBB18_2
.LBB18_8:                               ;   Parent Loop BB18_4 Depth=1
                                        ; =>  This Loop Header: Depth=2
                                        ;       Child Loop BB18_11 Depth 3
	s_wait_alu 0xfffe
	s_lshl_b32 s4, s61, 5
	v_ashrrev_i32_e32 v11, 31, v10
	s_wait_alu 0xfffe
	v_add_nc_u32_e32 v12, s4, v38
	v_ashrrev_i32_e32 v9, 31, v8
	s_sub_co_i32 s62, s10, s4
	s_wait_alu 0xfffe
	s_cmp_lt_i32 s62, 1
	v_ashrrev_i32_e32 v13, 31, v12
	s_cbranch_scc1 .LBB18_47
; %bb.9:                                ;   in Loop: Header=BB18_8 Depth=2
	v_lshlrev_b64_e32 v[16:17], 2, v[8:9]
	v_lshlrev_b64_e32 v[20:21], 2, v[10:11]
	v_sub_co_u32 v14, vcc_lo, v8, v10
	s_wait_alu 0xfffd
	v_sub_co_ci_u32_e64 v15, null, v9, v11, vcc_lo
	s_delay_alu instid0(VALU_DEP_4)
	v_add_co_u32 v22, vcc_lo, v16, 64
	s_wait_alu 0xfffd
	v_add_co_ci_u32_e64 v23, null, 0, v17, vcc_lo
	v_add_co_u32 v24, vcc_lo, v20, 64
	v_mad_co_u64_u32 v[18:19], null, s26, v8, 64
	v_mul_lo_u32 v26, s26, v9
	v_mul_lo_u32 v27, s27, v8
	s_wait_alu 0xfffd
	v_add_co_ci_u32_e64 v25, null, 0, v21, vcc_lo
	v_mul_lo_u32 v28, s36, v23
	v_mul_lo_u32 v29, s37, v22
	v_mad_co_u64_u32 v[20:21], null, s36, v22, 64
	s_delay_alu instid0(VALU_DEP_4)
	v_mul_lo_u32 v30, s20, v25
	v_mul_lo_u32 v31, s21, v24
	v_mad_co_u64_u32 v[22:23], null, s20, v24, s[52:53]
	v_mad_co_u64_u32 v[24:25], null, s24, v10, s[52:53]
	v_mul_lo_u32 v32, s24, v11
	v_mul_lo_u32 v33, s25, v10
	v_add3_u32 v19, v27, v19, v26
	v_add_co_u32 v26, vcc_lo, v12, 16
	s_wait_alu 0xfffd
	v_add_co_ci_u32_e64 v27, null, 0, v13, vcc_lo
	v_add3_u32 v21, v29, v21, v28
	v_add_co_u32 v28, s5, v14, 16
	v_add3_u32 v23, v31, v23, v30
	s_wait_alu 0xf1ff
	v_add_co_ci_u32_e64 v29, null, 0, v15, s5
	v_add_co_u32 v30, s5, v14, -16
	v_add3_u32 v25, v33, v25, v32
	v_cmp_le_i64_e64 s4, s[42:43], v[26:27]
	v_dual_mov_b32 v33, v7 :: v_dual_mov_b32 v52, 0
	s_wait_alu 0xf1ff
	v_add_co_ci_u32_e64 v31, null, -1, v15, s5
	v_dual_mov_b32 v51, 0 :: v_dual_mov_b32 v32, v6
	v_dual_mov_b32 v53, 0 :: v_dual_mov_b32 v54, 0
	s_mov_b64 s[54:55], 0
	v_cmp_le_i32_e32 vcc_lo, s10, v12
	s_branch .LBB18_11
.LBB18_10:                              ;   in Loop: Header=BB18_11 Depth=3
	s_wait_alu 0xfffe
	s_or_b32 exec_lo, exec_lo, s5
	s_wait_dscnt 0x0
	s_barrier_signal -1
	s_barrier_wait -1
	global_inv scope:SCOPE_SE
	ds_load_b128 v[34:37], v39
	ds_load_2addr_b32 v[75:76], v40 offset1:16
	ds_load_b128 v[55:58], v39 offset:2048
	ds_load_2addr_b32 v[77:78], v40 offset0:32 offset1:48
	ds_load_b128 v[59:62], v39 offset:16
	ds_load_2addr_b32 v[79:80], v40 offset0:64 offset1:80
	ds_load_b128 v[63:66], v39 offset:32
	ds_load_b128 v[67:70], v39 offset:48
	ds_load_2addr_b32 v[81:82], v40 offset0:96 offset1:112
	ds_load_2addr_b32 v[83:84], v40 offset0:128 offset1:144
	ds_load_b128 v[71:74], v39 offset:2064
	ds_load_2addr_b32 v[85:86], v40 offset0:160 offset1:176
	ds_load_2addr_b32 v[87:88], v40 offset0:192 offset1:208
	ds_load_2addr_b32 v[89:90], v40 offset0:224 offset1:240
	ds_load_2addr_b32 v[91:92], v47 offset1:16
	ds_load_2addr_b32 v[93:94], v47 offset0:32 offset1:48
	v_add_co_u32 v32, s5, v32, s48
	s_wait_alu 0xf1ff
	v_add_co_ci_u32_e64 v33, null, s49, v33, s5
	v_add_co_u32 v22, s5, v22, s46
	s_wait_dscnt 0xd
	v_dual_fmac_f32 v54, v75, v34 :: v_dual_fmac_f32 v51, v76, v55
	v_dual_fmac_f32 v53, v76, v34 :: v_dual_fmac_f32 v52, v75, v55
	ds_load_2addr_b32 v[75:76], v47 offset0:64 offset1:80
	s_wait_dscnt 0xd
	v_dual_fmac_f32 v54, v77, v35 :: v_dual_fmac_f32 v51, v78, v56
	v_dual_fmac_f32 v53, v78, v35 :: v_dual_fmac_f32 v52, v77, v56
	ds_load_2addr_b32 v[77:78], v47 offset0:96 offset1:112
	s_wait_dscnt 0xc
	v_dual_fmac_f32 v54, v79, v36 :: v_dual_fmac_f32 v51, v80, v57
	v_dual_fmac_f32 v53, v80, v36 :: v_dual_fmac_f32 v52, v79, v57
	ds_load_2addr_b32 v[79:80], v47 offset0:128 offset1:144
	s_wait_dscnt 0xa
	v_dual_fmac_f32 v54, v81, v37 :: v_dual_fmac_f32 v51, v82, v58
	v_dual_fmac_f32 v53, v82, v37 :: v_dual_fmac_f32 v52, v81, v58
	ds_load_b128 v[34:37], v39 offset:2080
	ds_load_b128 v[55:58], v39 offset:2096
	ds_load_2addr_b32 v[81:82], v47 offset0:160 offset1:176
	s_wait_dscnt 0xb
	v_fmac_f32_e32 v51, v84, v71
	v_fmac_f32_e32 v53, v84, v59
	v_fmac_f32_e32 v54, v83, v59
	v_fmac_f32_e32 v52, v83, v71
	ds_load_2addr_b32 v[83:84], v47 offset0:192 offset1:208
	s_wait_dscnt 0xb
	v_fmac_f32_e32 v51, v86, v72
	v_fmac_f32_e32 v53, v86, v60
	v_fmac_f32_e32 v54, v85, v60
	v_fmac_f32_e32 v52, v85, v72
	;; [unrolled: 6-line block ×3, first 2 shown]
	ds_load_2addr_b32 v[87:88], v48 offset1:16
	s_wait_dscnt 0xb
	v_fmac_f32_e32 v51, v90, v74
	v_fmac_f32_e32 v53, v90, v62
	;; [unrolled: 1-line block ×4, first 2 shown]
	ds_load_b128 v[59:62], v39 offset:64
	s_wait_dscnt 0x6
	v_fmac_f32_e32 v51, v92, v34
	v_fmac_f32_e32 v53, v92, v63
	;; [unrolled: 1-line block ×4, first 2 shown]
	ds_load_b128 v[71:74], v39 offset:2112
	v_fmac_f32_e32 v51, v94, v35
	v_fmac_f32_e32 v53, v94, v64
	v_fmac_f32_e32 v54, v93, v64
	v_fmac_f32_e32 v52, v93, v35
	ds_load_2addr_b32 v[63:64], v48 offset0:32 offset1:48
	v_fmac_f32_e32 v51, v76, v36
	v_fmac_f32_e32 v53, v76, v65
	v_fmac_f32_e32 v54, v75, v65
	v_fmac_f32_e32 v52, v75, v36
	ds_load_2addr_b32 v[75:76], v48 offset0:96 offset1:112
	;; [unrolled: 5-line block ×3, first 2 shown]
	s_wait_dscnt 0x9
	v_fmac_f32_e32 v51, v80, v55
	v_fmac_f32_e32 v53, v80, v67
	;; [unrolled: 1-line block ×4, first 2 shown]
	ds_load_b128 v[34:37], v39 offset:80
	s_wait_dscnt 0x9
	v_fmac_f32_e32 v51, v82, v56
	v_fmac_f32_e32 v53, v82, v68
	;; [unrolled: 1-line block ×4, first 2 shown]
	ds_load_2addr_b32 v[67:68], v48 offset0:128 offset1:144
	s_wait_dscnt 0x9
	v_fmac_f32_e32 v51, v84, v57
	v_fmac_f32_e32 v53, v84, v69
	;; [unrolled: 1-line block ×4, first 2 shown]
	ds_load_2addr_b32 v[77:78], v48 offset0:224 offset1:240
	s_wait_dscnt 0x9
	v_fmac_f32_e32 v51, v86, v58
	v_fmac_f32_e32 v53, v86, v70
	;; [unrolled: 1-line block ×4, first 2 shown]
	ds_load_b128 v[55:58], v39 offset:2128
	s_wait_dscnt 0x7
	v_fmac_f32_e32 v51, v88, v71
	v_fmac_f32_e32 v53, v88, v59
	;; [unrolled: 1-line block ×4, first 2 shown]
	ds_load_2addr_b32 v[69:70], v48 offset0:160 offset1:176
	s_wait_dscnt 0x7
	v_fmac_f32_e32 v51, v64, v72
	v_fmac_f32_e32 v53, v64, v60
	;; [unrolled: 1-line block ×4, first 2 shown]
	ds_load_2addr_b32 v[71:72], v48 offset0:192 offset1:208
	s_wait_dscnt 0x6
	v_fmac_f32_e32 v51, v66, v73
	v_fmac_f32_e32 v53, v66, v61
	;; [unrolled: 1-line block ×4, first 2 shown]
	s_wait_alu 0xf1ff
	v_add_co_ci_u32_e64 v23, null, s47, v23, s5
	v_fmac_f32_e32 v53, v76, v62
	v_fmac_f32_e32 v54, v75, v62
	;; [unrolled: 1-line block ×4, first 2 shown]
	ds_load_b128 v[59:62], v39 offset:96
	ds_load_2addr_b32 v[73:74], v49 offset1:16
	s_wait_dscnt 0x6
	v_fmac_f32_e32 v53, v68, v34
	s_wait_dscnt 0x4
	v_dual_fmac_f32 v54, v67, v34 :: v_dual_fmac_f32 v51, v68, v55
	v_fmac_f32_e32 v52, v67, v55
	ds_load_b128 v[63:66], v39 offset:2144
	s_wait_dscnt 0x4
	v_fmac_f32_e32 v53, v70, v35
	v_dual_fmac_f32 v54, v69, v35 :: v_dual_fmac_f32 v51, v70, v56
	ds_load_2addr_b32 v[67:68], v49 offset0:32 offset1:48
	v_fmac_f32_e32 v52, v69, v56
	s_wait_dscnt 0x4
	v_fmac_f32_e32 v53, v72, v36
	v_dual_fmac_f32 v54, v71, v36 :: v_dual_fmac_f32 v51, v72, v57
	ds_load_2addr_b32 v[69:70], v49 offset0:64 offset1:80
	v_fmac_f32_e32 v52, v71, v57
	v_fmac_f32_e32 v53, v78, v37
	v_dual_fmac_f32 v54, v77, v37 :: v_dual_fmac_f32 v51, v78, v58
	ds_load_2addr_b32 v[71:72], v49 offset0:96 offset1:112
	v_fmac_f32_e32 v52, v77, v58
	ds_load_b128 v[34:37], v39 offset:112
	s_wait_dscnt 0x5
	v_fmac_f32_e32 v53, v74, v59
	v_fmac_f32_e32 v54, v73, v59
	ds_load_2addr_b32 v[75:76], v49 offset0:128 offset1:144
	ds_load_b128 v[55:58], v39 offset:2160
	s_wait_dscnt 0x6
	v_fmac_f32_e32 v51, v74, v63
	v_fmac_f32_e32 v52, v73, v63
	ds_load_2addr_b32 v[73:74], v49 offset0:160 offset1:176
	v_add_co_u32 v24, s5, v24, s46
	s_wait_dscnt 0x6
	v_fmac_f32_e32 v53, v68, v60
	v_fmac_f32_e32 v54, v67, v60
	;; [unrolled: 1-line block ×4, first 2 shown]
	ds_load_2addr_b32 v[59:60], v49 offset0:192 offset1:208
	s_wait_dscnt 0x6
	v_fmac_f32_e32 v53, v70, v61
	v_fmac_f32_e32 v54, v69, v61
	;; [unrolled: 1-line block ×4, first 2 shown]
	ds_load_2addr_b32 v[63:64], v49 offset0:224 offset1:240
	s_wait_dscnt 0x6
	v_fmac_f32_e32 v53, v72, v62
	v_fmac_f32_e32 v54, v71, v62
	;; [unrolled: 1-line block ×4, first 2 shown]
	s_wait_alu 0xf1ff
	v_add_co_ci_u32_e64 v25, null, s47, v25, s5
	s_wait_dscnt 0x3
	v_dual_fmac_f32 v54, v75, v34 :: v_dual_fmac_f32 v51, v76, v55
	v_dual_fmac_f32 v53, v76, v34 :: v_dual_fmac_f32 v52, v75, v55
	s_add_nc_u64 s[54:55], s[54:55], 32
	s_wait_dscnt 0x2
	s_delay_alu instid0(VALU_DEP_2) | instskip(NEXT) | instid1(VALU_DEP_2)
	v_dual_fmac_f32 v54, v73, v35 :: v_dual_fmac_f32 v51, v74, v56
	v_dual_fmac_f32 v53, v74, v35 :: v_dual_fmac_f32 v52, v73, v56
	s_wait_alu 0xfffe
	s_cmp_ge_i32 s54, s62
	s_wait_dscnt 0x1
	v_dual_fmac_f32 v54, v59, v36 :: v_dual_fmac_f32 v51, v60, v57
	v_dual_fmac_f32 v53, v60, v36 :: v_dual_fmac_f32 v52, v59, v57
	s_wait_loadcnt_dscnt 0x0
	s_delay_alu instid0(VALU_DEP_2) | instskip(NEXT) | instid1(VALU_DEP_2)
	v_dual_fmac_f32 v54, v63, v37 :: v_dual_fmac_f32 v51, v64, v58
	v_dual_fmac_f32 v53, v64, v37 :: v_dual_fmac_f32 v52, v63, v58
	s_barrier_signal -1
	s_barrier_wait -1
	global_inv scope:SCOPE_SE
	s_cbranch_scc1 .LBB18_48
.LBB18_11:                              ;   Parent Loop BB18_4 Depth=1
                                        ;     Parent Loop BB18_8 Depth=2
                                        ; =>    This Inner Loop Header: Depth=3
	s_wait_alu 0xfffe
	v_add_co_u32 v34, s5, v10, s54
	s_wait_alu 0xf1ff
	v_add_co_ci_u32_e64 v35, null, s55, v11, s5
	v_cmp_eq_u64_e64 s7, s[54:55], v[14:15]
	v_add_co_u32 v36, s8, v24, v16
	s_delay_alu instid0(VALU_DEP_3)
	v_cmp_lt_i64_e64 s5, v[34:35], v[12:13]
	v_cmp_le_i64_e64 s6, s[42:43], v[34:35]
	s_wait_alu 0xf1ff
	v_add_co_ci_u32_e64 v37, null, v25, v17, s8
	s_and_b32 s63, s58, s7
                                        ; implicit-def: $vgpr55
	s_or_b32 s8, vcc_lo, s5
	s_wait_alu 0xfffe
	s_or_b32 s7, s6, s8
	s_wait_alu 0xfffe
	s_nor_b32 s7, s7, s63
	s_wait_alu 0xfffe
	s_and_saveexec_b32 s8, s7
	s_wait_alu 0xfffe
	s_xor_b32 s7, exec_lo, s8
	s_cbranch_execz .LBB18_13
; %bb.12:                               ;   in Loop: Header=BB18_11 Depth=3
	global_load_b32 v55, v[36:37], off
.LBB18_13:                              ;   in Loop: Header=BB18_11 Depth=3
	s_wait_alu 0xfffe
	s_and_not1_saveexec_b32 s7, s7
	s_cbranch_execz .LBB18_15
; %bb.14:                               ;   in Loop: Header=BB18_11 Depth=3
	s_wait_loadcnt 0x0
	v_cndmask_b32_e64 v55, 0, 1.0, s63
.LBB18_15:                              ;   in Loop: Header=BB18_11 Depth=3
	s_wait_alu 0xfffe
	s_or_b32 exec_lo, exec_lo, s7
	v_add_co_u32 v56, s7, v34, 16
	s_wait_alu 0xf1ff
	v_add_co_ci_u32_e64 v57, null, 0, v35, s7
	v_cmp_eq_u64_e64 s9, s[54:55], v[30:31]
	s_wait_loadcnt 0x0
	ds_store_b32 v41, v55
	v_cmp_lt_i64_e64 s8, v[56:57], v[12:13]
	v_cmp_le_i64_e64 s7, s[42:43], v[56:57]
	s_and_b32 s9, s58, s9
	s_or_b32 s8, vcc_lo, s8
	s_wait_alu 0xfffe
	s_or_b32 s8, s7, s8
	s_wait_alu 0xfffe
	s_nor_b32 s8, s8, s9
	s_wait_alu 0xfffe
	s_and_saveexec_b32 s64, s8
	s_delay_alu instid0(SALU_CYCLE_1)
	s_xor_b32 s64, exec_lo, s64
	s_cbranch_execz .LBB18_17
; %bb.16:                               ;   in Loop: Header=BB18_11 Depth=3
	v_add_co_u32 v55, s8, v22, v16
	s_wait_alu 0xf1ff
	v_add_co_ci_u32_e64 v56, null, v23, v17, s8
	global_load_b32 v55, v[55:56], off
	s_wait_loadcnt 0x0
	ds_store_b32 v41, v55 offset:64
.LBB18_17:                              ;   in Loop: Header=BB18_11 Depth=3
	s_and_not1_saveexec_b32 s8, s64
	s_cbranch_execz .LBB18_23
; %bb.18:                               ;   in Loop: Header=BB18_11 Depth=3
	s_xor_b32 s9, s9, -1
	s_wait_alu 0xfffe
	s_and_saveexec_b32 s64, s9
	s_delay_alu instid0(SALU_CYCLE_1)
	s_xor_b32 s9, exec_lo, s64
; %bb.19:                               ;   in Loop: Header=BB18_11 Depth=3
	ds_store_b32 v41, v45 offset:64
; %bb.20:                               ;   in Loop: Header=BB18_11 Depth=3
	s_wait_alu 0xfffe
	s_and_not1_saveexec_b32 s9, s9
; %bb.21:                               ;   in Loop: Header=BB18_11 Depth=3
	ds_store_b32 v41, v46 offset:64
; %bb.22:                               ;   in Loop: Header=BB18_11 Depth=3
	s_wait_alu 0xfffe
	s_or_b32 exec_lo, exec_lo, s9
.LBB18_23:                              ;   in Loop: Header=BB18_11 Depth=3
	s_wait_alu 0xfffe
	s_or_b32 exec_lo, exec_lo, s8
	v_cmp_eq_u64_e64 s8, s[54:55], v[28:29]
	v_cmp_lt_i64_e64 s9, v[34:35], v[26:27]
                                        ; implicit-def: $vgpr34
	s_and_b32 s8, s58, s8
	s_or_b32 s9, s4, s9
	s_wait_alu 0xfffe
	s_or_b32 s9, s9, s8
	s_wait_alu 0xfffe
	s_nor_b32 s6, s6, s9
	s_wait_alu 0xfffe
	s_and_saveexec_b32 s9, s6
	s_wait_alu 0xfffe
	s_xor_b32 s6, exec_lo, s9
	s_cbranch_execz .LBB18_25
; %bb.24:                               ;   in Loop: Header=BB18_11 Depth=3
	global_load_b32 v34, v[36:37], off offset:64
.LBB18_25:                              ;   in Loop: Header=BB18_11 Depth=3
	s_wait_alu 0xfffe
	s_and_not1_saveexec_b32 s6, s6
	s_cbranch_execz .LBB18_27
; %bb.26:                               ;   in Loop: Header=BB18_11 Depth=3
	s_wait_loadcnt 0x0
	v_cndmask_b32_e64 v34, 0, 1.0, s8
.LBB18_27:                              ;   in Loop: Header=BB18_11 Depth=3
	s_wait_alu 0xfffe
	s_or_b32 exec_lo, exec_lo, s6
	s_or_b32 s5, s4, s5
	s_wait_loadcnt 0x0
	ds_store_b32 v41, v34 offset:2048
	s_wait_alu 0xfffe
	s_or_b32 s5, s7, s5
	s_wait_alu 0xfffe
	s_nor_b32 s5, s5, s63
	s_wait_alu 0xfffe
	s_and_saveexec_b32 s6, s5
	s_wait_alu 0xfffe
	s_xor_b32 s6, exec_lo, s6
	s_cbranch_execz .LBB18_29
; %bb.28:                               ;   in Loop: Header=BB18_11 Depth=3
	v_add_co_u32 v34, s5, v22, v16
	s_wait_alu 0xf1ff
	v_add_co_ci_u32_e64 v35, null, v23, v17, s5
	global_load_b32 v34, v[34:35], off offset:64
	s_wait_loadcnt 0x0
	ds_store_b32 v41, v34 offset:2112
.LBB18_29:                              ;   in Loop: Header=BB18_11 Depth=3
	s_wait_alu 0xfffe
	s_and_not1_saveexec_b32 s5, s6
	s_cbranch_execz .LBB18_35
; %bb.30:                               ;   in Loop: Header=BB18_11 Depth=3
	s_xor_b32 s6, s63, -1
	s_wait_alu 0xfffe
	s_and_saveexec_b32 s7, s6
	s_wait_alu 0xfffe
	s_xor_b32 s6, exec_lo, s7
; %bb.31:                               ;   in Loop: Header=BB18_11 Depth=3
	ds_store_b32 v41, v45 offset:2112
; %bb.32:                               ;   in Loop: Header=BB18_11 Depth=3
	s_wait_alu 0xfffe
	s_and_not1_saveexec_b32 s6, s6
; %bb.33:                               ;   in Loop: Header=BB18_11 Depth=3
	ds_store_b32 v41, v46 offset:2112
; %bb.34:                               ;   in Loop: Header=BB18_11 Depth=3
	s_wait_alu 0xfffe
	s_or_b32 exec_lo, exec_lo, s6
.LBB18_35:                              ;   in Loop: Header=BB18_11 Depth=3
	s_wait_alu 0xfffe
	s_or_b32 exec_lo, exec_lo, s5
	v_add_co_u32 v34, s5, v8, s54
	s_wait_alu 0xf1ff
	v_add_co_ci_u32_e64 v35, null, s55, v9, s5
	v_add_co_u32 v36, s6, v32, v18
	s_wait_alu 0xf1ff
	v_add_co_ci_u32_e64 v37, null, v33, v19, s6
	s_delay_alu instid0(VALU_DEP_3)
	v_cmp_le_i64_e64 s5, s[42:43], v[34:35]
	v_mov_b32_e32 v55, 0
	s_nor_b32 s7, s5, s2
	s_wait_alu 0xfffe
	s_and_saveexec_b32 s6, s7
	s_cbranch_execz .LBB18_37
; %bb.36:                               ;   in Loop: Header=BB18_11 Depth=3
	global_load_b32 v55, v[36:37], off offset:-64
.LBB18_37:                              ;   in Loop: Header=BB18_11 Depth=3
	s_wait_alu 0xfffe
	s_or_b32 exec_lo, exec_lo, s6
	s_nor_b32 s5, s5, s3
	s_wait_loadcnt 0x0
	ds_store_b32 v42, v55
	s_wait_alu 0xfffe
	s_and_saveexec_b32 s6, s5
	s_wait_alu 0xfffe
	s_xor_b32 s5, exec_lo, s6
	s_cbranch_execz .LBB18_39
; %bb.38:                               ;   in Loop: Header=BB18_11 Depth=3
	global_load_b32 v36, v[36:37], off
	s_wait_loadcnt 0x0
	ds_store_b32 v42, v36 offset:64
.LBB18_39:                              ;   in Loop: Header=BB18_11 Depth=3
	s_wait_alu 0xfffe
	s_and_not1_saveexec_b32 s5, s5
; %bb.40:                               ;   in Loop: Header=BB18_11 Depth=3
	ds_store_b32 v42, v45 offset:64
; %bb.41:                               ;   in Loop: Header=BB18_11 Depth=3
	s_wait_alu 0xfffe
	s_or_b32 exec_lo, exec_lo, s5
	v_cmp_le_i64_e64 s5, s[50:51], v[34:35]
	v_add_co_u32 v34, s6, v32, v20
	s_wait_alu 0xf1ff
	v_add_co_ci_u32_e64 v35, null, v33, v21, s6
	v_mov_b32_e32 v36, 0
	s_delay_alu instid0(VALU_DEP_4)
	s_nor_b32 s7, s5, s2
	s_wait_alu 0xfffe
	s_and_saveexec_b32 s6, s7
	s_cbranch_execz .LBB18_43
; %bb.42:                               ;   in Loop: Header=BB18_11 Depth=3
	global_load_b32 v36, v[34:35], off offset:-64
.LBB18_43:                              ;   in Loop: Header=BB18_11 Depth=3
	s_wait_alu 0xfffe
	s_or_b32 exec_lo, exec_lo, s6
	s_nor_b32 s5, s5, s3
	s_wait_loadcnt 0x0
	ds_store_b32 v42, v36 offset:2048
	s_wait_alu 0xfffe
	s_and_saveexec_b32 s6, s5
	s_wait_alu 0xfffe
	s_xor_b32 s5, exec_lo, s6
	s_cbranch_execz .LBB18_45
; %bb.44:                               ;   in Loop: Header=BB18_11 Depth=3
	global_load_b32 v34, v[34:35], off
	s_wait_loadcnt 0x0
	ds_store_b32 v42, v34 offset:2112
.LBB18_45:                              ;   in Loop: Header=BB18_11 Depth=3
	s_wait_alu 0xfffe
	s_and_not1_saveexec_b32 s5, s5
	s_cbranch_execz .LBB18_10
; %bb.46:                               ;   in Loop: Header=BB18_11 Depth=3
	ds_store_b32 v42, v45 offset:2112
	s_branch .LBB18_10
.LBB18_47:                              ;   in Loop: Header=BB18_8 Depth=2
	v_dual_mov_b32 v54, 0 :: v_dual_mov_b32 v53, 0
	v_dual_mov_b32 v52, 0 :: v_dual_mov_b32 v51, 0
.LBB18_48:                              ;   in Loop: Header=BB18_8 Depth=2
	v_mul_lo_u32 v9, s29, v12
	v_mul_lo_u32 v11, s28, v13
	v_mad_co_u64_u32 v[13:14], null, s28, v12, 0
	v_cmp_gt_i32_e32 vcc_lo, s10, v12
	s_delay_alu instid0(VALU_DEP_2) | instskip(NEXT) | instid1(VALU_DEP_1)
	v_add3_u32 v14, v14, v11, v9
	v_lshlrev_b64_e32 v[13:14], 2, v[13:14]
	s_delay_alu instid0(VALU_DEP_1) | instskip(SKIP_1) | instid1(VALU_DEP_2)
	v_add_co_u32 v9, s4, s38, v13
	s_wait_alu 0xf1ff
	v_add_co_ci_u32_e64 v11, null, s39, v14, s4
	s_and_b32 s4, s0, vcc_lo
	s_wait_alu 0xfffe
	s_and_saveexec_b32 s5, s4
	s_cbranch_execz .LBB18_50
; %bb.49:                               ;   in Loop: Header=BB18_8 Depth=2
	v_add_co_u32 v13, s4, v9, v2
	s_wait_alu 0xf1ff
	v_add_co_ci_u32_e64 v14, null, v11, v3, s4
	global_load_b32 v15, v[13:14], off
	s_wait_loadcnt 0x0
	v_fmac_f32_e32 v15, v50, v54
	global_store_b32 v[13:14], v15, off
.LBB18_50:                              ;   in Loop: Header=BB18_8 Depth=2
	s_wait_alu 0xfffe
	s_or_b32 exec_lo, exec_lo, s5
	s_and_b32 s5, s1, vcc_lo
	s_wait_alu 0xfffe
	s_and_saveexec_b32 s4, s5
	s_cbranch_execz .LBB18_52
; %bb.51:                               ;   in Loop: Header=BB18_8 Depth=2
	v_lshlrev_b64_e32 v[13:14], 2, v[0:1]
	s_delay_alu instid0(VALU_DEP_1) | instskip(SKIP_1) | instid1(VALU_DEP_2)
	v_add_co_u32 v13, vcc_lo, v9, v13
	s_wait_alu 0xfffd
	v_add_co_ci_u32_e64 v14, null, v11, v14, vcc_lo
	global_load_b32 v9, v[13:14], off
	s_wait_loadcnt 0x0
	v_fmac_f32_e32 v9, v50, v53
	global_store_b32 v[13:14], v9, off
.LBB18_52:                              ;   in Loop: Header=BB18_8 Depth=2
	s_wait_alu 0xfffe
	s_or_b32 exec_lo, exec_lo, s4
	v_add_nc_u32_e32 v9, 16, v12
	s_delay_alu instid0(VALU_DEP_1) | instskip(SKIP_3) | instid1(VALU_DEP_4)
	v_ashrrev_i32_e32 v13, 31, v9
	v_mul_lo_u32 v14, s29, v9
	v_mad_co_u64_u32 v[11:12], null, s28, v9, 0
	v_cmp_gt_i32_e32 vcc_lo, s10, v9
	v_mul_lo_u32 v13, s28, v13
	s_delay_alu instid0(VALU_DEP_1) | instskip(NEXT) | instid1(VALU_DEP_1)
	v_add3_u32 v12, v12, v13, v14
	v_lshlrev_b64_e32 v[11:12], 2, v[11:12]
	s_delay_alu instid0(VALU_DEP_1) | instskip(SKIP_1) | instid1(VALU_DEP_2)
	v_add_co_u32 v9, s4, s38, v11
	s_wait_alu 0xf1ff
	v_add_co_ci_u32_e64 v11, null, s39, v12, s4
	s_and_b32 s4, s0, vcc_lo
	s_wait_alu 0xfffe
	s_and_saveexec_b32 s5, s4
	s_cbranch_execz .LBB18_54
; %bb.53:                               ;   in Loop: Header=BB18_8 Depth=2
	v_add_co_u32 v12, s4, v9, v2
	s_wait_alu 0xf1ff
	v_add_co_ci_u32_e64 v13, null, v11, v3, s4
	global_load_b32 v14, v[12:13], off
	s_wait_loadcnt 0x0
	v_fmac_f32_e32 v14, v50, v52
	global_store_b32 v[12:13], v14, off
.LBB18_54:                              ;   in Loop: Header=BB18_8 Depth=2
	s_wait_alu 0xfffe
	s_or_b32 exec_lo, exec_lo, s5
	s_and_b32 s5, s1, vcc_lo
	s_wait_alu 0xfffe
	s_and_saveexec_b32 s4, s5
	s_cbranch_execz .LBB18_7
; %bb.55:                               ;   in Loop: Header=BB18_8 Depth=2
	v_lshlrev_b64_e32 v[12:13], 2, v[0:1]
	s_delay_alu instid0(VALU_DEP_1) | instskip(SKIP_1) | instid1(VALU_DEP_2)
	v_add_co_u32 v12, vcc_lo, v9, v12
	s_wait_alu 0xfffd
	v_add_co_ci_u32_e64 v13, null, v11, v13, vcc_lo
	global_load_b32 v9, v[12:13], off
	s_wait_loadcnt 0x0
	v_fmac_f32_e32 v9, v50, v51
	global_store_b32 v[12:13], v9, off
	s_branch .LBB18_7
.LBB18_56:
	s_endpgm
	.section	.rodata,"a",@progbits
	.p2align	6, 0x0
	.amdhsa_kernel _ZL30rocblas_trmm_outofplace_kernelIfLi32ELi2ELb0ELb1ELb1ELb0EPKfS0_fEv17rocblas_diagonal_iiT6_lPT7_lllS5_lllPT8_llli
		.amdhsa_group_segment_fixed_size 8192
		.amdhsa_private_segment_fixed_size 0
		.amdhsa_kernarg_size 392
		.amdhsa_user_sgpr_count 2
		.amdhsa_user_sgpr_dispatch_ptr 0
		.amdhsa_user_sgpr_queue_ptr 0
		.amdhsa_user_sgpr_kernarg_segment_ptr 1
		.amdhsa_user_sgpr_dispatch_id 0
		.amdhsa_user_sgpr_private_segment_size 0
		.amdhsa_wavefront_size32 1
		.amdhsa_uses_dynamic_stack 0
		.amdhsa_enable_private_segment 0
		.amdhsa_system_sgpr_workgroup_id_x 1
		.amdhsa_system_sgpr_workgroup_id_y 1
		.amdhsa_system_sgpr_workgroup_id_z 1
		.amdhsa_system_sgpr_workgroup_info 0
		.amdhsa_system_vgpr_workitem_id 1
		.amdhsa_next_free_vgpr 95
		.amdhsa_next_free_sgpr 65
		.amdhsa_reserve_vcc 1
		.amdhsa_float_round_mode_32 0
		.amdhsa_float_round_mode_16_64 0
		.amdhsa_float_denorm_mode_32 3
		.amdhsa_float_denorm_mode_16_64 3
		.amdhsa_fp16_overflow 0
		.amdhsa_workgroup_processor_mode 1
		.amdhsa_memory_ordered 1
		.amdhsa_forward_progress 1
		.amdhsa_inst_pref_size 28
		.amdhsa_round_robin_scheduling 0
		.amdhsa_exception_fp_ieee_invalid_op 0
		.amdhsa_exception_fp_denorm_src 0
		.amdhsa_exception_fp_ieee_div_zero 0
		.amdhsa_exception_fp_ieee_overflow 0
		.amdhsa_exception_fp_ieee_underflow 0
		.amdhsa_exception_fp_ieee_inexact 0
		.amdhsa_exception_int_div_zero 0
	.end_amdhsa_kernel
	.section	.text._ZL30rocblas_trmm_outofplace_kernelIfLi32ELi2ELb0ELb1ELb1ELb0EPKfS0_fEv17rocblas_diagonal_iiT6_lPT7_lllS5_lllPT8_llli,"axG",@progbits,_ZL30rocblas_trmm_outofplace_kernelIfLi32ELi2ELb0ELb1ELb1ELb0EPKfS0_fEv17rocblas_diagonal_iiT6_lPT7_lllS5_lllPT8_llli,comdat
.Lfunc_end18:
	.size	_ZL30rocblas_trmm_outofplace_kernelIfLi32ELi2ELb0ELb1ELb1ELb0EPKfS0_fEv17rocblas_diagonal_iiT6_lPT7_lllS5_lllPT8_llli, .Lfunc_end18-_ZL30rocblas_trmm_outofplace_kernelIfLi32ELi2ELb0ELb1ELb1ELb0EPKfS0_fEv17rocblas_diagonal_iiT6_lPT7_lllS5_lllPT8_llli
                                        ; -- End function
	.set _ZL30rocblas_trmm_outofplace_kernelIfLi32ELi2ELb0ELb1ELb1ELb0EPKfS0_fEv17rocblas_diagonal_iiT6_lPT7_lllS5_lllPT8_llli.num_vgpr, 95
	.set _ZL30rocblas_trmm_outofplace_kernelIfLi32ELi2ELb0ELb1ELb1ELb0EPKfS0_fEv17rocblas_diagonal_iiT6_lPT7_lllS5_lllPT8_llli.num_agpr, 0
	.set _ZL30rocblas_trmm_outofplace_kernelIfLi32ELi2ELb0ELb1ELb1ELb0EPKfS0_fEv17rocblas_diagonal_iiT6_lPT7_lllS5_lllPT8_llli.numbered_sgpr, 65
	.set _ZL30rocblas_trmm_outofplace_kernelIfLi32ELi2ELb0ELb1ELb1ELb0EPKfS0_fEv17rocblas_diagonal_iiT6_lPT7_lllS5_lllPT8_llli.num_named_barrier, 0
	.set _ZL30rocblas_trmm_outofplace_kernelIfLi32ELi2ELb0ELb1ELb1ELb0EPKfS0_fEv17rocblas_diagonal_iiT6_lPT7_lllS5_lllPT8_llli.private_seg_size, 0
	.set _ZL30rocblas_trmm_outofplace_kernelIfLi32ELi2ELb0ELb1ELb1ELb0EPKfS0_fEv17rocblas_diagonal_iiT6_lPT7_lllS5_lllPT8_llli.uses_vcc, 1
	.set _ZL30rocblas_trmm_outofplace_kernelIfLi32ELi2ELb0ELb1ELb1ELb0EPKfS0_fEv17rocblas_diagonal_iiT6_lPT7_lllS5_lllPT8_llli.uses_flat_scratch, 0
	.set _ZL30rocblas_trmm_outofplace_kernelIfLi32ELi2ELb0ELb1ELb1ELb0EPKfS0_fEv17rocblas_diagonal_iiT6_lPT7_lllS5_lllPT8_llli.has_dyn_sized_stack, 0
	.set _ZL30rocblas_trmm_outofplace_kernelIfLi32ELi2ELb0ELb1ELb1ELb0EPKfS0_fEv17rocblas_diagonal_iiT6_lPT7_lllS5_lllPT8_llli.has_recursion, 0
	.set _ZL30rocblas_trmm_outofplace_kernelIfLi32ELi2ELb0ELb1ELb1ELb0EPKfS0_fEv17rocblas_diagonal_iiT6_lPT7_lllS5_lllPT8_llli.has_indirect_call, 0
	.section	.AMDGPU.csdata,"",@progbits
; Kernel info:
; codeLenInByte = 3572
; TotalNumSgprs: 67
; NumVgprs: 95
; ScratchSize: 0
; MemoryBound: 0
; FloatMode: 240
; IeeeMode: 1
; LDSByteSize: 8192 bytes/workgroup (compile time only)
; SGPRBlocks: 0
; VGPRBlocks: 11
; NumSGPRsForWavesPerEU: 67
; NumVGPRsForWavesPerEU: 95
; Occupancy: 16
; WaveLimiterHint : 0
; COMPUTE_PGM_RSRC2:SCRATCH_EN: 0
; COMPUTE_PGM_RSRC2:USER_SGPR: 2
; COMPUTE_PGM_RSRC2:TRAP_HANDLER: 0
; COMPUTE_PGM_RSRC2:TGID_X_EN: 1
; COMPUTE_PGM_RSRC2:TGID_Y_EN: 1
; COMPUTE_PGM_RSRC2:TGID_Z_EN: 1
; COMPUTE_PGM_RSRC2:TIDIG_COMP_CNT: 1
	.section	.text._ZL30rocblas_trmm_outofplace_kernelIfLi32ELi2ELb0ELb1ELb1ELb0EfKffEv17rocblas_diagonal_iiT6_lPT7_lllS4_lllPT8_llli,"axG",@progbits,_ZL30rocblas_trmm_outofplace_kernelIfLi32ELi2ELb0ELb1ELb1ELb0EfKffEv17rocblas_diagonal_iiT6_lPT7_lllS4_lllPT8_llli,comdat
	.globl	_ZL30rocblas_trmm_outofplace_kernelIfLi32ELi2ELb0ELb1ELb1ELb0EfKffEv17rocblas_diagonal_iiT6_lPT7_lllS4_lllPT8_llli ; -- Begin function _ZL30rocblas_trmm_outofplace_kernelIfLi32ELi2ELb0ELb1ELb1ELb0EfKffEv17rocblas_diagonal_iiT6_lPT7_lllS4_lllPT8_llli
	.p2align	8
	.type	_ZL30rocblas_trmm_outofplace_kernelIfLi32ELi2ELb0ELb1ELb1ELb0EfKffEv17rocblas_diagonal_iiT6_lPT7_lllS4_lllPT8_llli,@function
_ZL30rocblas_trmm_outofplace_kernelIfLi32ELi2ELb0ELb1ELb1ELb0EfKffEv17rocblas_diagonal_iiT6_lPT7_lllS4_lllPT8_llli: ; @_ZL30rocblas_trmm_outofplace_kernelIfLi32ELi2ELb0ELb1ELb1ELb0EfKffEv17rocblas_diagonal_iiT6_lPT7_lllS4_lllPT8_llli
; %bb.0:
	s_load_b32 s33, s[0:1], 0x78
	s_lshr_b32 s34, ttmp7, 16
	s_wait_kmcnt 0x0
	s_cmp_ge_u32 s34, s33
	s_cbranch_scc1 .LBB19_55
; %bb.1:
	s_load_b128 s[36:39], s[0:1], 0x0
	s_mov_b32 s35, 0
	s_wait_kmcnt 0x0
	s_cmp_eq_f32 s39, 0
	s_cbranch_scc1 .LBB19_55
; %bb.2:
	s_load_b256 s[24:31], s[0:1], 0x58
	s_add_co_i32 s2, s38, -1
	s_load_b512 s[8:23], s[0:1], 0x18
	v_dual_mov_b32 v45, 0 :: v_dual_and_b32 v6, 0x3ff, v0
	s_ashr_i32 s3, s2, 31
	v_bfe_u32 v38, v0, 10, 10
	s_lshr_b32 s3, s3, 27
	s_delay_alu instid0(VALU_DEP_2)
	v_lshl_add_u32 v2, ttmp9, 5, v6
	s_add_co_i32 s2, s2, s3
	s_and_b32 s52, ttmp7, 0xffff
	s_ashr_i32 s53, s2, 5
	v_lshlrev_b32_e32 v0, 2, v6
	s_cmp_le_i32 s52, s53
	v_ashrrev_i32_e32 v3, 31, v2
	s_cselect_b32 s54, -1, 0
	s_cmp_eq_u32 s36, 0x84
	v_dual_mov_b32 v46, 1.0 :: v_dual_lshlrev_b32 v39, 7, v38
	s_cselect_b32 s55, -1, 0
	s_ashr_i32 s2, s37, 31
	v_sub_co_u32 v4, vcc_lo, s37, v2
	s_delay_alu instid0(VALU_DEP_1)
	v_sub_co_ci_u32_e64 v5, null, s2, v3, vcc_lo
	s_wait_kmcnt 0x0
	s_lshl_b64 s[2:3], s[26:27], 2
	v_or_b32_e32 v40, 0x1000, v0
	v_add_nc_u32_e32 v41, v39, v0
	s_wait_alu 0xfffe
	s_add_nc_u64 s[24:25], s[24:25], s[2:3]
	v_add_nc_u32_e32 v0, 16, v2
	v_cmp_gt_i32_e64 s2, s37, v2
	s_lshl_b32 s4, s52, 5
	v_lshlrev_b64_e32 v[2:3], 2, v[2:3]
	v_add_nc_u32_e32 v43, s4, v6
	v_add_nc_u32_e32 v44, s4, v38
	s_lshl_b64 s[4:5], s[18:19], 2
	s_add_nc_u64 s[26:27], s[0:1], 0x80
	s_wait_alu 0xfffe
	s_add_nc_u64 s[4:5], s[16:17], s[4:5]
	v_cmp_gt_i64_e64 s0, 1, v[4:5]
	v_cmp_gt_i64_e64 s1, 17, v[4:5]
	s_wait_alu 0xfffe
	v_add_co_u32 v4, vcc_lo, s4, v2
	v_add_nc_u32_e32 v42, v40, v39
	v_cmp_gt_i32_e64 s3, s37, v0
	v_ashrrev_i32_e32 v1, 31, v0
	s_wait_alu 0xfffd
	v_add_co_ci_u32_e64 v5, null, s5, v3, vcc_lo
	v_add_nc_u32_e32 v47, 0x400, v40
	v_add_nc_u32_e32 v48, 0x800, v40
	;; [unrolled: 1-line block ×3, first 2 shown]
	s_ashr_i32 s41, s38, 31
	s_mov_b32 s40, s38
	s_lshl_b64 s[4:5], s[10:11], 2
	s_lshl_b64 s[42:43], s[12:13], 7
	;; [unrolled: 1-line block ×3, first 2 shown]
	s_add_nc_u64 s[46:47], s[40:41], -16
	s_lshl_b64 s[18:19], s[20:21], 2
	s_lshl_b64 s[16:17], s[22:23], 2
	s_wait_alu 0xfffe
	s_add_nc_u64 s[10:11], s[8:9], s[4:5]
	s_lshl_b64 s[14:15], s[14:15], 2
	s_lshl_b64 s[22:23], s[12:13], 2
	s_branch .LBB19_4
.LBB19_3:                               ;   in Loop: Header=BB19_4 Depth=1
	s_add_co_i32 s34, s34, 0x10000
	s_wait_alu 0xfffe
	s_cmp_ge_u32 s34, s33
	s_cbranch_scc1 .LBB19_55
.LBB19_4:                               ; =>This Loop Header: Depth=1
                                        ;     Child Loop BB19_7 Depth 2
                                        ;       Child Loop BB19_10 Depth 3
	s_and_not1_b32 vcc_lo, exec_lo, s54
	s_wait_alu 0xfffe
	s_cbranch_vccnz .LBB19_3
; %bb.5:                                ;   in Loop: Header=BB19_4 Depth=1
	s_load_b32 s56, s[26:27], 0x4
	v_mad_co_u64_u32 v[6:7], null, s16, s34, v[4:5]
	s_mul_u64 s[4:5], s[30:31], s[34:35]
	v_mov_b32_e32 v10, v43
	s_mul_u64 s[6:7], s[14:15], s[34:35]
	s_wait_alu 0xfffe
	s_lshl_b64 s[4:5], s[4:5], 2
	s_add_nc_u64 s[48:49], s[10:11], s[6:7]
	s_wait_alu 0xfffe
	s_add_nc_u64 s[36:37], s[24:25], s[4:5]
	v_mad_co_u64_u32 v[7:8], null, s17, s34, v[7:8]
	v_mov_b32_e32 v8, v44
	s_mov_b32 s58, s52
	s_wait_kmcnt 0x0
	s_lshl_b32 s57, s56, 5
	s_branch .LBB19_7
.LBB19_6:                               ;   in Loop: Header=BB19_7 Depth=2
	s_wait_alu 0xfffe
	s_or_b32 exec_lo, exec_lo, s4
	v_add_nc_u32_e32 v10, s57, v10
	v_add_nc_u32_e32 v8, s57, v8
	s_add_co_i32 s58, s56, s58
	s_delay_alu instid0(SALU_CYCLE_1)
	s_cmp_gt_i32 s58, s53
	s_cbranch_scc1 .LBB19_3
.LBB19_7:                               ;   Parent Loop BB19_4 Depth=1
                                        ; =>  This Loop Header: Depth=2
                                        ;       Child Loop BB19_10 Depth 3
	s_lshl_b32 s4, s58, 5
	v_ashrrev_i32_e32 v11, 31, v10
	s_wait_alu 0xfffe
	v_add_nc_u32_e32 v12, s4, v38
	v_ashrrev_i32_e32 v9, 31, v8
	s_sub_co_i32 s59, s38, s4
	s_delay_alu instid0(SALU_CYCLE_1) | instskip(NEXT) | instid1(VALU_DEP_2)
	s_cmp_lt_i32 s59, 1
	v_ashrrev_i32_e32 v13, 31, v12
	s_cbranch_scc1 .LBB19_46
; %bb.8:                                ;   in Loop: Header=BB19_7 Depth=2
	v_lshlrev_b64_e32 v[16:17], 2, v[8:9]
	v_lshlrev_b64_e32 v[20:21], 2, v[10:11]
	v_sub_co_u32 v14, vcc_lo, v8, v10
	s_wait_alu 0xfffd
	v_sub_co_ci_u32_e64 v15, null, v9, v11, vcc_lo
	s_delay_alu instid0(VALU_DEP_4)
	v_add_co_u32 v22, vcc_lo, v16, 64
	s_wait_alu 0xfffd
	v_add_co_ci_u32_e64 v23, null, 0, v17, vcc_lo
	v_add_co_u32 v24, vcc_lo, v20, 64
	v_mad_co_u64_u32 v[18:19], null, s18, v8, 64
	v_mul_lo_u32 v26, s18, v9
	v_mul_lo_u32 v27, s19, v8
	s_wait_alu 0xfffd
	v_add_co_ci_u32_e64 v25, null, 0, v21, vcc_lo
	v_mul_lo_u32 v28, s20, v23
	v_mul_lo_u32 v29, s21, v22
	v_mad_co_u64_u32 v[20:21], null, s20, v22, 64
	s_delay_alu instid0(VALU_DEP_4)
	v_mul_lo_u32 v30, s12, v25
	v_mul_lo_u32 v31, s13, v24
	v_mad_co_u64_u32 v[22:23], null, s12, v24, s[48:49]
	v_mad_co_u64_u32 v[24:25], null, s22, v10, s[48:49]
	v_mul_lo_u32 v32, s22, v11
	v_mul_lo_u32 v33, s23, v10
	v_add3_u32 v19, v27, v19, v26
	v_add_co_u32 v26, vcc_lo, v12, 16
	s_wait_alu 0xfffd
	v_add_co_ci_u32_e64 v27, null, 0, v13, vcc_lo
	v_add3_u32 v21, v29, v21, v28
	v_add_co_u32 v28, s5, v14, 16
	v_add3_u32 v23, v31, v23, v30
	s_wait_alu 0xf1ff
	v_add_co_ci_u32_e64 v29, null, 0, v15, s5
	v_add_co_u32 v30, s5, v14, -16
	v_add3_u32 v25, v33, v25, v32
	v_cmp_le_i64_e64 s4, s[40:41], v[26:27]
	v_dual_mov_b32 v50, 0 :: v_dual_mov_b32 v33, v7
	s_wait_alu 0xf1ff
	v_add_co_ci_u32_e64 v31, null, -1, v15, s5
	v_dual_mov_b32 v32, v6 :: v_dual_mov_b32 v51, 0
	v_dual_mov_b32 v52, 0 :: v_dual_mov_b32 v53, 0
	s_mov_b64 s[50:51], 0
	v_cmp_le_i32_e32 vcc_lo, s38, v12
	s_branch .LBB19_10
.LBB19_9:                               ;   in Loop: Header=BB19_10 Depth=3
	s_wait_alu 0xfffe
	s_or_b32 exec_lo, exec_lo, s5
	s_wait_dscnt 0x0
	s_barrier_signal -1
	s_barrier_wait -1
	global_inv scope:SCOPE_SE
	ds_load_b128 v[34:37], v39
	ds_load_2addr_b32 v[74:75], v40 offset1:16
	ds_load_b128 v[54:57], v39 offset:2048
	ds_load_2addr_b32 v[76:77], v40 offset0:32 offset1:48
	ds_load_b128 v[58:61], v39 offset:16
	ds_load_2addr_b32 v[78:79], v40 offset0:64 offset1:80
	ds_load_b128 v[62:65], v39 offset:32
	ds_load_b128 v[66:69], v39 offset:48
	ds_load_2addr_b32 v[80:81], v40 offset0:96 offset1:112
	ds_load_2addr_b32 v[82:83], v40 offset0:128 offset1:144
	ds_load_b128 v[70:73], v39 offset:2064
	ds_load_2addr_b32 v[84:85], v40 offset0:160 offset1:176
	ds_load_2addr_b32 v[86:87], v40 offset0:192 offset1:208
	ds_load_2addr_b32 v[88:89], v40 offset0:224 offset1:240
	ds_load_2addr_b32 v[90:91], v47 offset1:16
	ds_load_2addr_b32 v[92:93], v47 offset0:32 offset1:48
	v_add_co_u32 v32, s5, v32, s44
	s_wait_alu 0xf1ff
	v_add_co_ci_u32_e64 v33, null, s45, v33, s5
	v_add_co_u32 v22, s5, v22, s42
	s_wait_dscnt 0xe
	v_fmac_f32_e32 v52, v75, v34
	v_fmac_f32_e32 v53, v74, v34
	s_wait_dscnt 0xd
	v_fmac_f32_e32 v50, v75, v54
	v_fmac_f32_e32 v51, v74, v54
	ds_load_2addr_b32 v[74:75], v47 offset0:64 offset1:80
	s_wait_dscnt 0xd
	v_fmac_f32_e32 v52, v77, v35
	v_fmac_f32_e32 v53, v76, v35
	v_fmac_f32_e32 v50, v77, v55
	v_fmac_f32_e32 v51, v76, v55
	ds_load_2addr_b32 v[76:77], v47 offset0:96 offset1:112
	s_wait_dscnt 0xc
	v_fmac_f32_e32 v52, v79, v36
	v_fmac_f32_e32 v53, v78, v36
	;; [unrolled: 6-line block ×3, first 2 shown]
	v_fmac_f32_e32 v50, v81, v57
	v_fmac_f32_e32 v51, v80, v57
	ds_load_b128 v[34:37], v39 offset:2080
	ds_load_b128 v[54:57], v39 offset:2096
	s_wait_dscnt 0xb
	v_fmac_f32_e32 v52, v83, v58
	v_fmac_f32_e32 v53, v82, v58
	s_wait_dscnt 0xa
	v_fmac_f32_e32 v50, v83, v70
	v_fmac_f32_e32 v51, v82, v70
	ds_load_2addr_b32 v[80:81], v47 offset0:160 offset1:176
	s_wait_dscnt 0xa
	v_fmac_f32_e32 v52, v85, v59
	v_fmac_f32_e32 v53, v84, v59
	v_fmac_f32_e32 v50, v85, v71
	v_fmac_f32_e32 v51, v84, v71
	ds_load_2addr_b32 v[82:83], v47 offset0:192 offset1:208
	s_wait_dscnt 0xa
	v_fmac_f32_e32 v52, v87, v60
	v_fmac_f32_e32 v53, v86, v60
	;; [unrolled: 6-line block ×3, first 2 shown]
	v_fmac_f32_e32 v50, v89, v73
	v_fmac_f32_e32 v51, v88, v73
	ds_load_b128 v[58:61], v39 offset:64
	s_wait_dscnt 0xa
	v_fmac_f32_e32 v52, v91, v62
	v_fmac_f32_e32 v53, v90, v62
	s_wait_dscnt 0x5
	v_fmac_f32_e32 v50, v91, v34
	v_fmac_f32_e32 v51, v90, v34
	ds_load_2addr_b32 v[86:87], v48 offset1:16
	v_fmac_f32_e32 v52, v93, v63
	v_fmac_f32_e32 v53, v92, v63
	;; [unrolled: 1-line block ×4, first 2 shown]
	ds_load_b128 v[70:73], v39 offset:2112
	v_fmac_f32_e32 v52, v75, v64
	v_fmac_f32_e32 v53, v74, v64
	;; [unrolled: 1-line block ×4, first 2 shown]
	ds_load_2addr_b32 v[62:63], v48 offset0:32 offset1:48
	v_fmac_f32_e32 v52, v77, v65
	v_fmac_f32_e32 v53, v76, v65
	v_fmac_f32_e32 v50, v77, v37
	v_fmac_f32_e32 v51, v76, v37
	ds_load_2addr_b32 v[64:65], v48 offset0:64 offset1:80
	v_fmac_f32_e32 v52, v79, v66
	v_fmac_f32_e32 v53, v78, v66
	s_wait_dscnt 0x8
	v_fmac_f32_e32 v50, v79, v54
	v_fmac_f32_e32 v51, v78, v54
	ds_load_2addr_b32 v[74:75], v48 offset0:96 offset1:112
	s_wait_dscnt 0x8
	v_fmac_f32_e32 v52, v81, v67
	v_fmac_f32_e32 v53, v80, v67
	;; [unrolled: 1-line block ×4, first 2 shown]
	ds_load_b128 v[34:37], v39 offset:80
	s_wait_dscnt 0x8
	v_fmac_f32_e32 v52, v83, v68
	v_fmac_f32_e32 v53, v82, v68
	;; [unrolled: 1-line block ×4, first 2 shown]
	ds_load_2addr_b32 v[66:67], v48 offset0:128 offset1:144
	s_wait_dscnt 0x8
	v_fmac_f32_e32 v52, v85, v69
	v_fmac_f32_e32 v53, v84, v69
	;; [unrolled: 1-line block ×4, first 2 shown]
	ds_load_b128 v[54:57], v39 offset:2128
	s_wait_dscnt 0x7
	v_fmac_f32_e32 v52, v87, v58
	v_fmac_f32_e32 v53, v86, v58
	s_wait_dscnt 0x6
	v_fmac_f32_e32 v50, v87, v70
	v_fmac_f32_e32 v51, v86, v70
	ds_load_2addr_b32 v[68:69], v48 offset0:160 offset1:176
	s_wait_dscnt 0x6
	v_fmac_f32_e32 v52, v63, v59
	v_fmac_f32_e32 v53, v62, v59
	v_fmac_f32_e32 v50, v63, v71
	v_fmac_f32_e32 v51, v62, v71
	ds_load_2addr_b32 v[70:71], v48 offset0:192 offset1:208
	s_wait_dscnt 0x6
	v_fmac_f32_e32 v52, v65, v60
	v_fmac_f32_e32 v53, v64, v60
	;; [unrolled: 6-line block ×3, first 2 shown]
	v_fmac_f32_e32 v50, v75, v73
	v_fmac_f32_e32 v51, v74, v73
	ds_load_b128 v[58:61], v39 offset:96
	ds_load_2addr_b32 v[72:73], v49 offset1:16
	s_wait_dscnt 0x6
	v_fmac_f32_e32 v52, v67, v34
	v_fmac_f32_e32 v53, v66, v34
	s_wait_dscnt 0x5
	v_fmac_f32_e32 v50, v67, v54
	v_fmac_f32_e32 v51, v66, v54
	ds_load_b128 v[62:65], v39 offset:2144
	s_wait_dscnt 0x5
	v_fmac_f32_e32 v52, v69, v35
	v_fmac_f32_e32 v53, v68, v35
	ds_load_2addr_b32 v[66:67], v49 offset0:32 offset1:48
	v_fmac_f32_e32 v50, v69, v55
	s_wait_dscnt 0x5
	v_dual_fmac_f32 v51, v68, v55 :: v_dual_fmac_f32 v52, v71, v36
	v_fmac_f32_e32 v53, v70, v36
	ds_load_2addr_b32 v[68:69], v49 offset0:64 offset1:80
	v_fmac_f32_e32 v50, v71, v56
	s_wait_dscnt 0x5
	v_dual_fmac_f32 v51, v70, v56 :: v_dual_fmac_f32 v52, v77, v37
	v_fmac_f32_e32 v53, v76, v37
	ds_load_2addr_b32 v[70:71], v49 offset0:96 offset1:112
	v_fmac_f32_e32 v50, v77, v57
	v_fmac_f32_e32 v51, v76, v57
	ds_load_b128 v[34:37], v39 offset:112
	s_wait_dscnt 0x5
	v_fmac_f32_e32 v52, v73, v58
	v_fmac_f32_e32 v53, v72, v58
	ds_load_2addr_b32 v[74:75], v49 offset0:128 offset1:144
	ds_load_b128 v[54:57], v39 offset:2160
	s_wait_dscnt 0x6
	v_fmac_f32_e32 v50, v73, v62
	v_fmac_f32_e32 v51, v72, v62
	ds_load_2addr_b32 v[72:73], v49 offset0:160 offset1:176
	s_wait_dscnt 0x6
	v_fmac_f32_e32 v52, v67, v59
	v_fmac_f32_e32 v53, v66, v59
	v_fmac_f32_e32 v50, v67, v63
	v_fmac_f32_e32 v51, v66, v63
	ds_load_2addr_b32 v[58:59], v49 offset0:192 offset1:208
	s_wait_dscnt 0x6
	v_fmac_f32_e32 v52, v69, v60
	v_fmac_f32_e32 v53, v68, v60
	;; [unrolled: 6-line block ×3, first 2 shown]
	v_fmac_f32_e32 v50, v71, v65
	v_fmac_f32_e32 v51, v70, v65
	s_wait_alu 0xf1ff
	v_add_co_ci_u32_e64 v23, null, s43, v23, s5
	s_wait_dscnt 0x4
	v_fmac_f32_e32 v52, v75, v34
	v_fmac_f32_e32 v53, v74, v34
	s_wait_dscnt 0x3
	v_fmac_f32_e32 v50, v75, v54
	v_fmac_f32_e32 v51, v74, v54
	v_add_co_u32 v24, s5, v24, s42
	s_wait_dscnt 0x2
	v_fmac_f32_e32 v52, v73, v35
	v_fmac_f32_e32 v53, v72, v35
	;; [unrolled: 1-line block ×4, first 2 shown]
	s_wait_alu 0xf1ff
	v_add_co_ci_u32_e64 v25, null, s43, v25, s5
	s_wait_dscnt 0x1
	v_fmac_f32_e32 v52, v59, v36
	v_fmac_f32_e32 v53, v58, v36
	;; [unrolled: 1-line block ×4, first 2 shown]
	s_add_nc_u64 s[50:51], s[50:51], 32
	s_wait_dscnt 0x0
	v_fmac_f32_e32 v52, v63, v37
	v_fmac_f32_e32 v53, v62, v37
	;; [unrolled: 1-line block ×4, first 2 shown]
	s_wait_alu 0xfffe
	s_cmp_ge_i32 s50, s59
	s_wait_loadcnt 0x0
	s_barrier_signal -1
	s_barrier_wait -1
	global_inv scope:SCOPE_SE
	s_cbranch_scc1 .LBB19_47
.LBB19_10:                              ;   Parent Loop BB19_4 Depth=1
                                        ;     Parent Loop BB19_7 Depth=2
                                        ; =>    This Inner Loop Header: Depth=3
	s_wait_alu 0xfffe
	v_add_co_u32 v34, s5, v10, s50
	s_wait_alu 0xf1ff
	v_add_co_ci_u32_e64 v35, null, s51, v11, s5
	v_cmp_eq_u64_e64 s7, s[50:51], v[14:15]
	v_add_co_u32 v36, s8, v24, v16
	s_delay_alu instid0(VALU_DEP_3)
	v_cmp_lt_i64_e64 s5, v[34:35], v[12:13]
	v_cmp_le_i64_e64 s6, s[40:41], v[34:35]
	s_wait_alu 0xf1ff
	v_add_co_ci_u32_e64 v37, null, v25, v17, s8
	s_and_b32 s60, s55, s7
                                        ; implicit-def: $vgpr54
	s_or_b32 s8, vcc_lo, s5
	s_wait_alu 0xfffe
	s_or_b32 s7, s6, s8
	s_wait_alu 0xfffe
	s_nor_b32 s7, s7, s60
	s_wait_alu 0xfffe
	s_and_saveexec_b32 s8, s7
	s_wait_alu 0xfffe
	s_xor_b32 s7, exec_lo, s8
	s_cbranch_execz .LBB19_12
; %bb.11:                               ;   in Loop: Header=BB19_10 Depth=3
	global_load_b32 v54, v[36:37], off
.LBB19_12:                              ;   in Loop: Header=BB19_10 Depth=3
	s_wait_alu 0xfffe
	s_and_not1_saveexec_b32 s7, s7
	s_cbranch_execz .LBB19_14
; %bb.13:                               ;   in Loop: Header=BB19_10 Depth=3
	s_wait_loadcnt 0x0
	v_cndmask_b32_e64 v54, 0, 1.0, s60
.LBB19_14:                              ;   in Loop: Header=BB19_10 Depth=3
	s_wait_alu 0xfffe
	s_or_b32 exec_lo, exec_lo, s7
	v_add_co_u32 v55, s7, v34, 16
	s_wait_alu 0xf1ff
	v_add_co_ci_u32_e64 v56, null, 0, v35, s7
	v_cmp_eq_u64_e64 s9, s[50:51], v[30:31]
	s_wait_loadcnt 0x0
	ds_store_b32 v41, v54
	v_cmp_lt_i64_e64 s8, v[55:56], v[12:13]
	v_cmp_le_i64_e64 s7, s[40:41], v[55:56]
	s_and_b32 s9, s55, s9
	s_or_b32 s8, vcc_lo, s8
	s_wait_alu 0xfffe
	s_or_b32 s8, s7, s8
	s_wait_alu 0xfffe
	s_nor_b32 s8, s8, s9
	s_wait_alu 0xfffe
	s_and_saveexec_b32 s61, s8
	s_wait_alu 0xfffe
	s_xor_b32 s61, exec_lo, s61
	s_cbranch_execz .LBB19_16
; %bb.15:                               ;   in Loop: Header=BB19_10 Depth=3
	v_add_co_u32 v54, s8, v22, v16
	s_wait_alu 0xf1ff
	v_add_co_ci_u32_e64 v55, null, v23, v17, s8
	global_load_b32 v54, v[54:55], off
	s_wait_loadcnt 0x0
	ds_store_b32 v41, v54 offset:64
.LBB19_16:                              ;   in Loop: Header=BB19_10 Depth=3
	s_wait_alu 0xfffe
	s_and_not1_saveexec_b32 s8, s61
	s_cbranch_execz .LBB19_22
; %bb.17:                               ;   in Loop: Header=BB19_10 Depth=3
	s_xor_b32 s9, s9, -1
	s_wait_alu 0xfffe
	s_and_saveexec_b32 s61, s9
	s_wait_alu 0xfffe
	s_xor_b32 s9, exec_lo, s61
; %bb.18:                               ;   in Loop: Header=BB19_10 Depth=3
	ds_store_b32 v41, v45 offset:64
; %bb.19:                               ;   in Loop: Header=BB19_10 Depth=3
	s_wait_alu 0xfffe
	s_and_not1_saveexec_b32 s9, s9
; %bb.20:                               ;   in Loop: Header=BB19_10 Depth=3
	ds_store_b32 v41, v46 offset:64
; %bb.21:                               ;   in Loop: Header=BB19_10 Depth=3
	s_wait_alu 0xfffe
	s_or_b32 exec_lo, exec_lo, s9
.LBB19_22:                              ;   in Loop: Header=BB19_10 Depth=3
	s_wait_alu 0xfffe
	s_or_b32 exec_lo, exec_lo, s8
	v_cmp_eq_u64_e64 s8, s[50:51], v[28:29]
	v_cmp_lt_i64_e64 s9, v[34:35], v[26:27]
                                        ; implicit-def: $vgpr34
	s_and_b32 s8, s55, s8
	s_or_b32 s9, s4, s9
	s_wait_alu 0xfffe
	s_or_b32 s9, s9, s8
	s_wait_alu 0xfffe
	s_nor_b32 s6, s6, s9
	s_wait_alu 0xfffe
	s_and_saveexec_b32 s9, s6
	s_wait_alu 0xfffe
	s_xor_b32 s6, exec_lo, s9
	s_cbranch_execz .LBB19_24
; %bb.23:                               ;   in Loop: Header=BB19_10 Depth=3
	global_load_b32 v34, v[36:37], off offset:64
.LBB19_24:                              ;   in Loop: Header=BB19_10 Depth=3
	s_wait_alu 0xfffe
	s_and_not1_saveexec_b32 s6, s6
	s_cbranch_execz .LBB19_26
; %bb.25:                               ;   in Loop: Header=BB19_10 Depth=3
	s_wait_loadcnt 0x0
	v_cndmask_b32_e64 v34, 0, 1.0, s8
.LBB19_26:                              ;   in Loop: Header=BB19_10 Depth=3
	s_wait_alu 0xfffe
	s_or_b32 exec_lo, exec_lo, s6
	s_or_b32 s5, s4, s5
	s_wait_loadcnt 0x0
	ds_store_b32 v41, v34 offset:2048
	s_wait_alu 0xfffe
	s_or_b32 s5, s7, s5
	s_wait_alu 0xfffe
	s_nor_b32 s5, s5, s60
	s_wait_alu 0xfffe
	s_and_saveexec_b32 s6, s5
	s_wait_alu 0xfffe
	s_xor_b32 s6, exec_lo, s6
	s_cbranch_execz .LBB19_28
; %bb.27:                               ;   in Loop: Header=BB19_10 Depth=3
	v_add_co_u32 v34, s5, v22, v16
	s_wait_alu 0xf1ff
	v_add_co_ci_u32_e64 v35, null, v23, v17, s5
	global_load_b32 v34, v[34:35], off offset:64
	s_wait_loadcnt 0x0
	ds_store_b32 v41, v34 offset:2112
.LBB19_28:                              ;   in Loop: Header=BB19_10 Depth=3
	s_wait_alu 0xfffe
	s_and_not1_saveexec_b32 s5, s6
	s_cbranch_execz .LBB19_34
; %bb.29:                               ;   in Loop: Header=BB19_10 Depth=3
	s_xor_b32 s6, s60, -1
	s_wait_alu 0xfffe
	s_and_saveexec_b32 s7, s6
	s_wait_alu 0xfffe
	s_xor_b32 s6, exec_lo, s7
; %bb.30:                               ;   in Loop: Header=BB19_10 Depth=3
	ds_store_b32 v41, v45 offset:2112
; %bb.31:                               ;   in Loop: Header=BB19_10 Depth=3
	s_wait_alu 0xfffe
	s_and_not1_saveexec_b32 s6, s6
; %bb.32:                               ;   in Loop: Header=BB19_10 Depth=3
	ds_store_b32 v41, v46 offset:2112
; %bb.33:                               ;   in Loop: Header=BB19_10 Depth=3
	s_wait_alu 0xfffe
	s_or_b32 exec_lo, exec_lo, s6
.LBB19_34:                              ;   in Loop: Header=BB19_10 Depth=3
	s_wait_alu 0xfffe
	s_or_b32 exec_lo, exec_lo, s5
	v_add_co_u32 v34, s5, v8, s50
	s_wait_alu 0xf1ff
	v_add_co_ci_u32_e64 v35, null, s51, v9, s5
	v_add_co_u32 v36, s6, v32, v18
	s_wait_alu 0xf1ff
	v_add_co_ci_u32_e64 v37, null, v33, v19, s6
	s_delay_alu instid0(VALU_DEP_3)
	v_cmp_le_i64_e64 s5, s[40:41], v[34:35]
	v_mov_b32_e32 v54, 0
	s_nor_b32 s7, s5, s0
	s_wait_alu 0xfffe
	s_and_saveexec_b32 s6, s7
	s_cbranch_execz .LBB19_36
; %bb.35:                               ;   in Loop: Header=BB19_10 Depth=3
	global_load_b32 v54, v[36:37], off offset:-64
.LBB19_36:                              ;   in Loop: Header=BB19_10 Depth=3
	s_wait_alu 0xfffe
	s_or_b32 exec_lo, exec_lo, s6
	s_nor_b32 s5, s5, s1
	s_wait_loadcnt 0x0
	ds_store_b32 v42, v54
	s_wait_alu 0xfffe
	s_and_saveexec_b32 s6, s5
	s_wait_alu 0xfffe
	s_xor_b32 s5, exec_lo, s6
	s_cbranch_execz .LBB19_38
; %bb.37:                               ;   in Loop: Header=BB19_10 Depth=3
	global_load_b32 v36, v[36:37], off
	s_wait_loadcnt 0x0
	ds_store_b32 v42, v36 offset:64
.LBB19_38:                              ;   in Loop: Header=BB19_10 Depth=3
	s_wait_alu 0xfffe
	s_and_not1_saveexec_b32 s5, s5
; %bb.39:                               ;   in Loop: Header=BB19_10 Depth=3
	ds_store_b32 v42, v45 offset:64
; %bb.40:                               ;   in Loop: Header=BB19_10 Depth=3
	s_wait_alu 0xfffe
	s_or_b32 exec_lo, exec_lo, s5
	v_cmp_le_i64_e64 s5, s[46:47], v[34:35]
	v_add_co_u32 v34, s6, v32, v20
	s_wait_alu 0xf1ff
	v_add_co_ci_u32_e64 v35, null, v33, v21, s6
	v_mov_b32_e32 v36, 0
	s_delay_alu instid0(VALU_DEP_4)
	s_nor_b32 s7, s5, s0
	s_wait_alu 0xfffe
	s_and_saveexec_b32 s6, s7
	s_cbranch_execz .LBB19_42
; %bb.41:                               ;   in Loop: Header=BB19_10 Depth=3
	global_load_b32 v36, v[34:35], off offset:-64
.LBB19_42:                              ;   in Loop: Header=BB19_10 Depth=3
	s_wait_alu 0xfffe
	s_or_b32 exec_lo, exec_lo, s6
	s_nor_b32 s5, s5, s1
	s_wait_loadcnt 0x0
	ds_store_b32 v42, v36 offset:2048
	s_wait_alu 0xfffe
	s_and_saveexec_b32 s6, s5
	s_wait_alu 0xfffe
	s_xor_b32 s5, exec_lo, s6
	s_cbranch_execz .LBB19_44
; %bb.43:                               ;   in Loop: Header=BB19_10 Depth=3
	global_load_b32 v34, v[34:35], off
	s_wait_loadcnt 0x0
	ds_store_b32 v42, v34 offset:2112
.LBB19_44:                              ;   in Loop: Header=BB19_10 Depth=3
	s_wait_alu 0xfffe
	s_and_not1_saveexec_b32 s5, s5
	s_cbranch_execz .LBB19_9
; %bb.45:                               ;   in Loop: Header=BB19_10 Depth=3
	ds_store_b32 v42, v45 offset:2112
	s_branch .LBB19_9
.LBB19_46:                              ;   in Loop: Header=BB19_7 Depth=2
	v_dual_mov_b32 v53, 0 :: v_dual_mov_b32 v52, 0
	v_dual_mov_b32 v51, 0 :: v_dual_mov_b32 v50, 0
.LBB19_47:                              ;   in Loop: Header=BB19_7 Depth=2
	v_mul_lo_u32 v9, s29, v12
	v_mul_lo_u32 v11, s28, v13
	v_mad_co_u64_u32 v[13:14], null, s28, v12, 0
	v_cmp_gt_i32_e32 vcc_lo, s38, v12
	s_delay_alu instid0(VALU_DEP_2) | instskip(NEXT) | instid1(VALU_DEP_1)
	v_add3_u32 v14, v14, v11, v9
	v_lshlrev_b64_e32 v[13:14], 2, v[13:14]
	s_delay_alu instid0(VALU_DEP_1) | instskip(SKIP_1) | instid1(VALU_DEP_2)
	v_add_co_u32 v9, s4, s36, v13
	s_wait_alu 0xf1ff
	v_add_co_ci_u32_e64 v11, null, s37, v14, s4
	s_and_b32 s4, s2, vcc_lo
	s_wait_alu 0xfffe
	s_and_saveexec_b32 s5, s4
	s_cbranch_execz .LBB19_49
; %bb.48:                               ;   in Loop: Header=BB19_7 Depth=2
	v_add_co_u32 v13, s4, v9, v2
	s_wait_alu 0xf1ff
	v_add_co_ci_u32_e64 v14, null, v11, v3, s4
	global_load_b32 v15, v[13:14], off
	s_wait_loadcnt 0x0
	v_fmac_f32_e32 v15, s39, v53
	global_store_b32 v[13:14], v15, off
.LBB19_49:                              ;   in Loop: Header=BB19_7 Depth=2
	s_wait_alu 0xfffe
	s_or_b32 exec_lo, exec_lo, s5
	s_and_b32 s5, s3, vcc_lo
	s_wait_alu 0xfffe
	s_and_saveexec_b32 s4, s5
	s_cbranch_execz .LBB19_51
; %bb.50:                               ;   in Loop: Header=BB19_7 Depth=2
	v_lshlrev_b64_e32 v[13:14], 2, v[0:1]
	s_delay_alu instid0(VALU_DEP_1) | instskip(SKIP_1) | instid1(VALU_DEP_2)
	v_add_co_u32 v13, vcc_lo, v9, v13
	s_wait_alu 0xfffd
	v_add_co_ci_u32_e64 v14, null, v11, v14, vcc_lo
	global_load_b32 v9, v[13:14], off
	s_wait_loadcnt 0x0
	v_fmac_f32_e32 v9, s39, v52
	global_store_b32 v[13:14], v9, off
.LBB19_51:                              ;   in Loop: Header=BB19_7 Depth=2
	s_wait_alu 0xfffe
	s_or_b32 exec_lo, exec_lo, s4
	v_add_nc_u32_e32 v9, 16, v12
	s_delay_alu instid0(VALU_DEP_1) | instskip(SKIP_3) | instid1(VALU_DEP_4)
	v_ashrrev_i32_e32 v13, 31, v9
	v_mul_lo_u32 v14, s29, v9
	v_mad_co_u64_u32 v[11:12], null, s28, v9, 0
	v_cmp_gt_i32_e32 vcc_lo, s38, v9
	v_mul_lo_u32 v13, s28, v13
	s_delay_alu instid0(VALU_DEP_1) | instskip(NEXT) | instid1(VALU_DEP_1)
	v_add3_u32 v12, v12, v13, v14
	v_lshlrev_b64_e32 v[11:12], 2, v[11:12]
	s_delay_alu instid0(VALU_DEP_1) | instskip(SKIP_1) | instid1(VALU_DEP_2)
	v_add_co_u32 v9, s4, s36, v11
	s_wait_alu 0xf1ff
	v_add_co_ci_u32_e64 v11, null, s37, v12, s4
	s_and_b32 s4, s2, vcc_lo
	s_wait_alu 0xfffe
	s_and_saveexec_b32 s5, s4
	s_cbranch_execz .LBB19_53
; %bb.52:                               ;   in Loop: Header=BB19_7 Depth=2
	v_add_co_u32 v12, s4, v9, v2
	s_wait_alu 0xf1ff
	v_add_co_ci_u32_e64 v13, null, v11, v3, s4
	global_load_b32 v14, v[12:13], off
	s_wait_loadcnt 0x0
	v_fmac_f32_e32 v14, s39, v51
	global_store_b32 v[12:13], v14, off
.LBB19_53:                              ;   in Loop: Header=BB19_7 Depth=2
	s_wait_alu 0xfffe
	s_or_b32 exec_lo, exec_lo, s5
	s_and_b32 s5, s3, vcc_lo
	s_wait_alu 0xfffe
	s_and_saveexec_b32 s4, s5
	s_cbranch_execz .LBB19_6
; %bb.54:                               ;   in Loop: Header=BB19_7 Depth=2
	v_lshlrev_b64_e32 v[12:13], 2, v[0:1]
	s_delay_alu instid0(VALU_DEP_1) | instskip(SKIP_1) | instid1(VALU_DEP_2)
	v_add_co_u32 v12, vcc_lo, v9, v12
	s_wait_alu 0xfffd
	v_add_co_ci_u32_e64 v13, null, v11, v13, vcc_lo
	global_load_b32 v9, v[12:13], off
	s_wait_loadcnt 0x0
	v_fmac_f32_e32 v9, s39, v50
	global_store_b32 v[12:13], v9, off
	s_branch .LBB19_6
.LBB19_55:
	s_endpgm
	.section	.rodata,"a",@progbits
	.p2align	6, 0x0
	.amdhsa_kernel _ZL30rocblas_trmm_outofplace_kernelIfLi32ELi2ELb0ELb1ELb1ELb0EfKffEv17rocblas_diagonal_iiT6_lPT7_lllS4_lllPT8_llli
		.amdhsa_group_segment_fixed_size 8192
		.amdhsa_private_segment_fixed_size 0
		.amdhsa_kernarg_size 384
		.amdhsa_user_sgpr_count 2
		.amdhsa_user_sgpr_dispatch_ptr 0
		.amdhsa_user_sgpr_queue_ptr 0
		.amdhsa_user_sgpr_kernarg_segment_ptr 1
		.amdhsa_user_sgpr_dispatch_id 0
		.amdhsa_user_sgpr_private_segment_size 0
		.amdhsa_wavefront_size32 1
		.amdhsa_uses_dynamic_stack 0
		.amdhsa_enable_private_segment 0
		.amdhsa_system_sgpr_workgroup_id_x 1
		.amdhsa_system_sgpr_workgroup_id_y 1
		.amdhsa_system_sgpr_workgroup_id_z 1
		.amdhsa_system_sgpr_workgroup_info 0
		.amdhsa_system_vgpr_workitem_id 1
		.amdhsa_next_free_vgpr 94
		.amdhsa_next_free_sgpr 62
		.amdhsa_reserve_vcc 1
		.amdhsa_float_round_mode_32 0
		.amdhsa_float_round_mode_16_64 0
		.amdhsa_float_denorm_mode_32 3
		.amdhsa_float_denorm_mode_16_64 3
		.amdhsa_fp16_overflow 0
		.amdhsa_workgroup_processor_mode 1
		.amdhsa_memory_ordered 1
		.amdhsa_forward_progress 1
		.amdhsa_inst_pref_size 28
		.amdhsa_round_robin_scheduling 0
		.amdhsa_exception_fp_ieee_invalid_op 0
		.amdhsa_exception_fp_denorm_src 0
		.amdhsa_exception_fp_ieee_div_zero 0
		.amdhsa_exception_fp_ieee_overflow 0
		.amdhsa_exception_fp_ieee_underflow 0
		.amdhsa_exception_fp_ieee_inexact 0
		.amdhsa_exception_int_div_zero 0
	.end_amdhsa_kernel
	.section	.text._ZL30rocblas_trmm_outofplace_kernelIfLi32ELi2ELb0ELb1ELb1ELb0EfKffEv17rocblas_diagonal_iiT6_lPT7_lllS4_lllPT8_llli,"axG",@progbits,_ZL30rocblas_trmm_outofplace_kernelIfLi32ELi2ELb0ELb1ELb1ELb0EfKffEv17rocblas_diagonal_iiT6_lPT7_lllS4_lllPT8_llli,comdat
.Lfunc_end19:
	.size	_ZL30rocblas_trmm_outofplace_kernelIfLi32ELi2ELb0ELb1ELb1ELb0EfKffEv17rocblas_diagonal_iiT6_lPT7_lllS4_lllPT8_llli, .Lfunc_end19-_ZL30rocblas_trmm_outofplace_kernelIfLi32ELi2ELb0ELb1ELb1ELb0EfKffEv17rocblas_diagonal_iiT6_lPT7_lllS4_lllPT8_llli
                                        ; -- End function
	.set _ZL30rocblas_trmm_outofplace_kernelIfLi32ELi2ELb0ELb1ELb1ELb0EfKffEv17rocblas_diagonal_iiT6_lPT7_lllS4_lllPT8_llli.num_vgpr, 94
	.set _ZL30rocblas_trmm_outofplace_kernelIfLi32ELi2ELb0ELb1ELb1ELb0EfKffEv17rocblas_diagonal_iiT6_lPT7_lllS4_lllPT8_llli.num_agpr, 0
	.set _ZL30rocblas_trmm_outofplace_kernelIfLi32ELi2ELb0ELb1ELb1ELb0EfKffEv17rocblas_diagonal_iiT6_lPT7_lllS4_lllPT8_llli.numbered_sgpr, 62
	.set _ZL30rocblas_trmm_outofplace_kernelIfLi32ELi2ELb0ELb1ELb1ELb0EfKffEv17rocblas_diagonal_iiT6_lPT7_lllS4_lllPT8_llli.num_named_barrier, 0
	.set _ZL30rocblas_trmm_outofplace_kernelIfLi32ELi2ELb0ELb1ELb1ELb0EfKffEv17rocblas_diagonal_iiT6_lPT7_lllS4_lllPT8_llli.private_seg_size, 0
	.set _ZL30rocblas_trmm_outofplace_kernelIfLi32ELi2ELb0ELb1ELb1ELb0EfKffEv17rocblas_diagonal_iiT6_lPT7_lllS4_lllPT8_llli.uses_vcc, 1
	.set _ZL30rocblas_trmm_outofplace_kernelIfLi32ELi2ELb0ELb1ELb1ELb0EfKffEv17rocblas_diagonal_iiT6_lPT7_lllS4_lllPT8_llli.uses_flat_scratch, 0
	.set _ZL30rocblas_trmm_outofplace_kernelIfLi32ELi2ELb0ELb1ELb1ELb0EfKffEv17rocblas_diagonal_iiT6_lPT7_lllS4_lllPT8_llli.has_dyn_sized_stack, 0
	.set _ZL30rocblas_trmm_outofplace_kernelIfLi32ELi2ELb0ELb1ELb1ELb0EfKffEv17rocblas_diagonal_iiT6_lPT7_lllS4_lllPT8_llli.has_recursion, 0
	.set _ZL30rocblas_trmm_outofplace_kernelIfLi32ELi2ELb0ELb1ELb1ELb0EfKffEv17rocblas_diagonal_iiT6_lPT7_lllS4_lllPT8_llli.has_indirect_call, 0
	.section	.AMDGPU.csdata,"",@progbits
; Kernel info:
; codeLenInByte = 3516
; TotalNumSgprs: 64
; NumVgprs: 94
; ScratchSize: 0
; MemoryBound: 0
; FloatMode: 240
; IeeeMode: 1
; LDSByteSize: 8192 bytes/workgroup (compile time only)
; SGPRBlocks: 0
; VGPRBlocks: 11
; NumSGPRsForWavesPerEU: 64
; NumVGPRsForWavesPerEU: 94
; Occupancy: 16
; WaveLimiterHint : 0
; COMPUTE_PGM_RSRC2:SCRATCH_EN: 0
; COMPUTE_PGM_RSRC2:USER_SGPR: 2
; COMPUTE_PGM_RSRC2:TRAP_HANDLER: 0
; COMPUTE_PGM_RSRC2:TGID_X_EN: 1
; COMPUTE_PGM_RSRC2:TGID_Y_EN: 1
; COMPUTE_PGM_RSRC2:TGID_Z_EN: 1
; COMPUTE_PGM_RSRC2:TIDIG_COMP_CNT: 1
	.section	.text._ZL30rocblas_trmm_outofplace_kernelIfLi32ELi2ELb0ELb0ELb1ELb1EPKfS0_fEv17rocblas_diagonal_iiT6_lPT7_lllS5_lllPT8_llli,"axG",@progbits,_ZL30rocblas_trmm_outofplace_kernelIfLi32ELi2ELb0ELb0ELb1ELb1EPKfS0_fEv17rocblas_diagonal_iiT6_lPT7_lllS5_lllPT8_llli,comdat
	.globl	_ZL30rocblas_trmm_outofplace_kernelIfLi32ELi2ELb0ELb0ELb1ELb1EPKfS0_fEv17rocblas_diagonal_iiT6_lPT7_lllS5_lllPT8_llli ; -- Begin function _ZL30rocblas_trmm_outofplace_kernelIfLi32ELi2ELb0ELb0ELb1ELb1EPKfS0_fEv17rocblas_diagonal_iiT6_lPT7_lllS5_lllPT8_llli
	.p2align	8
	.type	_ZL30rocblas_trmm_outofplace_kernelIfLi32ELi2ELb0ELb0ELb1ELb1EPKfS0_fEv17rocblas_diagonal_iiT6_lPT7_lllS5_lllPT8_llli,@function
_ZL30rocblas_trmm_outofplace_kernelIfLi32ELi2ELb0ELb0ELb1ELb1EPKfS0_fEv17rocblas_diagonal_iiT6_lPT7_lllS5_lllPT8_llli: ; @_ZL30rocblas_trmm_outofplace_kernelIfLi32ELi2ELb0ELb0ELb1ELb1EPKfS0_fEv17rocblas_diagonal_iiT6_lPT7_lllS5_lllPT8_llli
; %bb.0:
	s_load_b32 s33, s[0:1], 0x80
	s_lshr_b32 s34, ttmp7, 16
	s_wait_kmcnt 0x0
	s_cmp_ge_u32 s34, s33
	s_cbranch_scc1 .LBB20_55
; %bb.1:
	s_clause 0x3
	s_load_b96 s[36:38], s[0:1], 0x0
	s_load_b256 s[4:11], s[0:1], 0x50
	s_load_b512 s[12:27], s[0:1], 0x10
	s_load_b128 s[28:31], s[0:1], 0x70
	s_add_nc_u64 s[40:41], s[0:1], 0x88
	v_and_b32_e32 v44, 0x3ff, v0
	v_bfe_u32 v45, v0, 10, 10
	s_and_b32 s39, ttmp7, 0xffff
	v_mov_b32_e32 v46, 0
	s_mov_b32 s35, 0
	v_lshl_add_u32 v6, ttmp9, 5, v44
	v_lshl_add_u32 v11, v45, 2, 64
	v_lshlrev_b32_e32 v47, 7, v45
	v_lshl_add_u32 v53, s39, 5, v45
	v_mov_b32_e32 v54, 1.0
	v_ashrrev_i32_e32 v7, 31, v6
	s_wait_kmcnt 0x0
	s_add_co_i32 s0, s38, -1
	v_mad_co_u64_u32 v[4:5], null, s4, v45, 0
	s_wait_alu 0xfffe
	s_ashr_i32 s1, s0, 31
	v_sub_co_u32 v0, vcc_lo, s37, v6
	s_wait_alu 0xfffe
	s_lshr_b32 s1, s1, 27
	s_wait_alu 0xfffe
	s_add_co_i32 s2, s0, s1
	s_lshl_b64 s[0:1], s[10:11], 2
	s_ashr_i32 s50, s2, 5
	s_wait_alu 0xfffe
	s_add_nc_u64 s[42:43], s[8:9], s[0:1]
	s_cmp_le_i32 s39, s50
	v_cmp_gt_i32_e64 s2, s37, v6
	s_cselect_b32 s51, -1, 0
	s_cmp_eq_u32 s36, 0x84
	s_mov_b32 s10, s38
	s_cselect_b32 s36, -1, 0
	s_ashr_i32 s0, s37, 31
	s_ashr_i32 s11, s38, 31
	s_wait_alu 0xfffe
	v_sub_co_ci_u32_e64 v1, null, s0, v7, vcc_lo
	s_lshl_b64 s[44:45], s[20:21], 7
	s_lshl_b64 s[46:47], s[4:5], 7
	s_add_nc_u64 s[48:49], s[10:11], -16
	v_cmp_gt_i64_e64 s0, 1, v[0:1]
	v_cmp_gt_i64_e64 s1, 17, v[0:1]
	v_mov_b32_e32 v0, v5
	s_delay_alu instid0(VALU_DEP_1) | instskip(SKIP_1) | instid1(VALU_DEP_2)
	v_mad_co_u64_u32 v[2:3], null, s5, v45, v[0:1]
	v_mad_co_u64_u32 v[0:1], null, s4, v11, 0
	v_dual_mov_b32 v5, v2 :: v_dual_lshlrev_b32 v10, 2, v44
	v_sub_co_u32 v51, s8, 0, v44
	s_delay_alu instid0(VALU_DEP_1) | instskip(NEXT) | instid1(VALU_DEP_3)
	v_sub_co_ci_u32_e64 v52, null, 0, 0, s8
	v_add_nc_u32_e32 v14, 64, v10
	s_lshl_b64 s[8:9], s[18:19], 2
	v_mad_co_u64_u32 v[8:9], null, s20, v44, 0
	s_wait_alu 0xfffe
	s_add_nc_u64 s[8:9], s[16:17], s[8:9]
	v_or_b32_e32 v48, 0x1000, v10
	s_wait_alu 0xfffe
	v_mad_co_u64_u32 v[2:3], null, s20, v14, s[8:9]
	v_add_nc_u32_e32 v49, v47, v10
	v_lshlrev_b64_e32 v[4:5], 2, v[4:5]
	v_mad_co_u64_u32 v[9:10], null, s21, v44, v[9:10]
	s_lshl_b64 s[16:17], s[26:27], 2
	v_add_nc_u32_e32 v50, v48, v47
	v_mad_co_u64_u32 v[10:11], null, s5, v11, v[1:2]
	v_add_nc_u32_e32 v12, 16, v6
	v_lshlrev_b64_e32 v[6:7], 2, v[6:7]
	s_add_nc_u64 s[16:17], s[24:25], s[16:17]
	v_mad_co_u64_u32 v[14:15], null, s21, v14, v[3:4]
	v_lshlrev_b64_e32 v[15:16], 2, v[8:9]
	v_add_nc_u32_e32 v55, 0x400, v48
	s_delay_alu instid0(VALU_DEP_4) | instskip(SKIP_3) | instid1(VALU_DEP_3)
	v_add_co_u32 v1, vcc_lo, s16, v6
	s_wait_alu 0xfffd
	v_add_co_ci_u32_e64 v3, null, s17, v7, vcc_lo
	v_add_nc_u32_e32 v56, 0x800, v48
	v_add_co_u32 v8, vcc_lo, v1, 64
	v_mov_b32_e32 v1, v10
	v_ashrrev_i32_e32 v13, 31, v12
	s_wait_alu 0xfffd
	v_add_co_ci_u32_e64 v9, null, 0, v3, vcc_lo
	v_add_co_u32 v10, vcc_lo, s8, v15
	v_cmp_gt_i32_e64 s3, s37, v12
	v_lshlrev_b64_e32 v[12:13], 2, v[12:13]
	v_mov_b32_e32 v3, v14
	s_wait_alu 0xfffd
	v_add_co_ci_u32_e64 v11, null, s9, v16, vcc_lo
	v_add_nc_u32_e32 v57, 0xc00, v48
	s_lshl_b64 s[16:17], s[6:7], 2
	s_lshl_b64 s[18:19], s[22:23], 2
	s_branch .LBB20_4
.LBB20_2:                               ;   in Loop: Header=BB20_4 Depth=1
	s_add_co_i32 s34, s34, 0x10000
	s_wait_alu 0xfffe
	s_cmp_ge_u32 s34, s33
	s_cselect_b32 s4, -1, 0
.LBB20_3:                               ;   in Loop: Header=BB20_4 Depth=1
	s_wait_alu 0xfffe
	s_and_b32 vcc_lo, exec_lo, s4
	s_wait_alu 0xfffe
	s_cbranch_vccnz .LBB20_55
.LBB20_4:                               ; =>This Loop Header: Depth=1
                                        ;     Child Loop BB20_8 Depth 2
                                        ;       Child Loop BB20_11 Depth 3
	s_mul_u64 s[4:5], s[14:15], s[34:35]
	s_wait_alu 0xfffe
	s_lshl_b64 s[4:5], s[4:5], 2
	s_wait_alu 0xfffe
	s_add_nc_u64 s[4:5], s[12:13], s[4:5]
	global_load_b32 v58, v46, s[4:5]
	s_mov_b32 s4, -1
	s_wait_loadcnt 0x0
	v_cmp_eq_f32_e32 vcc_lo, 0, v58
	s_cbranch_vccnz .LBB20_3
; %bb.5:                                ;   in Loop: Header=BB20_4 Depth=1
	s_and_not1_b32 vcc_lo, exec_lo, s51
	s_wait_alu 0xfffe
	s_cbranch_vccnz .LBB20_2
; %bb.6:                                ;   in Loop: Header=BB20_4 Depth=1
	s_load_b32 s24, s[40:41], 0x4
	v_mad_co_u64_u32 v[14:15], null, s16, s34, v[8:9]
	v_mad_co_u64_u32 v[16:17], null, s18, s34, v[2:3]
	;; [unrolled: 1-line block ×3, first 2 shown]
	s_mul_i32 s6, s19, s34
	s_mul_u64 s[4:5], s[30:31], s[34:35]
	s_mov_b32 s26, s39
	s_wait_alu 0xfffe
	s_lshl_b64 s[4:5], s[4:5], 2
	v_mad_co_u64_u32 v[20:21], null, s17, s34, v[15:16]
	v_add_nc_u32_e32 v17, s6, v17
	v_add_nc_u32_e32 v19, s6, v19
	s_wait_alu 0xfffe
	s_add_nc_u64 s[20:21], s[42:43], s[4:5]
	s_delay_alu instid0(VALU_DEP_3)
	v_dual_mov_b32 v15, v20 :: v_dual_mov_b32 v20, v53
	s_wait_kmcnt 0x0
	s_lshl_b32 s25, s24, 5
	s_branch .LBB20_8
.LBB20_7:                               ;   in Loop: Header=BB20_8 Depth=2
	s_wait_alu 0xfffe
	s_or_b32 exec_lo, exec_lo, s4
	v_add_nc_u32_e32 v20, s25, v20
	s_add_co_i32 s26, s24, s26
	s_wait_alu 0xfffe
	s_cmp_gt_i32 s26, s50
	s_cbranch_scc1 .LBB20_2
.LBB20_8:                               ;   Parent Loop BB20_4 Depth=1
                                        ; =>  This Loop Header: Depth=2
                                        ;       Child Loop BB20_11 Depth 3
	s_lshl_b32 s27, s26, 5
	v_dual_mov_b32 v60, 0 :: v_dual_mov_b32 v59, 0
	s_wait_alu 0xfffe
	v_dual_mov_b32 v61, 0 :: v_dual_add_nc_u32 v22, s27, v45
	v_mov_b32_e32 v21, 0
	s_cmp_lt_i32 s26, 0
	s_delay_alu instid0(VALU_DEP_2)
	v_ashrrev_i32_e32 v23, 31, v22
	s_cbranch_scc1 .LBB20_47
; %bb.9:                                ;   in Loop: Header=BB20_8 Depth=2
	v_ashrrev_i32_e32 v21, 31, v20
	v_add_co_u32 v24, vcc_lo, v22, 16
	s_wait_alu 0xfffd
	v_add_co_ci_u32_e64 v25, null, 0, v23, vcc_lo
	v_add_co_u32 v26, vcc_lo, v51, v20
	s_wait_alu 0xfffd
	v_add_co_ci_u32_e64 v27, null, v52, v21, vcc_lo
	v_lshlrev_b64_e32 v[28:29], 2, v[20:21]
	s_delay_alu instid0(VALU_DEP_3) | instskip(SKIP_1) | instid1(VALU_DEP_3)
	v_add_co_u32 v30, s5, v26, 16
	s_wait_alu 0xf1ff
	v_add_co_ci_u32_e64 v31, null, 0, v27, s5
	v_add_co_u32 v32, s5, v26, -16
	v_cmp_le_i64_e64 s4, s[10:11], v[24:25]
	v_mov_b32_e32 v35, v19
	v_mov_b32_e32 v37, v17
	v_dual_mov_b32 v39, v15 :: v_dual_mov_b32 v60, 0
	s_wait_alu 0xf1ff
	v_add_co_ci_u32_e64 v33, null, -1, v27, s5
	v_dual_mov_b32 v21, 0 :: v_dual_mov_b32 v34, v18
	v_mov_b32_e32 v36, v16
	v_dual_mov_b32 v38, v14 :: v_dual_mov_b32 v59, 0
	v_mov_b32_e32 v61, 0
	s_mov_b64 s[22:23], 0
	v_cmp_le_i32_e32 vcc_lo, s38, v22
	s_branch .LBB20_11
.LBB20_10:                              ;   in Loop: Header=BB20_11 Depth=3
	s_wait_alu 0xfffe
	s_or_b32 exec_lo, exec_lo, s5
	s_wait_dscnt 0x0
	s_barrier_signal -1
	s_barrier_wait -1
	global_inv scope:SCOPE_SE
	ds_load_b128 v[40:43], v47
	ds_load_b128 v[62:65], v47 offset:16
	ds_load_b128 v[66:69], v47 offset:32
	;; [unrolled: 1-line block ×3, first 2 shown]
	ds_load_2addr_b32 v[78:79], v48 offset1:16
	ds_load_b128 v[74:77], v47 offset:2048
	v_add_co_u32 v38, s5, v38, s46
	s_wait_alu 0xf1ff
	v_add_co_ci_u32_e64 v39, null, s47, v39, s5
	v_add_co_u32 v36, s5, v36, s44
	s_wait_alu 0xf1ff
	v_add_co_ci_u32_e64 v37, null, s45, v37, s5
	v_add_co_u32 v34, s5, v34, s44
	s_add_nc_u64 s[22:23], s[22:23], 32
	v_add_co_ci_u32_e64 v35, null, s45, v35, s5
	s_wait_alu 0xfffe
	s_sub_co_i32 s5, s22, 32
	s_wait_alu 0xfffe
	s_cmp_ge_i32 s5, s27
	s_wait_dscnt 0x0
	v_dual_fmac_f32 v60, v79, v40 :: v_dual_fmac_f32 v59, v78, v74
	v_fmac_f32_e32 v61, v78, v40
	v_fmac_f32_e32 v21, v79, v74
	ds_load_2addr_b32 v[78:79], v48 offset0:32 offset1:48
	s_wait_dscnt 0x0
	v_fmac_f32_e32 v60, v79, v41
	v_fmac_f32_e32 v61, v78, v41
	ds_load_2addr_b32 v[40:41], v48 offset0:64 offset1:80
	v_fmac_f32_e32 v59, v78, v75
	v_fmac_f32_e32 v21, v79, v75
	ds_load_2addr_b32 v[74:75], v48 offset0:128 offset1:144
	s_wait_dscnt 0x1
	v_fmac_f32_e32 v60, v41, v42
	v_fmac_f32_e32 v61, v40, v42
	;; [unrolled: 1-line block ×4, first 2 shown]
	ds_load_2addr_b32 v[40:41], v48 offset0:96 offset1:112
	s_wait_dscnt 0x0
	v_fmac_f32_e32 v61, v40, v43
	v_dual_fmac_f32 v60, v41, v43 :: v_dual_fmac_f32 v59, v40, v77
	v_fmac_f32_e32 v21, v41, v77
	ds_load_b128 v[40:43], v47 offset:2064
	v_fmac_f32_e32 v61, v74, v62
	s_wait_dscnt 0x0
	v_dual_fmac_f32 v60, v75, v62 :: v_dual_fmac_f32 v59, v74, v40
	v_fmac_f32_e32 v21, v75, v40
	ds_load_2addr_b32 v[74:75], v48 offset0:160 offset1:176
	s_wait_dscnt 0x0
	v_fmac_f32_e32 v59, v74, v41
	v_fmac_f32_e32 v21, v75, v41
	ds_load_2addr_b32 v[40:41], v48 offset0:192 offset1:208
	v_fmac_f32_e32 v61, v74, v63
	v_fmac_f32_e32 v60, v75, v63
	ds_load_2addr_b32 v[62:63], v55 offset1:16
	s_wait_dscnt 0x1
	v_fmac_f32_e32 v61, v40, v64
	v_dual_fmac_f32 v60, v41, v64 :: v_dual_fmac_f32 v59, v40, v42
	v_fmac_f32_e32 v21, v41, v42
	ds_load_2addr_b32 v[40:41], v48 offset0:224 offset1:240
	s_wait_dscnt 0x0
	v_fmac_f32_e32 v61, v40, v65
	v_dual_fmac_f32 v60, v41, v65 :: v_dual_fmac_f32 v59, v40, v43
	v_fmac_f32_e32 v21, v41, v43
	ds_load_b128 v[40:43], v47 offset:2080
	v_fmac_f32_e32 v61, v62, v66
	s_wait_dscnt 0x0
	v_dual_fmac_f32 v60, v63, v66 :: v_dual_fmac_f32 v59, v62, v40
	v_fmac_f32_e32 v21, v63, v40
	ds_load_2addr_b32 v[62:63], v55 offset0:32 offset1:48
	s_wait_dscnt 0x0
	v_fmac_f32_e32 v59, v62, v41
	v_fmac_f32_e32 v21, v63, v41
	ds_load_2addr_b32 v[40:41], v55 offset0:64 offset1:80
	v_fmac_f32_e32 v61, v62, v67
	v_fmac_f32_e32 v60, v63, v67
	ds_load_2addr_b32 v[62:63], v55 offset0:128 offset1:144
	s_wait_dscnt 0x1
	v_fmac_f32_e32 v61, v40, v68
	v_dual_fmac_f32 v60, v41, v68 :: v_dual_fmac_f32 v59, v40, v42
	v_fmac_f32_e32 v21, v41, v42
	ds_load_2addr_b32 v[40:41], v55 offset0:96 offset1:112
	s_wait_dscnt 0x0
	v_fmac_f32_e32 v61, v40, v69
	v_dual_fmac_f32 v60, v41, v69 :: v_dual_fmac_f32 v59, v40, v43
	v_fmac_f32_e32 v21, v41, v43
	ds_load_b128 v[40:43], v47 offset:2096
	v_fmac_f32_e32 v61, v62, v70
	s_wait_dscnt 0x0
	v_dual_fmac_f32 v60, v63, v70 :: v_dual_fmac_f32 v59, v62, v40
	v_fmac_f32_e32 v21, v63, v40
	ds_load_2addr_b32 v[62:63], v55 offset0:160 offset1:176
	s_wait_dscnt 0x0
	v_fmac_f32_e32 v59, v62, v41
	v_fmac_f32_e32 v21, v63, v41
	ds_load_2addr_b32 v[40:41], v55 offset0:192 offset1:208
	v_fmac_f32_e32 v61, v62, v71
	s_wait_dscnt 0x0
	s_delay_alu instid0(VALU_DEP_1) | instskip(NEXT) | instid1(VALU_DEP_1)
	v_dual_fmac_f32 v60, v63, v71 :: v_dual_fmac_f32 v61, v40, v72
	v_dual_fmac_f32 v60, v41, v72 :: v_dual_fmac_f32 v59, v40, v42
	v_fmac_f32_e32 v21, v41, v42
	ds_load_2addr_b32 v[40:41], v55 offset0:224 offset1:240
	s_wait_dscnt 0x0
	v_fmac_f32_e32 v61, v40, v73
	v_dual_fmac_f32 v60, v41, v73 :: v_dual_fmac_f32 v59, v40, v43
	v_fmac_f32_e32 v21, v41, v43
	ds_load_b128 v[40:43], v47 offset:64
	ds_load_2addr_b32 v[66:67], v56 offset1:16
	ds_load_b128 v[62:65], v47 offset:2112
	s_wait_dscnt 0x1
	v_fmac_f32_e32 v61, v66, v40
	s_wait_dscnt 0x0
	v_dual_fmac_f32 v60, v67, v40 :: v_dual_fmac_f32 v59, v66, v62
	v_fmac_f32_e32 v21, v67, v62
	ds_load_2addr_b32 v[66:67], v56 offset0:32 offset1:48
	s_wait_dscnt 0x0
	v_fmac_f32_e32 v61, v66, v41
	v_fmac_f32_e32 v60, v67, v41
	ds_load_2addr_b32 v[40:41], v56 offset0:64 offset1:80
	v_fmac_f32_e32 v59, v66, v63
	v_fmac_f32_e32 v21, v67, v63
	s_wait_dscnt 0x0
	v_fmac_f32_e32 v61, v40, v42
	s_delay_alu instid0(VALU_DEP_3) | instskip(NEXT) | instid1(VALU_DEP_3)
	v_dual_fmac_f32 v60, v41, v42 :: v_dual_fmac_f32 v59, v40, v64
	v_fmac_f32_e32 v21, v41, v64
	ds_load_2addr_b32 v[40:41], v56 offset0:96 offset1:112
	s_wait_dscnt 0x0
	v_fmac_f32_e32 v61, v40, v43
	v_dual_fmac_f32 v60, v41, v43 :: v_dual_fmac_f32 v59, v40, v65
	v_fmac_f32_e32 v21, v41, v65
	ds_load_b128 v[40:43], v47 offset:80
	ds_load_2addr_b32 v[66:67], v56 offset0:128 offset1:144
	ds_load_b128 v[62:65], v47 offset:2128
	s_wait_dscnt 0x1
	v_fmac_f32_e32 v61, v66, v40
	s_wait_dscnt 0x0
	v_dual_fmac_f32 v60, v67, v40 :: v_dual_fmac_f32 v59, v66, v62
	v_fmac_f32_e32 v21, v67, v62
	ds_load_2addr_b32 v[66:67], v56 offset0:160 offset1:176
	s_wait_dscnt 0x0
	v_fmac_f32_e32 v61, v66, v41
	v_fmac_f32_e32 v60, v67, v41
	ds_load_2addr_b32 v[40:41], v56 offset0:192 offset1:208
	v_fmac_f32_e32 v59, v66, v63
	v_fmac_f32_e32 v21, v67, v63
	s_wait_dscnt 0x0
	v_fmac_f32_e32 v61, v40, v42
	s_delay_alu instid0(VALU_DEP_3) | instskip(NEXT) | instid1(VALU_DEP_3)
	v_dual_fmac_f32 v60, v41, v42 :: v_dual_fmac_f32 v59, v40, v64
	v_fmac_f32_e32 v21, v41, v64
	ds_load_2addr_b32 v[40:41], v56 offset0:224 offset1:240
	s_wait_dscnt 0x0
	v_fmac_f32_e32 v61, v40, v43
	v_dual_fmac_f32 v60, v41, v43 :: v_dual_fmac_f32 v59, v40, v65
	v_fmac_f32_e32 v21, v41, v65
	ds_load_b128 v[40:43], v47 offset:96
	ds_load_2addr_b32 v[66:67], v57 offset1:16
	ds_load_b128 v[62:65], v47 offset:2144
	s_wait_dscnt 0x1
	v_fmac_f32_e32 v61, v66, v40
	s_wait_dscnt 0x0
	v_dual_fmac_f32 v60, v67, v40 :: v_dual_fmac_f32 v59, v66, v62
	v_fmac_f32_e32 v21, v67, v62
	ds_load_2addr_b32 v[66:67], v57 offset0:32 offset1:48
	s_wait_dscnt 0x0
	v_fmac_f32_e32 v61, v66, v41
	v_fmac_f32_e32 v60, v67, v41
	ds_load_2addr_b32 v[40:41], v57 offset0:64 offset1:80
	v_fmac_f32_e32 v59, v66, v63
	v_fmac_f32_e32 v21, v67, v63
	s_wait_dscnt 0x0
	v_fmac_f32_e32 v61, v40, v42
	s_delay_alu instid0(VALU_DEP_3) | instskip(NEXT) | instid1(VALU_DEP_3)
	v_dual_fmac_f32 v60, v41, v42 :: v_dual_fmac_f32 v59, v40, v64
	v_fmac_f32_e32 v21, v41, v64
	ds_load_2addr_b32 v[40:41], v57 offset0:96 offset1:112
	s_wait_dscnt 0x0
	v_fmac_f32_e32 v61, v40, v43
	v_dual_fmac_f32 v60, v41, v43 :: v_dual_fmac_f32 v59, v40, v65
	v_fmac_f32_e32 v21, v41, v65
	ds_load_b128 v[40:43], v47 offset:112
	ds_load_2addr_b32 v[66:67], v57 offset0:128 offset1:144
	ds_load_b128 v[62:65], v47 offset:2160
	s_wait_dscnt 0x1
	v_fmac_f32_e32 v61, v66, v40
	s_wait_dscnt 0x0
	v_dual_fmac_f32 v60, v67, v40 :: v_dual_fmac_f32 v59, v66, v62
	v_fmac_f32_e32 v21, v67, v62
	ds_load_2addr_b32 v[66:67], v57 offset0:160 offset1:176
	s_wait_dscnt 0x0
	v_fmac_f32_e32 v61, v66, v41
	v_fmac_f32_e32 v60, v67, v41
	ds_load_2addr_b32 v[40:41], v57 offset0:192 offset1:208
	v_fmac_f32_e32 v59, v66, v63
	v_fmac_f32_e32 v21, v67, v63
	s_wait_dscnt 0x0
	v_fmac_f32_e32 v61, v40, v42
	s_delay_alu instid0(VALU_DEP_3) | instskip(NEXT) | instid1(VALU_DEP_3)
	v_dual_fmac_f32 v60, v41, v42 :: v_dual_fmac_f32 v59, v40, v64
	v_fmac_f32_e32 v21, v41, v64
	ds_load_2addr_b32 v[40:41], v57 offset0:224 offset1:240
	s_wait_loadcnt_dscnt 0x0
	s_barrier_signal -1
	s_barrier_wait -1
	global_inv scope:SCOPE_SE
	v_fmac_f32_e32 v61, v40, v43
	v_dual_fmac_f32 v60, v41, v43 :: v_dual_fmac_f32 v59, v40, v65
	v_fmac_f32_e32 v21, v41, v65
	s_cbranch_scc1 .LBB20_47
.LBB20_11:                              ;   Parent Loop BB20_4 Depth=1
                                        ;     Parent Loop BB20_8 Depth=2
                                        ; =>    This Inner Loop Header: Depth=3
	s_wait_alu 0xfffe
	v_add_co_u32 v40, s5, v44, s22
	s_wait_alu 0xf1ff
	v_add_co_ci_u32_e64 v41, null, 0, s23, s5
	v_cmp_eq_u64_e64 s7, s[22:23], v[26:27]
                                        ; implicit-def: $vgpr62
	s_delay_alu instid0(VALU_DEP_2)
	v_cmp_gt_i64_e64 s5, v[40:41], v[22:23]
	v_cmp_le_i64_e64 s6, s[10:11], v[40:41]
	s_and_b32 s37, s36, s7
	v_add_co_u32 v42, s7, v34, v28
	s_or_b32 s8, vcc_lo, s5
	v_add_co_ci_u32_e64 v43, null, v35, v29, s7
	s_wait_alu 0xfffe
	s_or_b32 s7, s8, s37
	s_wait_alu 0xfffe
	s_nor_b32 s7, s6, s7
	s_wait_alu 0xfffe
	s_and_saveexec_b32 s8, s7
	s_wait_alu 0xfffe
	s_xor_b32 s7, exec_lo, s8
	s_cbranch_execz .LBB20_13
; %bb.12:                               ;   in Loop: Header=BB20_11 Depth=3
	global_load_b32 v62, v[42:43], off
.LBB20_13:                              ;   in Loop: Header=BB20_11 Depth=3
	s_wait_alu 0xfffe
	s_and_not1_saveexec_b32 s7, s7
	s_cbranch_execz .LBB20_15
; %bb.14:                               ;   in Loop: Header=BB20_11 Depth=3
	s_wait_loadcnt 0x0
	v_cndmask_b32_e64 v62, 0, 1.0, s37
.LBB20_15:                              ;   in Loop: Header=BB20_11 Depth=3
	s_wait_alu 0xfffe
	s_or_b32 exec_lo, exec_lo, s7
	v_add_co_u32 v63, s7, v40, 16
	s_wait_alu 0xf1ff
	v_add_co_ci_u32_e64 v64, null, 0, v41, s7
	v_cmp_eq_u64_e64 s8, s[22:23], v[32:33]
	s_wait_loadcnt 0x0
	ds_store_b32 v49, v62
	v_cmp_gt_i64_e64 s9, v[63:64], v[22:23]
	v_cmp_le_i64_e64 s7, s[10:11], v[63:64]
	s_and_b32 s52, s36, s8
	s_or_b32 s8, vcc_lo, s9
	s_wait_alu 0xfffe
	s_or_b32 s8, s8, s52
	s_wait_alu 0xfffe
	s_nor_b32 s8, s7, s8
	s_wait_alu 0xfffe
	s_and_saveexec_b32 s9, s8
	s_wait_alu 0xfffe
	s_xor_b32 s9, exec_lo, s9
	s_cbranch_execz .LBB20_17
; %bb.16:                               ;   in Loop: Header=BB20_11 Depth=3
	v_add_co_u32 v62, s8, v36, v28
	s_wait_alu 0xf1ff
	v_add_co_ci_u32_e64 v63, null, v37, v29, s8
	global_load_b32 v62, v[62:63], off
	s_wait_loadcnt 0x0
	ds_store_b32 v49, v62 offset:64
.LBB20_17:                              ;   in Loop: Header=BB20_11 Depth=3
	s_wait_alu 0xfffe
	s_and_not1_saveexec_b32 s8, s9
	s_cbranch_execz .LBB20_23
; %bb.18:                               ;   in Loop: Header=BB20_11 Depth=3
	s_xor_b32 s9, s52, -1
	s_wait_alu 0xfffe
	s_and_saveexec_b32 s52, s9
	s_delay_alu instid0(SALU_CYCLE_1)
	s_xor_b32 s9, exec_lo, s52
; %bb.19:                               ;   in Loop: Header=BB20_11 Depth=3
	ds_store_b32 v49, v46 offset:64
; %bb.20:                               ;   in Loop: Header=BB20_11 Depth=3
	s_wait_alu 0xfffe
	s_and_not1_saveexec_b32 s9, s9
; %bb.21:                               ;   in Loop: Header=BB20_11 Depth=3
	ds_store_b32 v49, v54 offset:64
; %bb.22:                               ;   in Loop: Header=BB20_11 Depth=3
	s_wait_alu 0xfffe
	s_or_b32 exec_lo, exec_lo, s9
.LBB20_23:                              ;   in Loop: Header=BB20_11 Depth=3
	s_wait_alu 0xfffe
	s_or_b32 exec_lo, exec_lo, s8
	v_cmp_eq_u64_e64 s8, s[22:23], v[30:31]
	v_cmp_gt_i64_e64 s9, v[40:41], v[24:25]
                                        ; implicit-def: $vgpr40
	s_and_b32 s8, s36, s8
	s_or_b32 s9, s4, s9
	s_wait_alu 0xfffe
	s_or_b32 s9, s9, s8
	s_wait_alu 0xfffe
	s_nor_b32 s6, s6, s9
	s_wait_alu 0xfffe
	s_and_saveexec_b32 s9, s6
	s_wait_alu 0xfffe
	s_xor_b32 s6, exec_lo, s9
	s_cbranch_execz .LBB20_25
; %bb.24:                               ;   in Loop: Header=BB20_11 Depth=3
	global_load_b32 v40, v[42:43], off offset:64
.LBB20_25:                              ;   in Loop: Header=BB20_11 Depth=3
	s_wait_alu 0xfffe
	s_and_not1_saveexec_b32 s6, s6
	s_cbranch_execz .LBB20_27
; %bb.26:                               ;   in Loop: Header=BB20_11 Depth=3
	s_wait_loadcnt 0x0
	v_cndmask_b32_e64 v40, 0, 1.0, s8
.LBB20_27:                              ;   in Loop: Header=BB20_11 Depth=3
	s_wait_alu 0xfffe
	s_or_b32 exec_lo, exec_lo, s6
	s_or_b32 s5, s4, s5
	s_wait_loadcnt 0x0
	ds_store_b32 v49, v40 offset:2048
	s_wait_alu 0xfffe
	s_or_b32 s5, s5, s37
	s_wait_alu 0xfffe
	s_nor_b32 s5, s7, s5
	s_wait_alu 0xfffe
	s_and_saveexec_b32 s6, s5
	s_wait_alu 0xfffe
	s_xor_b32 s6, exec_lo, s6
	s_cbranch_execz .LBB20_29
; %bb.28:                               ;   in Loop: Header=BB20_11 Depth=3
	v_add_co_u32 v40, s5, v36, v28
	s_wait_alu 0xf1ff
	v_add_co_ci_u32_e64 v41, null, v37, v29, s5
	global_load_b32 v40, v[40:41], off offset:64
	s_wait_loadcnt 0x0
	ds_store_b32 v49, v40 offset:2112
.LBB20_29:                              ;   in Loop: Header=BB20_11 Depth=3
	s_wait_alu 0xfffe
	s_and_not1_saveexec_b32 s5, s6
	s_cbranch_execz .LBB20_35
; %bb.30:                               ;   in Loop: Header=BB20_11 Depth=3
	s_xor_b32 s6, s37, -1
	s_wait_alu 0xfffe
	s_and_saveexec_b32 s7, s6
	s_wait_alu 0xfffe
	s_xor_b32 s6, exec_lo, s7
; %bb.31:                               ;   in Loop: Header=BB20_11 Depth=3
	ds_store_b32 v49, v46 offset:2112
; %bb.32:                               ;   in Loop: Header=BB20_11 Depth=3
	s_wait_alu 0xfffe
	s_and_not1_saveexec_b32 s6, s6
; %bb.33:                               ;   in Loop: Header=BB20_11 Depth=3
	ds_store_b32 v49, v54 offset:2112
; %bb.34:                               ;   in Loop: Header=BB20_11 Depth=3
	s_wait_alu 0xfffe
	s_or_b32 exec_lo, exec_lo, s6
.LBB20_35:                              ;   in Loop: Header=BB20_11 Depth=3
	s_wait_alu 0xfffe
	s_or_b32 exec_lo, exec_lo, s5
	v_add_co_u32 v40, s5, v45, s22
	s_wait_alu 0xf1ff
	v_add_co_ci_u32_e64 v41, null, 0, s23, s5
	v_add_co_u32 v42, s6, v38, v4
	s_wait_alu 0xf1ff
	v_add_co_ci_u32_e64 v43, null, v39, v5, s6
	s_delay_alu instid0(VALU_DEP_3)
	v_cmp_le_i64_e64 s5, s[10:11], v[40:41]
	v_mov_b32_e32 v62, 0
	s_nor_b32 s7, s5, s0
	s_wait_alu 0xfffe
	s_and_saveexec_b32 s6, s7
	s_cbranch_execz .LBB20_37
; %bb.36:                               ;   in Loop: Header=BB20_11 Depth=3
	global_load_b32 v62, v[42:43], off offset:-64
.LBB20_37:                              ;   in Loop: Header=BB20_11 Depth=3
	s_wait_alu 0xfffe
	s_or_b32 exec_lo, exec_lo, s6
	s_nor_b32 s5, s5, s1
	s_wait_loadcnt 0x0
	ds_store_b32 v50, v62
	s_wait_alu 0xfffe
	s_and_saveexec_b32 s6, s5
	s_wait_alu 0xfffe
	s_xor_b32 s5, exec_lo, s6
	s_cbranch_execz .LBB20_39
; %bb.38:                               ;   in Loop: Header=BB20_11 Depth=3
	global_load_b32 v42, v[42:43], off
	s_wait_loadcnt 0x0
	ds_store_b32 v50, v42 offset:64
.LBB20_39:                              ;   in Loop: Header=BB20_11 Depth=3
	s_wait_alu 0xfffe
	s_and_not1_saveexec_b32 s5, s5
; %bb.40:                               ;   in Loop: Header=BB20_11 Depth=3
	ds_store_b32 v50, v46 offset:64
; %bb.41:                               ;   in Loop: Header=BB20_11 Depth=3
	s_wait_alu 0xfffe
	s_or_b32 exec_lo, exec_lo, s5
	v_cmp_le_i64_e64 s5, s[48:49], v[40:41]
	v_add_co_u32 v40, s6, v38, v0
	s_wait_alu 0xf1ff
	v_add_co_ci_u32_e64 v41, null, v39, v1, s6
	v_mov_b32_e32 v42, 0
	s_delay_alu instid0(VALU_DEP_4)
	s_nor_b32 s7, s5, s0
	s_wait_alu 0xfffe
	s_and_saveexec_b32 s6, s7
	s_cbranch_execz .LBB20_43
; %bb.42:                               ;   in Loop: Header=BB20_11 Depth=3
	global_load_b32 v42, v[40:41], off offset:-64
.LBB20_43:                              ;   in Loop: Header=BB20_11 Depth=3
	s_wait_alu 0xfffe
	s_or_b32 exec_lo, exec_lo, s6
	s_nor_b32 s5, s5, s1
	s_wait_loadcnt 0x0
	ds_store_b32 v50, v42 offset:2048
	s_wait_alu 0xfffe
	s_and_saveexec_b32 s6, s5
	s_wait_alu 0xfffe
	s_xor_b32 s5, exec_lo, s6
	s_cbranch_execz .LBB20_45
; %bb.44:                               ;   in Loop: Header=BB20_11 Depth=3
	global_load_b32 v40, v[40:41], off
	s_wait_loadcnt 0x0
	ds_store_b32 v50, v40 offset:2112
.LBB20_45:                              ;   in Loop: Header=BB20_11 Depth=3
	s_wait_alu 0xfffe
	s_and_not1_saveexec_b32 s5, s5
	s_cbranch_execz .LBB20_10
; %bb.46:                               ;   in Loop: Header=BB20_11 Depth=3
	ds_store_b32 v50, v46 offset:2112
	s_branch .LBB20_10
.LBB20_47:                              ;   in Loop: Header=BB20_8 Depth=2
	v_mul_lo_u32 v25, s29, v22
	s_delay_alu instid0(VALU_DEP_2) | instskip(SKIP_2) | instid1(VALU_DEP_2)
	v_mul_lo_u32 v26, s28, v23
	v_mad_co_u64_u32 v[23:24], null, s28, v22, 0
	v_cmp_gt_i32_e32 vcc_lo, s38, v22
	v_add3_u32 v24, v24, v26, v25
	s_delay_alu instid0(VALU_DEP_1) | instskip(SKIP_1) | instid1(VALU_DEP_1)
	v_lshlrev_b64_e32 v[23:24], 2, v[23:24]
	s_wait_alu 0xfffe
	v_add_co_u32 v23, s4, s20, v23
	s_wait_alu 0xf1ff
	s_delay_alu instid0(VALU_DEP_2)
	v_add_co_ci_u32_e64 v24, null, s21, v24, s4
	s_and_b32 s4, s2, vcc_lo
	s_wait_alu 0xfffe
	s_and_saveexec_b32 s5, s4
	s_cbranch_execz .LBB20_49
; %bb.48:                               ;   in Loop: Header=BB20_8 Depth=2
	v_add_co_u32 v25, s4, v23, v6
	s_wait_alu 0xf1ff
	v_add_co_ci_u32_e64 v26, null, v24, v7, s4
	global_load_b32 v27, v[25:26], off
	s_wait_loadcnt 0x0
	v_fmac_f32_e32 v27, v58, v61
	global_store_b32 v[25:26], v27, off
.LBB20_49:                              ;   in Loop: Header=BB20_8 Depth=2
	s_wait_alu 0xfffe
	s_or_b32 exec_lo, exec_lo, s5
	s_and_b32 s5, s3, vcc_lo
	s_wait_alu 0xfffe
	s_and_saveexec_b32 s4, s5
	s_cbranch_execz .LBB20_51
; %bb.50:                               ;   in Loop: Header=BB20_8 Depth=2
	v_add_co_u32 v23, vcc_lo, v23, v12
	s_wait_alu 0xfffd
	v_add_co_ci_u32_e64 v24, null, v24, v13, vcc_lo
	global_load_b32 v25, v[23:24], off
	s_wait_loadcnt 0x0
	v_fmac_f32_e32 v25, v58, v60
	global_store_b32 v[23:24], v25, off
.LBB20_51:                              ;   in Loop: Header=BB20_8 Depth=2
	s_wait_alu 0xfffe
	s_or_b32 exec_lo, exec_lo, s4
	v_add_nc_u32_e32 v24, 16, v22
	s_delay_alu instid0(VALU_DEP_1) | instskip(SKIP_3) | instid1(VALU_DEP_4)
	v_ashrrev_i32_e32 v25, 31, v24
	v_mul_lo_u32 v26, s29, v24
	v_mad_co_u64_u32 v[22:23], null, s28, v24, 0
	v_cmp_gt_i32_e32 vcc_lo, s38, v24
	v_mul_lo_u32 v25, s28, v25
	s_delay_alu instid0(VALU_DEP_1) | instskip(NEXT) | instid1(VALU_DEP_1)
	v_add3_u32 v23, v23, v25, v26
	v_lshlrev_b64_e32 v[22:23], 2, v[22:23]
	s_delay_alu instid0(VALU_DEP_1) | instskip(SKIP_1) | instid1(VALU_DEP_2)
	v_add_co_u32 v22, s4, s20, v22
	s_wait_alu 0xf1ff
	v_add_co_ci_u32_e64 v23, null, s21, v23, s4
	s_and_b32 s4, s2, vcc_lo
	s_wait_alu 0xfffe
	s_and_saveexec_b32 s5, s4
	s_cbranch_execz .LBB20_53
; %bb.52:                               ;   in Loop: Header=BB20_8 Depth=2
	v_add_co_u32 v24, s4, v22, v6
	s_wait_alu 0xf1ff
	v_add_co_ci_u32_e64 v25, null, v23, v7, s4
	global_load_b32 v26, v[24:25], off
	s_wait_loadcnt 0x0
	v_fmac_f32_e32 v26, v58, v59
	global_store_b32 v[24:25], v26, off
.LBB20_53:                              ;   in Loop: Header=BB20_8 Depth=2
	s_wait_alu 0xfffe
	s_or_b32 exec_lo, exec_lo, s5
	s_and_b32 s5, s3, vcc_lo
	s_wait_alu 0xfffe
	s_and_saveexec_b32 s4, s5
	s_cbranch_execz .LBB20_7
; %bb.54:                               ;   in Loop: Header=BB20_8 Depth=2
	v_add_co_u32 v22, vcc_lo, v22, v12
	s_wait_alu 0xfffd
	v_add_co_ci_u32_e64 v23, null, v23, v13, vcc_lo
	global_load_b32 v24, v[22:23], off
	s_wait_loadcnt 0x0
	v_fmac_f32_e32 v24, v58, v21
	global_store_b32 v[22:23], v24, off
	s_branch .LBB20_7
.LBB20_55:
	s_endpgm
	.section	.rodata,"a",@progbits
	.p2align	6, 0x0
	.amdhsa_kernel _ZL30rocblas_trmm_outofplace_kernelIfLi32ELi2ELb0ELb0ELb1ELb1EPKfS0_fEv17rocblas_diagonal_iiT6_lPT7_lllS5_lllPT8_llli
		.amdhsa_group_segment_fixed_size 8192
		.amdhsa_private_segment_fixed_size 0
		.amdhsa_kernarg_size 392
		.amdhsa_user_sgpr_count 2
		.amdhsa_user_sgpr_dispatch_ptr 0
		.amdhsa_user_sgpr_queue_ptr 0
		.amdhsa_user_sgpr_kernarg_segment_ptr 1
		.amdhsa_user_sgpr_dispatch_id 0
		.amdhsa_user_sgpr_private_segment_size 0
		.amdhsa_wavefront_size32 1
		.amdhsa_uses_dynamic_stack 0
		.amdhsa_enable_private_segment 0
		.amdhsa_system_sgpr_workgroup_id_x 1
		.amdhsa_system_sgpr_workgroup_id_y 1
		.amdhsa_system_sgpr_workgroup_id_z 1
		.amdhsa_system_sgpr_workgroup_info 0
		.amdhsa_system_vgpr_workitem_id 1
		.amdhsa_next_free_vgpr 80
		.amdhsa_next_free_sgpr 53
		.amdhsa_reserve_vcc 1
		.amdhsa_float_round_mode_32 0
		.amdhsa_float_round_mode_16_64 0
		.amdhsa_float_denorm_mode_32 3
		.amdhsa_float_denorm_mode_16_64 3
		.amdhsa_fp16_overflow 0
		.amdhsa_workgroup_processor_mode 1
		.amdhsa_memory_ordered 1
		.amdhsa_forward_progress 1
		.amdhsa_inst_pref_size 29
		.amdhsa_round_robin_scheduling 0
		.amdhsa_exception_fp_ieee_invalid_op 0
		.amdhsa_exception_fp_denorm_src 0
		.amdhsa_exception_fp_ieee_div_zero 0
		.amdhsa_exception_fp_ieee_overflow 0
		.amdhsa_exception_fp_ieee_underflow 0
		.amdhsa_exception_fp_ieee_inexact 0
		.amdhsa_exception_int_div_zero 0
	.end_amdhsa_kernel
	.section	.text._ZL30rocblas_trmm_outofplace_kernelIfLi32ELi2ELb0ELb0ELb1ELb1EPKfS0_fEv17rocblas_diagonal_iiT6_lPT7_lllS5_lllPT8_llli,"axG",@progbits,_ZL30rocblas_trmm_outofplace_kernelIfLi32ELi2ELb0ELb0ELb1ELb1EPKfS0_fEv17rocblas_diagonal_iiT6_lPT7_lllS5_lllPT8_llli,comdat
.Lfunc_end20:
	.size	_ZL30rocblas_trmm_outofplace_kernelIfLi32ELi2ELb0ELb0ELb1ELb1EPKfS0_fEv17rocblas_diagonal_iiT6_lPT7_lllS5_lllPT8_llli, .Lfunc_end20-_ZL30rocblas_trmm_outofplace_kernelIfLi32ELi2ELb0ELb0ELb1ELb1EPKfS0_fEv17rocblas_diagonal_iiT6_lPT7_lllS5_lllPT8_llli
                                        ; -- End function
	.set _ZL30rocblas_trmm_outofplace_kernelIfLi32ELi2ELb0ELb0ELb1ELb1EPKfS0_fEv17rocblas_diagonal_iiT6_lPT7_lllS5_lllPT8_llli.num_vgpr, 80
	.set _ZL30rocblas_trmm_outofplace_kernelIfLi32ELi2ELb0ELb0ELb1ELb1EPKfS0_fEv17rocblas_diagonal_iiT6_lPT7_lllS5_lllPT8_llli.num_agpr, 0
	.set _ZL30rocblas_trmm_outofplace_kernelIfLi32ELi2ELb0ELb0ELb1ELb1EPKfS0_fEv17rocblas_diagonal_iiT6_lPT7_lllS5_lllPT8_llli.numbered_sgpr, 53
	.set _ZL30rocblas_trmm_outofplace_kernelIfLi32ELi2ELb0ELb0ELb1ELb1EPKfS0_fEv17rocblas_diagonal_iiT6_lPT7_lllS5_lllPT8_llli.num_named_barrier, 0
	.set _ZL30rocblas_trmm_outofplace_kernelIfLi32ELi2ELb0ELb0ELb1ELb1EPKfS0_fEv17rocblas_diagonal_iiT6_lPT7_lllS5_lllPT8_llli.private_seg_size, 0
	.set _ZL30rocblas_trmm_outofplace_kernelIfLi32ELi2ELb0ELb0ELb1ELb1EPKfS0_fEv17rocblas_diagonal_iiT6_lPT7_lllS5_lllPT8_llli.uses_vcc, 1
	.set _ZL30rocblas_trmm_outofplace_kernelIfLi32ELi2ELb0ELb0ELb1ELb1EPKfS0_fEv17rocblas_diagonal_iiT6_lPT7_lllS5_lllPT8_llli.uses_flat_scratch, 0
	.set _ZL30rocblas_trmm_outofplace_kernelIfLi32ELi2ELb0ELb0ELb1ELb1EPKfS0_fEv17rocblas_diagonal_iiT6_lPT7_lllS5_lllPT8_llli.has_dyn_sized_stack, 0
	.set _ZL30rocblas_trmm_outofplace_kernelIfLi32ELi2ELb0ELb0ELb1ELb1EPKfS0_fEv17rocblas_diagonal_iiT6_lPT7_lllS5_lllPT8_llli.has_recursion, 0
	.set _ZL30rocblas_trmm_outofplace_kernelIfLi32ELi2ELb0ELb0ELb1ELb1EPKfS0_fEv17rocblas_diagonal_iiT6_lPT7_lllS5_lllPT8_llli.has_indirect_call, 0
	.section	.AMDGPU.csdata,"",@progbits
; Kernel info:
; codeLenInByte = 3604
; TotalNumSgprs: 55
; NumVgprs: 80
; ScratchSize: 0
; MemoryBound: 0
; FloatMode: 240
; IeeeMode: 1
; LDSByteSize: 8192 bytes/workgroup (compile time only)
; SGPRBlocks: 0
; VGPRBlocks: 9
; NumSGPRsForWavesPerEU: 55
; NumVGPRsForWavesPerEU: 80
; Occupancy: 16
; WaveLimiterHint : 0
; COMPUTE_PGM_RSRC2:SCRATCH_EN: 0
; COMPUTE_PGM_RSRC2:USER_SGPR: 2
; COMPUTE_PGM_RSRC2:TRAP_HANDLER: 0
; COMPUTE_PGM_RSRC2:TGID_X_EN: 1
; COMPUTE_PGM_RSRC2:TGID_Y_EN: 1
; COMPUTE_PGM_RSRC2:TGID_Z_EN: 1
; COMPUTE_PGM_RSRC2:TIDIG_COMP_CNT: 1
	.section	.text._ZL30rocblas_trmm_outofplace_kernelIfLi32ELi2ELb0ELb0ELb1ELb1EfKffEv17rocblas_diagonal_iiT6_lPT7_lllS4_lllPT8_llli,"axG",@progbits,_ZL30rocblas_trmm_outofplace_kernelIfLi32ELi2ELb0ELb0ELb1ELb1EfKffEv17rocblas_diagonal_iiT6_lPT7_lllS4_lllPT8_llli,comdat
	.globl	_ZL30rocblas_trmm_outofplace_kernelIfLi32ELi2ELb0ELb0ELb1ELb1EfKffEv17rocblas_diagonal_iiT6_lPT7_lllS4_lllPT8_llli ; -- Begin function _ZL30rocblas_trmm_outofplace_kernelIfLi32ELi2ELb0ELb0ELb1ELb1EfKffEv17rocblas_diagonal_iiT6_lPT7_lllS4_lllPT8_llli
	.p2align	8
	.type	_ZL30rocblas_trmm_outofplace_kernelIfLi32ELi2ELb0ELb0ELb1ELb1EfKffEv17rocblas_diagonal_iiT6_lPT7_lllS4_lllPT8_llli,@function
_ZL30rocblas_trmm_outofplace_kernelIfLi32ELi2ELb0ELb0ELb1ELb1EfKffEv17rocblas_diagonal_iiT6_lPT7_lllS4_lllPT8_llli: ; @_ZL30rocblas_trmm_outofplace_kernelIfLi32ELi2ELb0ELb0ELb1ELb1EfKffEv17rocblas_diagonal_iiT6_lPT7_lllS4_lllPT8_llli
; %bb.0:
	s_load_b32 s33, s[0:1], 0x78
	s_lshr_b32 s34, ttmp7, 16
	s_wait_kmcnt 0x0
	s_cmp_ge_u32 s34, s33
	s_cbranch_scc1 .LBB21_54
; %bb.1:
	s_load_b128 s[28:31], s[0:1], 0x0
	s_mov_b32 s35, 0
	s_wait_kmcnt 0x0
	s_cmp_eq_f32 s31, 0
	s_cbranch_scc1 .LBB21_54
; %bb.2:
	s_clause 0x1
	s_load_b512 s[4:19], s[0:1], 0x18
	s_load_b256 s[20:27], s[0:1], 0x58
	s_add_co_i32 s2, s30, -1
	v_and_b32_e32 v44, 0x3ff, v0
	s_ashr_i32 s3, s2, 31
	s_and_b32 s44, ttmp7, 0xffff
	s_lshr_b32 s3, s3, 27
	v_bfe_u32 v45, v0, 10, 10
	s_add_co_i32 s2, s2, s3
	v_lshl_add_u32 v6, ttmp9, 5, v44
	s_ashr_i32 s45, s2, 5
	s_add_nc_u64 s[42:43], s[0:1], 0x80
	s_cmp_le_i32 s44, s45
	v_lshl_add_u32 v11, v45, 2, 64
	v_ashrrev_i32_e32 v7, 31, v6
	s_cselect_b32 s46, -1, 0
	s_cmp_eq_u32 s28, 0x84
	v_sub_co_u32 v0, vcc_lo, s29, v6
	s_cselect_b32 s28, -1, 0
	s_wait_kmcnt 0x0
	v_mad_co_u64_u32 v[4:5], null, s16, v45, 0
	s_ashr_i32 s2, s29, 31
	s_lshl_b64 s[0:1], s[22:23], 2
	v_sub_co_ci_u32_e64 v1, null, s2, v7, vcc_lo
	s_wait_alu 0xfffe
	s_add_nc_u64 s[20:21], s[20:21], s[0:1]
	s_lshl_b64 s[6:7], s[6:7], 2
	v_dual_mov_b32 v46, 0 :: v_dual_lshlrev_b32 v47, 7, v45
	v_cmp_gt_i64_e64 s0, 1, v[0:1]
	v_cmp_gt_i64_e64 s1, 17, v[0:1]
	v_mov_b32_e32 v0, v5
	s_add_nc_u64 s[4:5], s[4:5], s[6:7]
	v_add_nc_u32_e32 v12, 16, v6
	v_cmp_gt_i32_e64 s2, s29, v6
	v_lshlrev_b64_e32 v[6:7], 2, v[6:7]
	v_mad_co_u64_u32 v[2:3], null, s17, v45, v[0:1]
	v_mad_co_u64_u32 v[0:1], null, s16, v11, 0
	s_lshl_b64 s[6:7], s[14:15], 2
	v_ashrrev_i32_e32 v13, 31, v12
	s_add_nc_u64 s[6:7], s[12:13], s[6:7]
	v_cmp_gt_i32_e64 s3, s29, v12
	v_dual_mov_b32 v5, v2 :: v_dual_lshlrev_b32 v10, 2, v44
	v_mad_co_u64_u32 v[8:9], null, s8, v44, 0
	v_sub_co_u32 v51, s22, 0, v44
	s_delay_alu instid0(VALU_DEP_3) | instskip(SKIP_3) | instid1(VALU_DEP_4)
	v_add_nc_u32_e32 v14, 64, v10
	v_or_b32_e32 v48, 0x1000, v10
	v_dual_mov_b32 v54, 1.0 :: v_dual_add_nc_u32 v49, v47, v10
	v_mad_co_u64_u32 v[9:10], null, s9, v44, v[9:10]
	v_mad_co_u64_u32 v[2:3], null, s8, v14, s[4:5]
	v_lshlrev_b64_e32 v[4:5], 2, v[4:5]
	v_lshlrev_b64_e32 v[12:13], 2, v[12:13]
	v_sub_co_ci_u32_e64 v52, null, 0, 0, s22
	v_lshl_add_u32 v53, s44, 5, v45
	v_add_nc_u32_e32 v55, 0x400, v48
	v_mad_co_u64_u32 v[10:11], null, s17, v11, v[1:2]
	v_mad_co_u64_u32 v[14:15], null, s9, v14, v[3:4]
	v_add_co_u32 v1, vcc_lo, s6, v6
	v_lshlrev_b64_e32 v[15:16], 2, v[8:9]
	s_wait_alu 0xfffd
	v_add_co_ci_u32_e64 v3, null, s7, v7, vcc_lo
	s_delay_alu instid0(VALU_DEP_3) | instskip(SKIP_2) | instid1(VALU_DEP_3)
	v_add_co_u32 v8, vcc_lo, v1, 64
	v_dual_mov_b32 v1, v10 :: v_dual_add_nc_u32 v50, v48, v47
	s_wait_alu 0xfffd
	v_add_co_ci_u32_e64 v9, null, 0, v3, vcc_lo
	v_add_co_u32 v10, vcc_lo, s4, v15
	v_mov_b32_e32 v3, v14
	s_wait_alu 0xfffd
	v_add_co_ci_u32_e64 v11, null, s5, v16, vcc_lo
	v_add_nc_u32_e32 v56, 0x800, v48
	v_add_nc_u32_e32 v57, 0xc00, v48
	s_ashr_i32 s37, s30, 31
	s_mov_b32 s36, s30
	s_lshl_b64 s[38:39], s[8:9], 7
	s_lshl_b64 s[40:41], s[16:17], 7
	s_add_nc_u64 s[12:13], s[36:37], -16
	s_lshl_b64 s[14:15], s[18:19], 2
	s_lshl_b64 s[10:11], s[10:11], 2
	s_branch .LBB21_4
.LBB21_3:                               ;   in Loop: Header=BB21_4 Depth=1
	s_add_co_i32 s34, s34, 0x10000
	s_wait_alu 0xfffe
	s_cmp_ge_u32 s34, s33
	s_cbranch_scc1 .LBB21_54
.LBB21_4:                               ; =>This Loop Header: Depth=1
                                        ;     Child Loop BB21_7 Depth 2
                                        ;       Child Loop BB21_10 Depth 3
	s_and_not1_b32 vcc_lo, exec_lo, s46
	s_wait_alu 0xfffe
	s_cbranch_vccnz .LBB21_3
; %bb.5:                                ;   in Loop: Header=BB21_4 Depth=1
	s_load_b32 s22, s[42:43], 0x4
	v_mad_co_u64_u32 v[14:15], null, s14, s34, v[8:9]
	v_mad_co_u64_u32 v[16:17], null, s10, s34, v[2:3]
	;; [unrolled: 1-line block ×3, first 2 shown]
	s_mul_i32 s6, s11, s34
	s_mul_u64 s[4:5], s[26:27], s[34:35]
	s_mov_b32 s29, s44
	s_wait_alu 0xfffe
	s_lshl_b64 s[4:5], s[4:5], 2
	v_mad_co_u64_u32 v[20:21], null, s15, s34, v[15:16]
	v_add_nc_u32_e32 v17, s6, v17
	v_add_nc_u32_e32 v19, s6, v19
	s_wait_alu 0xfffe
	s_add_nc_u64 s[16:17], s[20:21], s[4:5]
	s_delay_alu instid0(VALU_DEP_3)
	v_dual_mov_b32 v15, v20 :: v_dual_mov_b32 v20, v53
	s_wait_kmcnt 0x0
	s_lshl_b32 s23, s22, 5
	s_branch .LBB21_7
.LBB21_6:                               ;   in Loop: Header=BB21_7 Depth=2
	s_wait_alu 0xfffe
	s_or_b32 exec_lo, exec_lo, s4
	v_add_nc_u32_e32 v20, s23, v20
	s_add_co_i32 s29, s22, s29
	s_wait_alu 0xfffe
	s_cmp_gt_i32 s29, s45
	s_cbranch_scc1 .LBB21_3
.LBB21_7:                               ;   Parent Loop BB21_4 Depth=1
                                        ; =>  This Loop Header: Depth=2
                                        ;       Child Loop BB21_10 Depth 3
	s_lshl_b32 s47, s29, 5
	v_dual_mov_b32 v60, 0 :: v_dual_mov_b32 v21, 0
	s_wait_alu 0xfffe
	v_dual_mov_b32 v59, 0 :: v_dual_add_nc_u32 v22, s47, v45
	v_mov_b32_e32 v58, 0
	s_cmp_lt_i32 s29, 0
	s_delay_alu instid0(VALU_DEP_2)
	v_ashrrev_i32_e32 v23, 31, v22
	s_cbranch_scc1 .LBB21_46
; %bb.8:                                ;   in Loop: Header=BB21_7 Depth=2
	v_ashrrev_i32_e32 v21, 31, v20
	v_add_co_u32 v24, vcc_lo, v22, 16
	s_wait_alu 0xfffd
	v_add_co_ci_u32_e64 v25, null, 0, v23, vcc_lo
	v_add_co_u32 v26, vcc_lo, v51, v20
	s_wait_alu 0xfffd
	v_add_co_ci_u32_e64 v27, null, v52, v21, vcc_lo
	v_lshlrev_b64_e32 v[28:29], 2, v[20:21]
	s_delay_alu instid0(VALU_DEP_3) | instskip(SKIP_1) | instid1(VALU_DEP_3)
	v_add_co_u32 v30, s5, v26, 16
	s_wait_alu 0xf1ff
	v_add_co_ci_u32_e64 v31, null, 0, v27, s5
	v_add_co_u32 v32, s5, v26, -16
	v_cmp_le_i64_e64 s4, s[36:37], v[24:25]
	v_mov_b32_e32 v35, v19
	v_mov_b32_e32 v37, v17
	v_dual_mov_b32 v39, v15 :: v_dual_mov_b32 v58, 0
	s_wait_alu 0xf1ff
	v_add_co_ci_u32_e64 v33, null, -1, v27, s5
	v_dual_mov_b32 v21, 0 :: v_dual_mov_b32 v34, v18
	v_mov_b32_e32 v36, v16
	v_dual_mov_b32 v38, v14 :: v_dual_mov_b32 v59, 0
	v_mov_b32_e32 v60, 0
	s_mov_b64 s[18:19], 0
	v_cmp_le_i32_e32 vcc_lo, s30, v22
	s_branch .LBB21_10
.LBB21_9:                               ;   in Loop: Header=BB21_10 Depth=3
	s_wait_alu 0xfffe
	s_or_b32 exec_lo, exec_lo, s5
	s_wait_dscnt 0x0
	s_barrier_signal -1
	s_barrier_wait -1
	global_inv scope:SCOPE_SE
	ds_load_b128 v[40:43], v47
	ds_load_b128 v[61:64], v47 offset:16
	ds_load_b128 v[65:68], v47 offset:32
	;; [unrolled: 1-line block ×3, first 2 shown]
	ds_load_2addr_b32 v[77:78], v48 offset1:16
	ds_load_b128 v[73:76], v47 offset:2048
	v_add_co_u32 v38, s5, v38, s40
	s_wait_alu 0xf1ff
	v_add_co_ci_u32_e64 v39, null, s41, v39, s5
	v_add_co_u32 v36, s5, v36, s38
	s_wait_alu 0xf1ff
	v_add_co_ci_u32_e64 v37, null, s39, v37, s5
	v_add_co_u32 v34, s5, v34, s38
	s_add_nc_u64 s[18:19], s[18:19], 32
	v_add_co_ci_u32_e64 v35, null, s39, v35, s5
	s_wait_alu 0xfffe
	s_sub_co_i32 s5, s18, 32
	s_wait_alu 0xfffe
	s_cmp_ge_i32 s5, s47
	s_wait_dscnt 0x0
	v_dual_fmac_f32 v60, v77, v40 :: v_dual_fmac_f32 v21, v78, v73
	v_dual_fmac_f32 v59, v78, v40 :: v_dual_fmac_f32 v58, v77, v73
	ds_load_2addr_b32 v[77:78], v48 offset0:32 offset1:48
	s_wait_dscnt 0x0
	v_dual_fmac_f32 v60, v77, v41 :: v_dual_fmac_f32 v21, v78, v74
	v_dual_fmac_f32 v59, v78, v41 :: v_dual_fmac_f32 v58, v77, v74
	ds_load_2addr_b32 v[40:41], v48 offset0:64 offset1:80
	ds_load_2addr_b32 v[73:74], v48 offset0:128 offset1:144
	s_wait_dscnt 0x1
	v_dual_fmac_f32 v60, v40, v42 :: v_dual_fmac_f32 v21, v41, v75
	v_dual_fmac_f32 v59, v41, v42 :: v_dual_fmac_f32 v58, v40, v75
	ds_load_2addr_b32 v[40:41], v48 offset0:96 offset1:112
	s_wait_dscnt 0x0
	v_dual_fmac_f32 v60, v40, v43 :: v_dual_fmac_f32 v21, v41, v76
	v_dual_fmac_f32 v59, v41, v43 :: v_dual_fmac_f32 v58, v40, v76
	ds_load_b128 v[40:43], v47 offset:2064
	v_fmac_f32_e32 v60, v73, v61
	s_wait_dscnt 0x0
	v_dual_fmac_f32 v59, v74, v61 :: v_dual_fmac_f32 v58, v73, v40
	v_fmac_f32_e32 v21, v74, v40
	ds_load_2addr_b32 v[73:74], v48 offset0:160 offset1:176
	s_wait_dscnt 0x0
	v_dual_fmac_f32 v60, v73, v62 :: v_dual_fmac_f32 v21, v74, v41
	v_dual_fmac_f32 v59, v74, v62 :: v_dual_fmac_f32 v58, v73, v41
	ds_load_2addr_b32 v[40:41], v48 offset0:192 offset1:208
	ds_load_2addr_b32 v[61:62], v55 offset1:16
	s_wait_dscnt 0x1
	v_dual_fmac_f32 v60, v40, v63 :: v_dual_fmac_f32 v21, v41, v42
	v_dual_fmac_f32 v59, v41, v63 :: v_dual_fmac_f32 v58, v40, v42
	ds_load_2addr_b32 v[40:41], v48 offset0:224 offset1:240
	s_wait_dscnt 0x0
	v_dual_fmac_f32 v60, v40, v64 :: v_dual_fmac_f32 v21, v41, v43
	v_dual_fmac_f32 v59, v41, v64 :: v_dual_fmac_f32 v58, v40, v43
	ds_load_b128 v[40:43], v47 offset:2080
	v_fmac_f32_e32 v60, v61, v65
	s_wait_dscnt 0x0
	v_dual_fmac_f32 v59, v62, v65 :: v_dual_fmac_f32 v58, v61, v40
	v_fmac_f32_e32 v21, v62, v40
	ds_load_2addr_b32 v[61:62], v55 offset0:32 offset1:48
	s_wait_dscnt 0x0
	v_dual_fmac_f32 v60, v61, v66 :: v_dual_fmac_f32 v21, v62, v41
	v_dual_fmac_f32 v59, v62, v66 :: v_dual_fmac_f32 v58, v61, v41
	ds_load_2addr_b32 v[40:41], v55 offset0:64 offset1:80
	ds_load_2addr_b32 v[61:62], v55 offset0:128 offset1:144
	s_wait_dscnt 0x1
	v_dual_fmac_f32 v60, v40, v67 :: v_dual_fmac_f32 v21, v41, v42
	v_dual_fmac_f32 v59, v41, v67 :: v_dual_fmac_f32 v58, v40, v42
	ds_load_2addr_b32 v[40:41], v55 offset0:96 offset1:112
	s_wait_dscnt 0x0
	v_dual_fmac_f32 v60, v40, v68 :: v_dual_fmac_f32 v21, v41, v43
	v_dual_fmac_f32 v59, v41, v68 :: v_dual_fmac_f32 v58, v40, v43
	ds_load_b128 v[40:43], v47 offset:2096
	v_fmac_f32_e32 v60, v61, v69
	s_wait_dscnt 0x0
	v_dual_fmac_f32 v59, v62, v69 :: v_dual_fmac_f32 v58, v61, v40
	v_fmac_f32_e32 v21, v62, v40
	ds_load_2addr_b32 v[61:62], v55 offset0:160 offset1:176
	s_wait_dscnt 0x0
	v_dual_fmac_f32 v60, v61, v70 :: v_dual_fmac_f32 v21, v62, v41
	v_dual_fmac_f32 v59, v62, v70 :: v_dual_fmac_f32 v58, v61, v41
	ds_load_2addr_b32 v[40:41], v55 offset0:192 offset1:208
	s_wait_dscnt 0x0
	v_dual_fmac_f32 v60, v40, v71 :: v_dual_fmac_f32 v21, v41, v42
	v_dual_fmac_f32 v59, v41, v71 :: v_dual_fmac_f32 v58, v40, v42
	;; [unrolled: 4-line block ×3, first 2 shown]
	ds_load_b128 v[40:43], v47 offset:64
	ds_load_2addr_b32 v[65:66], v56 offset1:16
	ds_load_b128 v[61:64], v47 offset:2112
	s_wait_dscnt 0x0
	v_dual_fmac_f32 v60, v65, v40 :: v_dual_fmac_f32 v21, v66, v61
	v_dual_fmac_f32 v59, v66, v40 :: v_dual_fmac_f32 v58, v65, v61
	ds_load_2addr_b32 v[65:66], v56 offset0:32 offset1:48
	s_wait_dscnt 0x0
	v_dual_fmac_f32 v60, v65, v41 :: v_dual_fmac_f32 v21, v66, v62
	v_dual_fmac_f32 v59, v66, v41 :: v_dual_fmac_f32 v58, v65, v62
	ds_load_2addr_b32 v[40:41], v56 offset0:64 offset1:80
	;; [unrolled: 4-line block ×3, first 2 shown]
	s_wait_dscnt 0x0
	v_dual_fmac_f32 v60, v40, v43 :: v_dual_fmac_f32 v21, v41, v64
	v_dual_fmac_f32 v59, v41, v43 :: v_dual_fmac_f32 v58, v40, v64
	ds_load_b128 v[40:43], v47 offset:80
	ds_load_2addr_b32 v[65:66], v56 offset0:128 offset1:144
	ds_load_b128 v[61:64], v47 offset:2128
	s_wait_dscnt 0x0
	v_dual_fmac_f32 v60, v65, v40 :: v_dual_fmac_f32 v21, v66, v61
	v_dual_fmac_f32 v59, v66, v40 :: v_dual_fmac_f32 v58, v65, v61
	ds_load_2addr_b32 v[65:66], v56 offset0:160 offset1:176
	s_wait_dscnt 0x0
	v_dual_fmac_f32 v60, v65, v41 :: v_dual_fmac_f32 v21, v66, v62
	v_dual_fmac_f32 v59, v66, v41 :: v_dual_fmac_f32 v58, v65, v62
	ds_load_2addr_b32 v[40:41], v56 offset0:192 offset1:208
	;; [unrolled: 4-line block ×3, first 2 shown]
	s_wait_dscnt 0x0
	v_dual_fmac_f32 v60, v40, v43 :: v_dual_fmac_f32 v21, v41, v64
	v_dual_fmac_f32 v59, v41, v43 :: v_dual_fmac_f32 v58, v40, v64
	ds_load_b128 v[40:43], v47 offset:96
	ds_load_2addr_b32 v[65:66], v57 offset1:16
	ds_load_b128 v[61:64], v47 offset:2144
	s_wait_dscnt 0x0
	v_dual_fmac_f32 v60, v65, v40 :: v_dual_fmac_f32 v21, v66, v61
	v_dual_fmac_f32 v59, v66, v40 :: v_dual_fmac_f32 v58, v65, v61
	ds_load_2addr_b32 v[65:66], v57 offset0:32 offset1:48
	s_wait_dscnt 0x0
	v_dual_fmac_f32 v60, v65, v41 :: v_dual_fmac_f32 v21, v66, v62
	v_dual_fmac_f32 v59, v66, v41 :: v_dual_fmac_f32 v58, v65, v62
	ds_load_2addr_b32 v[40:41], v57 offset0:64 offset1:80
	;; [unrolled: 4-line block ×3, first 2 shown]
	s_wait_dscnt 0x0
	v_dual_fmac_f32 v60, v40, v43 :: v_dual_fmac_f32 v21, v41, v64
	v_dual_fmac_f32 v59, v41, v43 :: v_dual_fmac_f32 v58, v40, v64
	ds_load_b128 v[40:43], v47 offset:112
	ds_load_2addr_b32 v[65:66], v57 offset0:128 offset1:144
	ds_load_b128 v[61:64], v47 offset:2160
	s_wait_dscnt 0x0
	v_dual_fmac_f32 v60, v65, v40 :: v_dual_fmac_f32 v21, v66, v61
	v_dual_fmac_f32 v59, v66, v40 :: v_dual_fmac_f32 v58, v65, v61
	ds_load_2addr_b32 v[65:66], v57 offset0:160 offset1:176
	s_wait_dscnt 0x0
	v_dual_fmac_f32 v60, v65, v41 :: v_dual_fmac_f32 v21, v66, v62
	v_dual_fmac_f32 v59, v66, v41 :: v_dual_fmac_f32 v58, v65, v62
	ds_load_2addr_b32 v[40:41], v57 offset0:192 offset1:208
	s_wait_dscnt 0x0
	v_dual_fmac_f32 v60, v40, v42 :: v_dual_fmac_f32 v21, v41, v63
	v_dual_fmac_f32 v59, v41, v42 :: v_dual_fmac_f32 v58, v40, v63
	ds_load_2addr_b32 v[40:41], v57 offset0:224 offset1:240
	s_wait_loadcnt_dscnt 0x0
	s_barrier_signal -1
	s_barrier_wait -1
	global_inv scope:SCOPE_SE
	v_dual_fmac_f32 v60, v40, v43 :: v_dual_fmac_f32 v21, v41, v64
	v_dual_fmac_f32 v59, v41, v43 :: v_dual_fmac_f32 v58, v40, v64
	s_cbranch_scc1 .LBB21_46
.LBB21_10:                              ;   Parent Loop BB21_4 Depth=1
                                        ;     Parent Loop BB21_7 Depth=2
                                        ; =>    This Inner Loop Header: Depth=3
	s_wait_alu 0xfffe
	v_add_co_u32 v40, s5, v44, s18
	s_wait_alu 0xf1ff
	v_add_co_ci_u32_e64 v41, null, 0, s19, s5
	v_cmp_eq_u64_e64 s7, s[18:19], v[26:27]
                                        ; implicit-def: $vgpr61
	s_delay_alu instid0(VALU_DEP_2)
	v_cmp_gt_i64_e64 s5, v[40:41], v[22:23]
	v_cmp_le_i64_e64 s6, s[36:37], v[40:41]
	s_and_b32 s48, s28, s7
	v_add_co_u32 v42, s7, v34, v28
	s_or_b32 s8, vcc_lo, s5
	v_add_co_ci_u32_e64 v43, null, v35, v29, s7
	s_wait_alu 0xfffe
	s_or_b32 s7, s8, s48
	s_wait_alu 0xfffe
	s_nor_b32 s7, s6, s7
	s_wait_alu 0xfffe
	s_and_saveexec_b32 s8, s7
	s_wait_alu 0xfffe
	s_xor_b32 s7, exec_lo, s8
	s_cbranch_execz .LBB21_12
; %bb.11:                               ;   in Loop: Header=BB21_10 Depth=3
	global_load_b32 v61, v[42:43], off
.LBB21_12:                              ;   in Loop: Header=BB21_10 Depth=3
	s_wait_alu 0xfffe
	s_and_not1_saveexec_b32 s7, s7
	s_cbranch_execz .LBB21_14
; %bb.13:                               ;   in Loop: Header=BB21_10 Depth=3
	s_wait_loadcnt 0x0
	v_cndmask_b32_e64 v61, 0, 1.0, s48
.LBB21_14:                              ;   in Loop: Header=BB21_10 Depth=3
	s_wait_alu 0xfffe
	s_or_b32 exec_lo, exec_lo, s7
	v_add_co_u32 v62, s7, v40, 16
	s_wait_alu 0xf1ff
	v_add_co_ci_u32_e64 v63, null, 0, v41, s7
	v_cmp_eq_u64_e64 s8, s[18:19], v[32:33]
	s_wait_loadcnt 0x0
	ds_store_b32 v49, v61
	v_cmp_gt_i64_e64 s9, v[62:63], v[22:23]
	v_cmp_le_i64_e64 s7, s[36:37], v[62:63]
	s_and_b32 s49, s28, s8
	s_or_b32 s8, vcc_lo, s9
	s_wait_alu 0xfffe
	s_or_b32 s8, s8, s49
	s_wait_alu 0xfffe
	s_nor_b32 s8, s7, s8
	s_wait_alu 0xfffe
	s_and_saveexec_b32 s9, s8
	s_wait_alu 0xfffe
	s_xor_b32 s9, exec_lo, s9
	s_cbranch_execz .LBB21_16
; %bb.15:                               ;   in Loop: Header=BB21_10 Depth=3
	v_add_co_u32 v61, s8, v36, v28
	s_wait_alu 0xf1ff
	v_add_co_ci_u32_e64 v62, null, v37, v29, s8
	global_load_b32 v61, v[61:62], off
	s_wait_loadcnt 0x0
	ds_store_b32 v49, v61 offset:64
.LBB21_16:                              ;   in Loop: Header=BB21_10 Depth=3
	s_wait_alu 0xfffe
	s_and_not1_saveexec_b32 s8, s9
	s_cbranch_execz .LBB21_22
; %bb.17:                               ;   in Loop: Header=BB21_10 Depth=3
	s_xor_b32 s9, s49, -1
	s_wait_alu 0xfffe
	s_and_saveexec_b32 s49, s9
	s_wait_alu 0xfffe
	s_xor_b32 s9, exec_lo, s49
; %bb.18:                               ;   in Loop: Header=BB21_10 Depth=3
	ds_store_b32 v49, v46 offset:64
; %bb.19:                               ;   in Loop: Header=BB21_10 Depth=3
	s_wait_alu 0xfffe
	s_and_not1_saveexec_b32 s9, s9
; %bb.20:                               ;   in Loop: Header=BB21_10 Depth=3
	ds_store_b32 v49, v54 offset:64
; %bb.21:                               ;   in Loop: Header=BB21_10 Depth=3
	s_wait_alu 0xfffe
	s_or_b32 exec_lo, exec_lo, s9
.LBB21_22:                              ;   in Loop: Header=BB21_10 Depth=3
	s_wait_alu 0xfffe
	s_or_b32 exec_lo, exec_lo, s8
	v_cmp_eq_u64_e64 s8, s[18:19], v[30:31]
	v_cmp_gt_i64_e64 s9, v[40:41], v[24:25]
                                        ; implicit-def: $vgpr40
	s_and_b32 s8, s28, s8
	s_or_b32 s9, s4, s9
	s_wait_alu 0xfffe
	s_or_b32 s9, s9, s8
	s_wait_alu 0xfffe
	s_nor_b32 s6, s6, s9
	s_wait_alu 0xfffe
	s_and_saveexec_b32 s9, s6
	s_wait_alu 0xfffe
	s_xor_b32 s6, exec_lo, s9
	s_cbranch_execz .LBB21_24
; %bb.23:                               ;   in Loop: Header=BB21_10 Depth=3
	global_load_b32 v40, v[42:43], off offset:64
.LBB21_24:                              ;   in Loop: Header=BB21_10 Depth=3
	s_wait_alu 0xfffe
	s_and_not1_saveexec_b32 s6, s6
	s_cbranch_execz .LBB21_26
; %bb.25:                               ;   in Loop: Header=BB21_10 Depth=3
	s_wait_loadcnt 0x0
	v_cndmask_b32_e64 v40, 0, 1.0, s8
.LBB21_26:                              ;   in Loop: Header=BB21_10 Depth=3
	s_wait_alu 0xfffe
	s_or_b32 exec_lo, exec_lo, s6
	s_or_b32 s5, s4, s5
	s_wait_loadcnt 0x0
	ds_store_b32 v49, v40 offset:2048
	s_wait_alu 0xfffe
	s_or_b32 s5, s5, s48
	s_wait_alu 0xfffe
	s_nor_b32 s5, s7, s5
	s_wait_alu 0xfffe
	s_and_saveexec_b32 s6, s5
	s_wait_alu 0xfffe
	s_xor_b32 s6, exec_lo, s6
	s_cbranch_execz .LBB21_28
; %bb.27:                               ;   in Loop: Header=BB21_10 Depth=3
	v_add_co_u32 v40, s5, v36, v28
	s_wait_alu 0xf1ff
	v_add_co_ci_u32_e64 v41, null, v37, v29, s5
	global_load_b32 v40, v[40:41], off offset:64
	s_wait_loadcnt 0x0
	ds_store_b32 v49, v40 offset:2112
.LBB21_28:                              ;   in Loop: Header=BB21_10 Depth=3
	s_wait_alu 0xfffe
	s_and_not1_saveexec_b32 s5, s6
	s_cbranch_execz .LBB21_34
; %bb.29:                               ;   in Loop: Header=BB21_10 Depth=3
	s_xor_b32 s6, s48, -1
	s_wait_alu 0xfffe
	s_and_saveexec_b32 s7, s6
	s_wait_alu 0xfffe
	s_xor_b32 s6, exec_lo, s7
; %bb.30:                               ;   in Loop: Header=BB21_10 Depth=3
	ds_store_b32 v49, v46 offset:2112
; %bb.31:                               ;   in Loop: Header=BB21_10 Depth=3
	s_wait_alu 0xfffe
	s_and_not1_saveexec_b32 s6, s6
; %bb.32:                               ;   in Loop: Header=BB21_10 Depth=3
	ds_store_b32 v49, v54 offset:2112
; %bb.33:                               ;   in Loop: Header=BB21_10 Depth=3
	s_wait_alu 0xfffe
	s_or_b32 exec_lo, exec_lo, s6
.LBB21_34:                              ;   in Loop: Header=BB21_10 Depth=3
	s_wait_alu 0xfffe
	s_or_b32 exec_lo, exec_lo, s5
	v_add_co_u32 v40, s5, v45, s18
	s_wait_alu 0xf1ff
	v_add_co_ci_u32_e64 v41, null, 0, s19, s5
	v_add_co_u32 v42, s6, v38, v4
	s_wait_alu 0xf1ff
	v_add_co_ci_u32_e64 v43, null, v39, v5, s6
	s_delay_alu instid0(VALU_DEP_3)
	v_cmp_le_i64_e64 s5, s[36:37], v[40:41]
	v_mov_b32_e32 v61, 0
	s_nor_b32 s7, s5, s0
	s_wait_alu 0xfffe
	s_and_saveexec_b32 s6, s7
	s_cbranch_execz .LBB21_36
; %bb.35:                               ;   in Loop: Header=BB21_10 Depth=3
	global_load_b32 v61, v[42:43], off offset:-64
.LBB21_36:                              ;   in Loop: Header=BB21_10 Depth=3
	s_wait_alu 0xfffe
	s_or_b32 exec_lo, exec_lo, s6
	s_nor_b32 s5, s5, s1
	s_wait_loadcnt 0x0
	ds_store_b32 v50, v61
	s_wait_alu 0xfffe
	s_and_saveexec_b32 s6, s5
	s_wait_alu 0xfffe
	s_xor_b32 s5, exec_lo, s6
	s_cbranch_execz .LBB21_38
; %bb.37:                               ;   in Loop: Header=BB21_10 Depth=3
	global_load_b32 v42, v[42:43], off
	s_wait_loadcnt 0x0
	ds_store_b32 v50, v42 offset:64
.LBB21_38:                              ;   in Loop: Header=BB21_10 Depth=3
	s_wait_alu 0xfffe
	s_and_not1_saveexec_b32 s5, s5
; %bb.39:                               ;   in Loop: Header=BB21_10 Depth=3
	ds_store_b32 v50, v46 offset:64
; %bb.40:                               ;   in Loop: Header=BB21_10 Depth=3
	s_wait_alu 0xfffe
	s_or_b32 exec_lo, exec_lo, s5
	v_cmp_le_i64_e64 s5, s[12:13], v[40:41]
	v_add_co_u32 v40, s6, v38, v0
	s_wait_alu 0xf1ff
	v_add_co_ci_u32_e64 v41, null, v39, v1, s6
	v_mov_b32_e32 v42, 0
	s_delay_alu instid0(VALU_DEP_4)
	s_nor_b32 s7, s5, s0
	s_wait_alu 0xfffe
	s_and_saveexec_b32 s6, s7
	s_cbranch_execz .LBB21_42
; %bb.41:                               ;   in Loop: Header=BB21_10 Depth=3
	global_load_b32 v42, v[40:41], off offset:-64
.LBB21_42:                              ;   in Loop: Header=BB21_10 Depth=3
	s_wait_alu 0xfffe
	s_or_b32 exec_lo, exec_lo, s6
	s_nor_b32 s5, s5, s1
	s_wait_loadcnt 0x0
	ds_store_b32 v50, v42 offset:2048
	s_wait_alu 0xfffe
	s_and_saveexec_b32 s6, s5
	s_wait_alu 0xfffe
	s_xor_b32 s5, exec_lo, s6
	s_cbranch_execz .LBB21_44
; %bb.43:                               ;   in Loop: Header=BB21_10 Depth=3
	global_load_b32 v40, v[40:41], off
	s_wait_loadcnt 0x0
	ds_store_b32 v50, v40 offset:2112
.LBB21_44:                              ;   in Loop: Header=BB21_10 Depth=3
	s_wait_alu 0xfffe
	s_and_not1_saveexec_b32 s5, s5
	s_cbranch_execz .LBB21_9
; %bb.45:                               ;   in Loop: Header=BB21_10 Depth=3
	ds_store_b32 v50, v46 offset:2112
	s_branch .LBB21_9
.LBB21_46:                              ;   in Loop: Header=BB21_7 Depth=2
	v_mul_lo_u32 v25, s25, v22
	s_delay_alu instid0(VALU_DEP_2) | instskip(SKIP_2) | instid1(VALU_DEP_2)
	v_mul_lo_u32 v26, s24, v23
	v_mad_co_u64_u32 v[23:24], null, s24, v22, 0
	v_cmp_gt_i32_e32 vcc_lo, s30, v22
	v_add3_u32 v24, v24, v26, v25
	s_delay_alu instid0(VALU_DEP_1) | instskip(SKIP_1) | instid1(VALU_DEP_1)
	v_lshlrev_b64_e32 v[23:24], 2, v[23:24]
	s_wait_alu 0xfffe
	v_add_co_u32 v23, s4, s16, v23
	s_wait_alu 0xf1ff
	s_delay_alu instid0(VALU_DEP_2)
	v_add_co_ci_u32_e64 v24, null, s17, v24, s4
	s_and_b32 s4, s2, vcc_lo
	s_wait_alu 0xfffe
	s_and_saveexec_b32 s5, s4
	s_cbranch_execz .LBB21_48
; %bb.47:                               ;   in Loop: Header=BB21_7 Depth=2
	v_add_co_u32 v25, s4, v23, v6
	s_wait_alu 0xf1ff
	v_add_co_ci_u32_e64 v26, null, v24, v7, s4
	global_load_b32 v27, v[25:26], off
	s_wait_loadcnt 0x0
	v_fmac_f32_e32 v27, s31, v60
	global_store_b32 v[25:26], v27, off
.LBB21_48:                              ;   in Loop: Header=BB21_7 Depth=2
	s_wait_alu 0xfffe
	s_or_b32 exec_lo, exec_lo, s5
	s_and_b32 s5, s3, vcc_lo
	s_wait_alu 0xfffe
	s_and_saveexec_b32 s4, s5
	s_cbranch_execz .LBB21_50
; %bb.49:                               ;   in Loop: Header=BB21_7 Depth=2
	v_add_co_u32 v23, vcc_lo, v23, v12
	s_wait_alu 0xfffd
	v_add_co_ci_u32_e64 v24, null, v24, v13, vcc_lo
	global_load_b32 v25, v[23:24], off
	s_wait_loadcnt 0x0
	v_fmac_f32_e32 v25, s31, v59
	global_store_b32 v[23:24], v25, off
.LBB21_50:                              ;   in Loop: Header=BB21_7 Depth=2
	s_wait_alu 0xfffe
	s_or_b32 exec_lo, exec_lo, s4
	v_add_nc_u32_e32 v24, 16, v22
	s_delay_alu instid0(VALU_DEP_1) | instskip(SKIP_3) | instid1(VALU_DEP_4)
	v_ashrrev_i32_e32 v25, 31, v24
	v_mul_lo_u32 v26, s25, v24
	v_mad_co_u64_u32 v[22:23], null, s24, v24, 0
	v_cmp_gt_i32_e32 vcc_lo, s30, v24
	v_mul_lo_u32 v25, s24, v25
	s_delay_alu instid0(VALU_DEP_1) | instskip(NEXT) | instid1(VALU_DEP_1)
	v_add3_u32 v23, v23, v25, v26
	v_lshlrev_b64_e32 v[22:23], 2, v[22:23]
	s_delay_alu instid0(VALU_DEP_1) | instskip(SKIP_1) | instid1(VALU_DEP_2)
	v_add_co_u32 v22, s4, s16, v22
	s_wait_alu 0xf1ff
	v_add_co_ci_u32_e64 v23, null, s17, v23, s4
	s_and_b32 s4, s2, vcc_lo
	s_wait_alu 0xfffe
	s_and_saveexec_b32 s5, s4
	s_cbranch_execz .LBB21_52
; %bb.51:                               ;   in Loop: Header=BB21_7 Depth=2
	v_add_co_u32 v24, s4, v22, v6
	s_wait_alu 0xf1ff
	v_add_co_ci_u32_e64 v25, null, v23, v7, s4
	global_load_b32 v26, v[24:25], off
	s_wait_loadcnt 0x0
	v_fmac_f32_e32 v26, s31, v58
	global_store_b32 v[24:25], v26, off
.LBB21_52:                              ;   in Loop: Header=BB21_7 Depth=2
	s_wait_alu 0xfffe
	s_or_b32 exec_lo, exec_lo, s5
	s_and_b32 s5, s3, vcc_lo
	s_wait_alu 0xfffe
	s_and_saveexec_b32 s4, s5
	s_cbranch_execz .LBB21_6
; %bb.53:                               ;   in Loop: Header=BB21_7 Depth=2
	v_add_co_u32 v22, vcc_lo, v22, v12
	s_wait_alu 0xfffd
	v_add_co_ci_u32_e64 v23, null, v23, v13, vcc_lo
	global_load_b32 v24, v[22:23], off
	s_wait_loadcnt 0x0
	v_fmac_f32_e32 v24, s31, v21
	global_store_b32 v[22:23], v24, off
	s_branch .LBB21_6
.LBB21_54:
	s_endpgm
	.section	.rodata,"a",@progbits
	.p2align	6, 0x0
	.amdhsa_kernel _ZL30rocblas_trmm_outofplace_kernelIfLi32ELi2ELb0ELb0ELb1ELb1EfKffEv17rocblas_diagonal_iiT6_lPT7_lllS4_lllPT8_llli
		.amdhsa_group_segment_fixed_size 8192
		.amdhsa_private_segment_fixed_size 0
		.amdhsa_kernarg_size 384
		.amdhsa_user_sgpr_count 2
		.amdhsa_user_sgpr_dispatch_ptr 0
		.amdhsa_user_sgpr_queue_ptr 0
		.amdhsa_user_sgpr_kernarg_segment_ptr 1
		.amdhsa_user_sgpr_dispatch_id 0
		.amdhsa_user_sgpr_private_segment_size 0
		.amdhsa_wavefront_size32 1
		.amdhsa_uses_dynamic_stack 0
		.amdhsa_enable_private_segment 0
		.amdhsa_system_sgpr_workgroup_id_x 1
		.amdhsa_system_sgpr_workgroup_id_y 1
		.amdhsa_system_sgpr_workgroup_id_z 1
		.amdhsa_system_sgpr_workgroup_info 0
		.amdhsa_system_vgpr_workitem_id 1
		.amdhsa_next_free_vgpr 79
		.amdhsa_next_free_sgpr 50
		.amdhsa_reserve_vcc 1
		.amdhsa_float_round_mode_32 0
		.amdhsa_float_round_mode_16_64 0
		.amdhsa_float_denorm_mode_32 3
		.amdhsa_float_denorm_mode_16_64 3
		.amdhsa_fp16_overflow 0
		.amdhsa_workgroup_processor_mode 1
		.amdhsa_memory_ordered 1
		.amdhsa_forward_progress 1
		.amdhsa_inst_pref_size 28
		.amdhsa_round_robin_scheduling 0
		.amdhsa_exception_fp_ieee_invalid_op 0
		.amdhsa_exception_fp_denorm_src 0
		.amdhsa_exception_fp_ieee_div_zero 0
		.amdhsa_exception_fp_ieee_overflow 0
		.amdhsa_exception_fp_ieee_underflow 0
		.amdhsa_exception_fp_ieee_inexact 0
		.amdhsa_exception_int_div_zero 0
	.end_amdhsa_kernel
	.section	.text._ZL30rocblas_trmm_outofplace_kernelIfLi32ELi2ELb0ELb0ELb1ELb1EfKffEv17rocblas_diagonal_iiT6_lPT7_lllS4_lllPT8_llli,"axG",@progbits,_ZL30rocblas_trmm_outofplace_kernelIfLi32ELi2ELb0ELb0ELb1ELb1EfKffEv17rocblas_diagonal_iiT6_lPT7_lllS4_lllPT8_llli,comdat
.Lfunc_end21:
	.size	_ZL30rocblas_trmm_outofplace_kernelIfLi32ELi2ELb0ELb0ELb1ELb1EfKffEv17rocblas_diagonal_iiT6_lPT7_lllS4_lllPT8_llli, .Lfunc_end21-_ZL30rocblas_trmm_outofplace_kernelIfLi32ELi2ELb0ELb0ELb1ELb1EfKffEv17rocblas_diagonal_iiT6_lPT7_lllS4_lllPT8_llli
                                        ; -- End function
	.set _ZL30rocblas_trmm_outofplace_kernelIfLi32ELi2ELb0ELb0ELb1ELb1EfKffEv17rocblas_diagonal_iiT6_lPT7_lllS4_lllPT8_llli.num_vgpr, 79
	.set _ZL30rocblas_trmm_outofplace_kernelIfLi32ELi2ELb0ELb0ELb1ELb1EfKffEv17rocblas_diagonal_iiT6_lPT7_lllS4_lllPT8_llli.num_agpr, 0
	.set _ZL30rocblas_trmm_outofplace_kernelIfLi32ELi2ELb0ELb0ELb1ELb1EfKffEv17rocblas_diagonal_iiT6_lPT7_lllS4_lllPT8_llli.numbered_sgpr, 50
	.set _ZL30rocblas_trmm_outofplace_kernelIfLi32ELi2ELb0ELb0ELb1ELb1EfKffEv17rocblas_diagonal_iiT6_lPT7_lllS4_lllPT8_llli.num_named_barrier, 0
	.set _ZL30rocblas_trmm_outofplace_kernelIfLi32ELi2ELb0ELb0ELb1ELb1EfKffEv17rocblas_diagonal_iiT6_lPT7_lllS4_lllPT8_llli.private_seg_size, 0
	.set _ZL30rocblas_trmm_outofplace_kernelIfLi32ELi2ELb0ELb0ELb1ELb1EfKffEv17rocblas_diagonal_iiT6_lPT7_lllS4_lllPT8_llli.uses_vcc, 1
	.set _ZL30rocblas_trmm_outofplace_kernelIfLi32ELi2ELb0ELb0ELb1ELb1EfKffEv17rocblas_diagonal_iiT6_lPT7_lllS4_lllPT8_llli.uses_flat_scratch, 0
	.set _ZL30rocblas_trmm_outofplace_kernelIfLi32ELi2ELb0ELb0ELb1ELb1EfKffEv17rocblas_diagonal_iiT6_lPT7_lllS4_lllPT8_llli.has_dyn_sized_stack, 0
	.set _ZL30rocblas_trmm_outofplace_kernelIfLi32ELi2ELb0ELb0ELb1ELb1EfKffEv17rocblas_diagonal_iiT6_lPT7_lllS4_lllPT8_llli.has_recursion, 0
	.set _ZL30rocblas_trmm_outofplace_kernelIfLi32ELi2ELb0ELb0ELb1ELb1EfKffEv17rocblas_diagonal_iiT6_lPT7_lllS4_lllPT8_llli.has_indirect_call, 0
	.section	.AMDGPU.csdata,"",@progbits
; Kernel info:
; codeLenInByte = 3480
; TotalNumSgprs: 52
; NumVgprs: 79
; ScratchSize: 0
; MemoryBound: 0
; FloatMode: 240
; IeeeMode: 1
; LDSByteSize: 8192 bytes/workgroup (compile time only)
; SGPRBlocks: 0
; VGPRBlocks: 9
; NumSGPRsForWavesPerEU: 52
; NumVGPRsForWavesPerEU: 79
; Occupancy: 16
; WaveLimiterHint : 0
; COMPUTE_PGM_RSRC2:SCRATCH_EN: 0
; COMPUTE_PGM_RSRC2:USER_SGPR: 2
; COMPUTE_PGM_RSRC2:TRAP_HANDLER: 0
; COMPUTE_PGM_RSRC2:TGID_X_EN: 1
; COMPUTE_PGM_RSRC2:TGID_Y_EN: 1
; COMPUTE_PGM_RSRC2:TGID_Z_EN: 1
; COMPUTE_PGM_RSRC2:TIDIG_COMP_CNT: 1
	.section	.text._ZL30rocblas_trmm_outofplace_kernelIfLi32ELi2ELb0ELb1ELb1ELb1EPKfS0_fEv17rocblas_diagonal_iiT6_lPT7_lllS5_lllPT8_llli,"axG",@progbits,_ZL30rocblas_trmm_outofplace_kernelIfLi32ELi2ELb0ELb1ELb1ELb1EPKfS0_fEv17rocblas_diagonal_iiT6_lPT7_lllS5_lllPT8_llli,comdat
	.globl	_ZL30rocblas_trmm_outofplace_kernelIfLi32ELi2ELb0ELb1ELb1ELb1EPKfS0_fEv17rocblas_diagonal_iiT6_lPT7_lllS5_lllPT8_llli ; -- Begin function _ZL30rocblas_trmm_outofplace_kernelIfLi32ELi2ELb0ELb1ELb1ELb1EPKfS0_fEv17rocblas_diagonal_iiT6_lPT7_lllS5_lllPT8_llli
	.p2align	8
	.type	_ZL30rocblas_trmm_outofplace_kernelIfLi32ELi2ELb0ELb1ELb1ELb1EPKfS0_fEv17rocblas_diagonal_iiT6_lPT7_lllS5_lllPT8_llli,@function
_ZL30rocblas_trmm_outofplace_kernelIfLi32ELi2ELb0ELb1ELb1ELb1EPKfS0_fEv17rocblas_diagonal_iiT6_lPT7_lllS5_lllPT8_llli: ; @_ZL30rocblas_trmm_outofplace_kernelIfLi32ELi2ELb0ELb1ELb1ELb1EPKfS0_fEv17rocblas_diagonal_iiT6_lPT7_lllS5_lllPT8_llli
; %bb.0:
	s_load_b32 s11, s[0:1], 0x80
	s_lshr_b32 s34, ttmp7, 16
	s_wait_kmcnt 0x0
	s_cmp_ge_u32 s34, s11
	s_cbranch_scc1 .LBB22_56
; %bb.1:
	s_clause 0x3
	s_load_b96 s[8:10], s[0:1], 0x0
	s_load_b256 s[36:43], s[0:1], 0x50
	s_load_b512 s[12:27], s[0:1], 0x10
	s_load_b128 s[28:31], s[0:1], 0x70
	s_add_nc_u64 s[44:45], s[0:1], 0x88
	v_dual_mov_b32 v45, 0 :: v_dual_and_b32 v6, 0x3ff, v0
	v_bfe_u32 v38, v0, 10, 10
	s_and_b32 s33, ttmp7, 0xffff
	v_mov_b32_e32 v46, 1.0
	s_delay_alu instid0(VALU_DEP_3) | instskip(SKIP_3) | instid1(VALU_DEP_3)
	v_lshl_add_u32 v2, ttmp9, 5, v6
	v_lshlrev_b32_e32 v0, 2, v6
	v_lshlrev_b32_e32 v39, 7, v38
	s_mov_b32 s35, 0
	v_ashrrev_i32_e32 v3, 31, v2
	s_delay_alu instid0(VALU_DEP_3) | instskip(NEXT) | instid1(VALU_DEP_3)
	v_or_b32_e32 v40, 0x1000, v0
	v_add_nc_u32_e32 v41, v39, v0
	v_add_nc_u32_e32 v0, 16, v2
	s_delay_alu instid0(VALU_DEP_3)
	v_add_nc_u32_e32 v42, v40, v39
	s_wait_kmcnt 0x0
	s_add_co_i32 s0, s10, -1
	s_lshl_b64 s[2:3], s[42:43], 2
	s_wait_alu 0xfffe
	s_ashr_i32 s1, s0, 31
	s_add_nc_u64 s[40:41], s[40:41], s[2:3]
	s_wait_alu 0xfffe
	s_lshr_b32 s1, s1, 27
	v_sub_co_u32 v4, vcc_lo, s9, v2
	s_wait_alu 0xfffe
	s_add_co_i32 s0, s0, s1
	v_cmp_gt_i32_e64 s1, s9, v0
	s_wait_alu 0xfffe
	s_ashr_i32 s56, s0, 5
	v_cmp_gt_i32_e64 s0, s9, v2
	s_cmp_le_i32 s33, s56
	v_ashrrev_i32_e32 v1, 31, v0
	s_cselect_b32 s57, -1, 0
	s_cmp_eq_u32 s8, 0x84
	v_add_nc_u32_e32 v47, 0x400, v40
	s_cselect_b32 s58, -1, 0
	s_ashr_i32 s2, s9, 31
	s_lshl_b32 s4, s33, 5
	v_sub_co_ci_u32_e64 v5, null, s2, v3, vcc_lo
	v_lshlrev_b64_e32 v[2:3], 2, v[2:3]
	v_add_nc_u32_e32 v43, s4, v6
	v_add_nc_u32_e32 v44, s4, v38
	s_lshl_b64 s[4:5], s[26:27], 2
	v_cmp_gt_i64_e64 s2, 1, v[4:5]
	s_wait_alu 0xfffe
	s_add_nc_u64 s[4:5], s[24:25], s[4:5]
	v_cmp_gt_i64_e64 s3, 17, v[4:5]
	s_wait_alu 0xfffe
	v_add_co_u32 v4, vcc_lo, s4, v2
	s_wait_alu 0xfffd
	v_add_co_ci_u32_e64 v5, null, s5, v3, vcc_lo
	v_add_nc_u32_e32 v48, 0x800, v40
	v_add_nc_u32_e32 v49, 0xc00, v40
	s_mov_b32 s42, s10
	s_ashr_i32 s43, s10, 31
	s_lshl_b64 s[4:5], s[18:19], 2
	s_lshl_b64 s[46:47], s[20:21], 7
	;; [unrolled: 1-line block ×3, first 2 shown]
	s_add_nc_u64 s[50:51], s[42:43], -16
	s_lshl_b64 s[26:27], s[36:37], 2
	s_lshl_b64 s[18:19], s[38:39], 2
	s_wait_alu 0xfffe
	s_add_nc_u64 s[16:17], s[16:17], s[4:5]
	s_lshl_b64 s[22:23], s[22:23], 2
	s_lshl_b64 s[24:25], s[20:21], 2
	s_branch .LBB22_4
.LBB22_2:                               ;   in Loop: Header=BB22_4 Depth=1
	s_add_co_i32 s34, s34, 0x10000
	s_wait_alu 0xfffe
	s_cmp_ge_u32 s34, s11
	s_cselect_b32 s4, -1, 0
.LBB22_3:                               ;   in Loop: Header=BB22_4 Depth=1
	s_wait_alu 0xfffe
	s_and_b32 vcc_lo, exec_lo, s4
	s_wait_alu 0xfffe
	s_cbranch_vccnz .LBB22_56
.LBB22_4:                               ; =>This Loop Header: Depth=1
                                        ;     Child Loop BB22_8 Depth 2
                                        ;       Child Loop BB22_11 Depth 3
	s_mul_u64 s[4:5], s[14:15], s[34:35]
	s_wait_alu 0xfffe
	s_lshl_b64 s[4:5], s[4:5], 2
	s_wait_alu 0xfffe
	s_add_nc_u64 s[4:5], s[12:13], s[4:5]
	global_load_b32 v50, v45, s[4:5]
	s_mov_b32 s4, -1
	s_wait_loadcnt 0x0
	v_cmp_eq_f32_e32 vcc_lo, 0, v50
	s_cbranch_vccnz .LBB22_3
; %bb.5:                                ;   in Loop: Header=BB22_4 Depth=1
	s_and_not1_b32 vcc_lo, exec_lo, s57
	s_wait_alu 0xfffe
	s_cbranch_vccnz .LBB22_2
; %bb.6:                                ;   in Loop: Header=BB22_4 Depth=1
	s_load_b32 s59, s[44:45], 0x4
	v_mad_co_u64_u32 v[6:7], null, s18, s34, v[4:5]
	s_mul_u64 s[4:5], s[30:31], s[34:35]
	v_mov_b32_e32 v10, v43
	s_mul_u64 s[6:7], s[22:23], s[34:35]
	s_wait_alu 0xfffe
	s_lshl_b64 s[4:5], s[4:5], 2
	s_add_nc_u64 s[52:53], s[16:17], s[6:7]
	s_wait_alu 0xfffe
	s_add_nc_u64 s[38:39], s[40:41], s[4:5]
	v_mad_co_u64_u32 v[7:8], null, s19, s34, v[7:8]
	v_mov_b32_e32 v8, v44
	s_mov_b32 s61, s33
	s_wait_kmcnt 0x0
	s_lshl_b32 s60, s59, 5
	s_branch .LBB22_8
.LBB22_7:                               ;   in Loop: Header=BB22_8 Depth=2
	s_wait_alu 0xfffe
	s_or_b32 exec_lo, exec_lo, s4
	v_add_nc_u32_e32 v10, s60, v10
	v_add_nc_u32_e32 v8, s60, v8
	s_add_co_i32 s61, s59, s61
	s_wait_alu 0xfffe
	s_cmp_gt_i32 s61, s56
	s_cbranch_scc1 .LBB22_2
.LBB22_8:                               ;   Parent Loop BB22_4 Depth=1
                                        ; =>  This Loop Header: Depth=2
                                        ;       Child Loop BB22_11 Depth 3
	s_wait_alu 0xfffe
	s_lshl_b32 s4, s61, 5
	v_ashrrev_i32_e32 v11, 31, v10
	s_wait_alu 0xfffe
	v_add_nc_u32_e32 v12, s4, v38
	v_ashrrev_i32_e32 v9, 31, v8
	s_sub_co_i32 s62, s10, s4
	s_wait_alu 0xfffe
	s_cmp_lt_i32 s62, 1
	v_ashrrev_i32_e32 v13, 31, v12
	s_cbranch_scc1 .LBB22_47
; %bb.9:                                ;   in Loop: Header=BB22_8 Depth=2
	v_lshlrev_b64_e32 v[16:17], 2, v[8:9]
	v_lshlrev_b64_e32 v[20:21], 2, v[10:11]
	v_sub_co_u32 v14, vcc_lo, v8, v10
	s_wait_alu 0xfffd
	v_sub_co_ci_u32_e64 v15, null, v9, v11, vcc_lo
	s_delay_alu instid0(VALU_DEP_4)
	v_add_co_u32 v22, vcc_lo, v16, 64
	s_wait_alu 0xfffd
	v_add_co_ci_u32_e64 v23, null, 0, v17, vcc_lo
	v_add_co_u32 v24, vcc_lo, v20, 64
	v_mad_co_u64_u32 v[18:19], null, s26, v8, 64
	v_mul_lo_u32 v26, s26, v9
	v_mul_lo_u32 v27, s27, v8
	s_wait_alu 0xfffd
	v_add_co_ci_u32_e64 v25, null, 0, v21, vcc_lo
	v_mul_lo_u32 v28, s36, v23
	v_mul_lo_u32 v29, s37, v22
	v_mad_co_u64_u32 v[20:21], null, s36, v22, 64
	s_delay_alu instid0(VALU_DEP_4)
	v_mul_lo_u32 v30, s20, v25
	v_mul_lo_u32 v31, s21, v24
	v_mad_co_u64_u32 v[22:23], null, s20, v24, s[52:53]
	v_mad_co_u64_u32 v[24:25], null, s24, v10, s[52:53]
	v_mul_lo_u32 v32, s24, v11
	v_mul_lo_u32 v33, s25, v10
	v_add3_u32 v19, v27, v19, v26
	v_add_co_u32 v26, vcc_lo, v12, 16
	s_wait_alu 0xfffd
	v_add_co_ci_u32_e64 v27, null, 0, v13, vcc_lo
	v_add3_u32 v21, v29, v21, v28
	v_add_co_u32 v28, s5, v14, 16
	v_add3_u32 v23, v31, v23, v30
	s_wait_alu 0xf1ff
	v_add_co_ci_u32_e64 v29, null, 0, v15, s5
	v_add_co_u32 v30, s5, v14, -16
	v_add3_u32 v25, v33, v25, v32
	v_cmp_le_i64_e64 s4, s[42:43], v[26:27]
	v_dual_mov_b32 v33, v7 :: v_dual_mov_b32 v52, 0
	s_wait_alu 0xf1ff
	v_add_co_ci_u32_e64 v31, null, -1, v15, s5
	v_dual_mov_b32 v51, 0 :: v_dual_mov_b32 v32, v6
	v_dual_mov_b32 v53, 0 :: v_dual_mov_b32 v54, 0
	s_mov_b64 s[54:55], 0
	v_cmp_le_i32_e32 vcc_lo, s10, v12
	s_branch .LBB22_11
.LBB22_10:                              ;   in Loop: Header=BB22_11 Depth=3
	s_wait_alu 0xfffe
	s_or_b32 exec_lo, exec_lo, s5
	s_wait_dscnt 0x0
	s_barrier_signal -1
	s_barrier_wait -1
	global_inv scope:SCOPE_SE
	ds_load_b128 v[34:37], v39
	ds_load_2addr_b32 v[75:76], v40 offset1:16
	ds_load_b128 v[55:58], v39 offset:2048
	ds_load_2addr_b32 v[77:78], v40 offset0:32 offset1:48
	ds_load_b128 v[59:62], v39 offset:16
	ds_load_2addr_b32 v[79:80], v40 offset0:64 offset1:80
	ds_load_b128 v[63:66], v39 offset:32
	ds_load_b128 v[67:70], v39 offset:48
	ds_load_2addr_b32 v[81:82], v40 offset0:96 offset1:112
	ds_load_2addr_b32 v[83:84], v40 offset0:128 offset1:144
	ds_load_b128 v[71:74], v39 offset:2064
	ds_load_2addr_b32 v[85:86], v40 offset0:160 offset1:176
	ds_load_2addr_b32 v[87:88], v40 offset0:192 offset1:208
	;; [unrolled: 1-line block ×3, first 2 shown]
	ds_load_2addr_b32 v[91:92], v47 offset1:16
	ds_load_2addr_b32 v[93:94], v47 offset0:32 offset1:48
	v_add_co_u32 v32, s5, v32, s48
	s_wait_alu 0xf1ff
	v_add_co_ci_u32_e64 v33, null, s49, v33, s5
	v_add_co_u32 v22, s5, v22, s46
	s_wait_dscnt 0xd
	v_dual_fmac_f32 v54, v75, v34 :: v_dual_fmac_f32 v51, v76, v55
	v_dual_fmac_f32 v53, v76, v34 :: v_dual_fmac_f32 v52, v75, v55
	ds_load_2addr_b32 v[75:76], v47 offset0:64 offset1:80
	s_wait_dscnt 0xd
	v_dual_fmac_f32 v54, v77, v35 :: v_dual_fmac_f32 v51, v78, v56
	v_dual_fmac_f32 v53, v78, v35 :: v_dual_fmac_f32 v52, v77, v56
	ds_load_2addr_b32 v[77:78], v47 offset0:96 offset1:112
	s_wait_dscnt 0xc
	v_dual_fmac_f32 v54, v79, v36 :: v_dual_fmac_f32 v51, v80, v57
	v_dual_fmac_f32 v53, v80, v36 :: v_dual_fmac_f32 v52, v79, v57
	ds_load_2addr_b32 v[79:80], v47 offset0:128 offset1:144
	s_wait_dscnt 0xa
	v_dual_fmac_f32 v54, v81, v37 :: v_dual_fmac_f32 v51, v82, v58
	v_dual_fmac_f32 v53, v82, v37 :: v_dual_fmac_f32 v52, v81, v58
	ds_load_b128 v[34:37], v39 offset:2080
	ds_load_b128 v[55:58], v39 offset:2096
	ds_load_2addr_b32 v[81:82], v47 offset0:160 offset1:176
	s_wait_dscnt 0xb
	v_fmac_f32_e32 v51, v84, v71
	v_fmac_f32_e32 v53, v84, v59
	v_fmac_f32_e32 v54, v83, v59
	v_fmac_f32_e32 v52, v83, v71
	ds_load_2addr_b32 v[83:84], v47 offset0:192 offset1:208
	s_wait_dscnt 0xb
	v_fmac_f32_e32 v51, v86, v72
	v_fmac_f32_e32 v53, v86, v60
	v_fmac_f32_e32 v54, v85, v60
	v_fmac_f32_e32 v52, v85, v72
	;; [unrolled: 6-line block ×3, first 2 shown]
	ds_load_2addr_b32 v[87:88], v48 offset1:16
	s_wait_dscnt 0xb
	v_fmac_f32_e32 v51, v90, v74
	v_fmac_f32_e32 v53, v90, v62
	;; [unrolled: 1-line block ×4, first 2 shown]
	ds_load_b128 v[59:62], v39 offset:64
	s_wait_dscnt 0x6
	v_fmac_f32_e32 v51, v92, v34
	v_fmac_f32_e32 v53, v92, v63
	;; [unrolled: 1-line block ×4, first 2 shown]
	ds_load_b128 v[71:74], v39 offset:2112
	v_fmac_f32_e32 v51, v94, v35
	v_fmac_f32_e32 v53, v94, v64
	v_fmac_f32_e32 v54, v93, v64
	v_fmac_f32_e32 v52, v93, v35
	ds_load_2addr_b32 v[63:64], v48 offset0:32 offset1:48
	v_fmac_f32_e32 v51, v76, v36
	v_fmac_f32_e32 v53, v76, v65
	v_fmac_f32_e32 v54, v75, v65
	v_fmac_f32_e32 v52, v75, v36
	ds_load_2addr_b32 v[75:76], v48 offset0:96 offset1:112
	;; [unrolled: 5-line block ×3, first 2 shown]
	s_wait_dscnt 0x9
	v_fmac_f32_e32 v51, v80, v55
	v_fmac_f32_e32 v53, v80, v67
	;; [unrolled: 1-line block ×4, first 2 shown]
	ds_load_b128 v[34:37], v39 offset:80
	s_wait_dscnt 0x9
	v_fmac_f32_e32 v51, v82, v56
	v_fmac_f32_e32 v53, v82, v68
	;; [unrolled: 1-line block ×4, first 2 shown]
	ds_load_2addr_b32 v[67:68], v48 offset0:128 offset1:144
	s_wait_dscnt 0x9
	v_fmac_f32_e32 v51, v84, v57
	v_fmac_f32_e32 v53, v84, v69
	;; [unrolled: 1-line block ×4, first 2 shown]
	ds_load_2addr_b32 v[77:78], v48 offset0:224 offset1:240
	s_wait_dscnt 0x9
	v_fmac_f32_e32 v51, v86, v58
	v_fmac_f32_e32 v53, v86, v70
	;; [unrolled: 1-line block ×4, first 2 shown]
	ds_load_b128 v[55:58], v39 offset:2128
	s_wait_dscnt 0x7
	v_fmac_f32_e32 v51, v88, v71
	v_fmac_f32_e32 v53, v88, v59
	;; [unrolled: 1-line block ×4, first 2 shown]
	ds_load_2addr_b32 v[69:70], v48 offset0:160 offset1:176
	s_wait_dscnt 0x7
	v_fmac_f32_e32 v51, v64, v72
	v_fmac_f32_e32 v53, v64, v60
	;; [unrolled: 1-line block ×4, first 2 shown]
	ds_load_2addr_b32 v[71:72], v48 offset0:192 offset1:208
	s_wait_dscnt 0x6
	v_fmac_f32_e32 v51, v66, v73
	v_fmac_f32_e32 v53, v66, v61
	;; [unrolled: 1-line block ×4, first 2 shown]
	s_wait_alu 0xf1ff
	v_add_co_ci_u32_e64 v23, null, s47, v23, s5
	v_fmac_f32_e32 v53, v76, v62
	v_fmac_f32_e32 v54, v75, v62
	;; [unrolled: 1-line block ×4, first 2 shown]
	ds_load_b128 v[59:62], v39 offset:96
	ds_load_2addr_b32 v[73:74], v49 offset1:16
	s_wait_dscnt 0x6
	v_fmac_f32_e32 v53, v68, v34
	s_wait_dscnt 0x4
	v_dual_fmac_f32 v54, v67, v34 :: v_dual_fmac_f32 v51, v68, v55
	v_fmac_f32_e32 v52, v67, v55
	ds_load_b128 v[63:66], v39 offset:2144
	s_wait_dscnt 0x4
	v_fmac_f32_e32 v53, v70, v35
	v_dual_fmac_f32 v54, v69, v35 :: v_dual_fmac_f32 v51, v70, v56
	ds_load_2addr_b32 v[67:68], v49 offset0:32 offset1:48
	v_fmac_f32_e32 v52, v69, v56
	s_wait_dscnt 0x4
	v_fmac_f32_e32 v53, v72, v36
	v_dual_fmac_f32 v54, v71, v36 :: v_dual_fmac_f32 v51, v72, v57
	ds_load_2addr_b32 v[69:70], v49 offset0:64 offset1:80
	v_fmac_f32_e32 v52, v71, v57
	v_fmac_f32_e32 v53, v78, v37
	v_dual_fmac_f32 v54, v77, v37 :: v_dual_fmac_f32 v51, v78, v58
	ds_load_2addr_b32 v[71:72], v49 offset0:96 offset1:112
	v_fmac_f32_e32 v52, v77, v58
	ds_load_b128 v[34:37], v39 offset:112
	s_wait_dscnt 0x5
	v_fmac_f32_e32 v53, v74, v59
	v_fmac_f32_e32 v54, v73, v59
	ds_load_2addr_b32 v[75:76], v49 offset0:128 offset1:144
	ds_load_b128 v[55:58], v39 offset:2160
	s_wait_dscnt 0x6
	v_fmac_f32_e32 v51, v74, v63
	v_fmac_f32_e32 v52, v73, v63
	ds_load_2addr_b32 v[73:74], v49 offset0:160 offset1:176
	v_add_co_u32 v24, s5, v24, s46
	s_wait_dscnt 0x6
	v_fmac_f32_e32 v53, v68, v60
	v_fmac_f32_e32 v54, v67, v60
	;; [unrolled: 1-line block ×4, first 2 shown]
	ds_load_2addr_b32 v[59:60], v49 offset0:192 offset1:208
	s_wait_dscnt 0x6
	v_fmac_f32_e32 v53, v70, v61
	v_fmac_f32_e32 v54, v69, v61
	;; [unrolled: 1-line block ×4, first 2 shown]
	ds_load_2addr_b32 v[63:64], v49 offset0:224 offset1:240
	s_wait_dscnt 0x6
	v_fmac_f32_e32 v53, v72, v62
	v_fmac_f32_e32 v54, v71, v62
	;; [unrolled: 1-line block ×4, first 2 shown]
	s_wait_alu 0xf1ff
	v_add_co_ci_u32_e64 v25, null, s47, v25, s5
	s_wait_dscnt 0x3
	v_dual_fmac_f32 v54, v75, v34 :: v_dual_fmac_f32 v51, v76, v55
	v_dual_fmac_f32 v53, v76, v34 :: v_dual_fmac_f32 v52, v75, v55
	s_add_nc_u64 s[54:55], s[54:55], 32
	s_wait_dscnt 0x2
	s_delay_alu instid0(VALU_DEP_2) | instskip(NEXT) | instid1(VALU_DEP_2)
	v_dual_fmac_f32 v54, v73, v35 :: v_dual_fmac_f32 v51, v74, v56
	v_dual_fmac_f32 v53, v74, v35 :: v_dual_fmac_f32 v52, v73, v56
	s_wait_alu 0xfffe
	s_cmp_ge_i32 s54, s62
	s_wait_dscnt 0x1
	v_dual_fmac_f32 v54, v59, v36 :: v_dual_fmac_f32 v51, v60, v57
	v_dual_fmac_f32 v53, v60, v36 :: v_dual_fmac_f32 v52, v59, v57
	s_wait_loadcnt_dscnt 0x0
	s_delay_alu instid0(VALU_DEP_2) | instskip(NEXT) | instid1(VALU_DEP_2)
	v_dual_fmac_f32 v54, v63, v37 :: v_dual_fmac_f32 v51, v64, v58
	v_dual_fmac_f32 v53, v64, v37 :: v_dual_fmac_f32 v52, v63, v58
	s_barrier_signal -1
	s_barrier_wait -1
	global_inv scope:SCOPE_SE
	s_cbranch_scc1 .LBB22_48
.LBB22_11:                              ;   Parent Loop BB22_4 Depth=1
                                        ;     Parent Loop BB22_8 Depth=2
                                        ; =>    This Inner Loop Header: Depth=3
	s_wait_alu 0xfffe
	v_add_co_u32 v34, s5, v10, s54
	s_wait_alu 0xf1ff
	v_add_co_ci_u32_e64 v35, null, s55, v11, s5
	v_cmp_eq_u64_e64 s7, s[54:55], v[14:15]
	v_add_co_u32 v36, s8, v24, v16
	s_delay_alu instid0(VALU_DEP_3)
	v_cmp_lt_i64_e64 s5, v[34:35], v[12:13]
	v_cmp_le_i64_e64 s6, s[42:43], v[34:35]
	s_wait_alu 0xf1ff
	v_add_co_ci_u32_e64 v37, null, v25, v17, s8
	s_and_b32 s63, s58, s7
                                        ; implicit-def: $vgpr55
	s_or_b32 s8, vcc_lo, s5
	s_wait_alu 0xfffe
	s_or_b32 s7, s6, s8
	s_wait_alu 0xfffe
	s_nor_b32 s7, s7, s63
	s_wait_alu 0xfffe
	s_and_saveexec_b32 s8, s7
	s_wait_alu 0xfffe
	s_xor_b32 s7, exec_lo, s8
	s_cbranch_execz .LBB22_13
; %bb.12:                               ;   in Loop: Header=BB22_11 Depth=3
	global_load_b32 v55, v[36:37], off
.LBB22_13:                              ;   in Loop: Header=BB22_11 Depth=3
	s_wait_alu 0xfffe
	s_and_not1_saveexec_b32 s7, s7
	s_cbranch_execz .LBB22_15
; %bb.14:                               ;   in Loop: Header=BB22_11 Depth=3
	s_wait_loadcnt 0x0
	v_cndmask_b32_e64 v55, 0, 1.0, s63
.LBB22_15:                              ;   in Loop: Header=BB22_11 Depth=3
	s_wait_alu 0xfffe
	s_or_b32 exec_lo, exec_lo, s7
	v_add_co_u32 v56, s7, v34, 16
	s_wait_alu 0xf1ff
	v_add_co_ci_u32_e64 v57, null, 0, v35, s7
	v_cmp_eq_u64_e64 s9, s[54:55], v[30:31]
	s_wait_loadcnt 0x0
	ds_store_b32 v41, v55
	v_cmp_lt_i64_e64 s8, v[56:57], v[12:13]
	v_cmp_le_i64_e64 s7, s[42:43], v[56:57]
	s_and_b32 s9, s58, s9
	s_or_b32 s8, vcc_lo, s8
	s_wait_alu 0xfffe
	s_or_b32 s8, s7, s8
	s_wait_alu 0xfffe
	s_nor_b32 s8, s8, s9
	s_wait_alu 0xfffe
	s_and_saveexec_b32 s64, s8
	s_delay_alu instid0(SALU_CYCLE_1)
	s_xor_b32 s64, exec_lo, s64
	s_cbranch_execz .LBB22_17
; %bb.16:                               ;   in Loop: Header=BB22_11 Depth=3
	v_add_co_u32 v55, s8, v22, v16
	s_wait_alu 0xf1ff
	v_add_co_ci_u32_e64 v56, null, v23, v17, s8
	global_load_b32 v55, v[55:56], off
	s_wait_loadcnt 0x0
	ds_store_b32 v41, v55 offset:64
.LBB22_17:                              ;   in Loop: Header=BB22_11 Depth=3
	s_and_not1_saveexec_b32 s8, s64
	s_cbranch_execz .LBB22_23
; %bb.18:                               ;   in Loop: Header=BB22_11 Depth=3
	s_xor_b32 s9, s9, -1
	s_wait_alu 0xfffe
	s_and_saveexec_b32 s64, s9
	s_delay_alu instid0(SALU_CYCLE_1)
	s_xor_b32 s9, exec_lo, s64
; %bb.19:                               ;   in Loop: Header=BB22_11 Depth=3
	ds_store_b32 v41, v45 offset:64
; %bb.20:                               ;   in Loop: Header=BB22_11 Depth=3
	s_wait_alu 0xfffe
	s_and_not1_saveexec_b32 s9, s9
; %bb.21:                               ;   in Loop: Header=BB22_11 Depth=3
	ds_store_b32 v41, v46 offset:64
; %bb.22:                               ;   in Loop: Header=BB22_11 Depth=3
	s_wait_alu 0xfffe
	s_or_b32 exec_lo, exec_lo, s9
.LBB22_23:                              ;   in Loop: Header=BB22_11 Depth=3
	s_wait_alu 0xfffe
	s_or_b32 exec_lo, exec_lo, s8
	v_cmp_eq_u64_e64 s8, s[54:55], v[28:29]
	v_cmp_lt_i64_e64 s9, v[34:35], v[26:27]
                                        ; implicit-def: $vgpr34
	s_and_b32 s8, s58, s8
	s_or_b32 s9, s4, s9
	s_wait_alu 0xfffe
	s_or_b32 s9, s9, s8
	s_wait_alu 0xfffe
	s_nor_b32 s6, s6, s9
	s_wait_alu 0xfffe
	s_and_saveexec_b32 s9, s6
	s_wait_alu 0xfffe
	s_xor_b32 s6, exec_lo, s9
	s_cbranch_execz .LBB22_25
; %bb.24:                               ;   in Loop: Header=BB22_11 Depth=3
	global_load_b32 v34, v[36:37], off offset:64
.LBB22_25:                              ;   in Loop: Header=BB22_11 Depth=3
	s_wait_alu 0xfffe
	s_and_not1_saveexec_b32 s6, s6
	s_cbranch_execz .LBB22_27
; %bb.26:                               ;   in Loop: Header=BB22_11 Depth=3
	s_wait_loadcnt 0x0
	v_cndmask_b32_e64 v34, 0, 1.0, s8
.LBB22_27:                              ;   in Loop: Header=BB22_11 Depth=3
	s_wait_alu 0xfffe
	s_or_b32 exec_lo, exec_lo, s6
	s_or_b32 s5, s4, s5
	s_wait_loadcnt 0x0
	ds_store_b32 v41, v34 offset:2048
	s_wait_alu 0xfffe
	s_or_b32 s5, s7, s5
	s_wait_alu 0xfffe
	s_nor_b32 s5, s5, s63
	s_wait_alu 0xfffe
	s_and_saveexec_b32 s6, s5
	s_wait_alu 0xfffe
	s_xor_b32 s6, exec_lo, s6
	s_cbranch_execz .LBB22_29
; %bb.28:                               ;   in Loop: Header=BB22_11 Depth=3
	v_add_co_u32 v34, s5, v22, v16
	s_wait_alu 0xf1ff
	v_add_co_ci_u32_e64 v35, null, v23, v17, s5
	global_load_b32 v34, v[34:35], off offset:64
	s_wait_loadcnt 0x0
	ds_store_b32 v41, v34 offset:2112
.LBB22_29:                              ;   in Loop: Header=BB22_11 Depth=3
	s_wait_alu 0xfffe
	s_and_not1_saveexec_b32 s5, s6
	s_cbranch_execz .LBB22_35
; %bb.30:                               ;   in Loop: Header=BB22_11 Depth=3
	s_xor_b32 s6, s63, -1
	s_wait_alu 0xfffe
	s_and_saveexec_b32 s7, s6
	s_wait_alu 0xfffe
	s_xor_b32 s6, exec_lo, s7
; %bb.31:                               ;   in Loop: Header=BB22_11 Depth=3
	ds_store_b32 v41, v45 offset:2112
; %bb.32:                               ;   in Loop: Header=BB22_11 Depth=3
	s_wait_alu 0xfffe
	s_and_not1_saveexec_b32 s6, s6
; %bb.33:                               ;   in Loop: Header=BB22_11 Depth=3
	ds_store_b32 v41, v46 offset:2112
; %bb.34:                               ;   in Loop: Header=BB22_11 Depth=3
	s_wait_alu 0xfffe
	s_or_b32 exec_lo, exec_lo, s6
.LBB22_35:                              ;   in Loop: Header=BB22_11 Depth=3
	s_wait_alu 0xfffe
	s_or_b32 exec_lo, exec_lo, s5
	v_add_co_u32 v34, s5, v8, s54
	s_wait_alu 0xf1ff
	v_add_co_ci_u32_e64 v35, null, s55, v9, s5
	v_add_co_u32 v36, s6, v32, v18
	s_wait_alu 0xf1ff
	v_add_co_ci_u32_e64 v37, null, v33, v19, s6
	s_delay_alu instid0(VALU_DEP_3)
	v_cmp_le_i64_e64 s5, s[42:43], v[34:35]
	v_mov_b32_e32 v55, 0
	s_nor_b32 s7, s5, s2
	s_wait_alu 0xfffe
	s_and_saveexec_b32 s6, s7
	s_cbranch_execz .LBB22_37
; %bb.36:                               ;   in Loop: Header=BB22_11 Depth=3
	global_load_b32 v55, v[36:37], off offset:-64
.LBB22_37:                              ;   in Loop: Header=BB22_11 Depth=3
	s_wait_alu 0xfffe
	s_or_b32 exec_lo, exec_lo, s6
	s_nor_b32 s5, s5, s3
	s_wait_loadcnt 0x0
	ds_store_b32 v42, v55
	s_wait_alu 0xfffe
	s_and_saveexec_b32 s6, s5
	s_wait_alu 0xfffe
	s_xor_b32 s5, exec_lo, s6
	s_cbranch_execz .LBB22_39
; %bb.38:                               ;   in Loop: Header=BB22_11 Depth=3
	global_load_b32 v36, v[36:37], off
	s_wait_loadcnt 0x0
	ds_store_b32 v42, v36 offset:64
.LBB22_39:                              ;   in Loop: Header=BB22_11 Depth=3
	s_wait_alu 0xfffe
	s_and_not1_saveexec_b32 s5, s5
; %bb.40:                               ;   in Loop: Header=BB22_11 Depth=3
	ds_store_b32 v42, v45 offset:64
; %bb.41:                               ;   in Loop: Header=BB22_11 Depth=3
	s_wait_alu 0xfffe
	s_or_b32 exec_lo, exec_lo, s5
	v_cmp_le_i64_e64 s5, s[50:51], v[34:35]
	v_add_co_u32 v34, s6, v32, v20
	s_wait_alu 0xf1ff
	v_add_co_ci_u32_e64 v35, null, v33, v21, s6
	v_mov_b32_e32 v36, 0
	s_delay_alu instid0(VALU_DEP_4)
	s_nor_b32 s7, s5, s2
	s_wait_alu 0xfffe
	s_and_saveexec_b32 s6, s7
	s_cbranch_execz .LBB22_43
; %bb.42:                               ;   in Loop: Header=BB22_11 Depth=3
	global_load_b32 v36, v[34:35], off offset:-64
.LBB22_43:                              ;   in Loop: Header=BB22_11 Depth=3
	s_wait_alu 0xfffe
	s_or_b32 exec_lo, exec_lo, s6
	s_nor_b32 s5, s5, s3
	s_wait_loadcnt 0x0
	ds_store_b32 v42, v36 offset:2048
	s_wait_alu 0xfffe
	s_and_saveexec_b32 s6, s5
	s_wait_alu 0xfffe
	s_xor_b32 s5, exec_lo, s6
	s_cbranch_execz .LBB22_45
; %bb.44:                               ;   in Loop: Header=BB22_11 Depth=3
	global_load_b32 v34, v[34:35], off
	s_wait_loadcnt 0x0
	ds_store_b32 v42, v34 offset:2112
.LBB22_45:                              ;   in Loop: Header=BB22_11 Depth=3
	s_wait_alu 0xfffe
	s_and_not1_saveexec_b32 s5, s5
	s_cbranch_execz .LBB22_10
; %bb.46:                               ;   in Loop: Header=BB22_11 Depth=3
	ds_store_b32 v42, v45 offset:2112
	s_branch .LBB22_10
.LBB22_47:                              ;   in Loop: Header=BB22_8 Depth=2
	v_dual_mov_b32 v54, 0 :: v_dual_mov_b32 v53, 0
	v_dual_mov_b32 v52, 0 :: v_dual_mov_b32 v51, 0
.LBB22_48:                              ;   in Loop: Header=BB22_8 Depth=2
	v_mul_lo_u32 v9, s29, v12
	v_mul_lo_u32 v11, s28, v13
	v_mad_co_u64_u32 v[13:14], null, s28, v12, 0
	v_cmp_gt_i32_e32 vcc_lo, s10, v12
	s_delay_alu instid0(VALU_DEP_2) | instskip(NEXT) | instid1(VALU_DEP_1)
	v_add3_u32 v14, v14, v11, v9
	v_lshlrev_b64_e32 v[13:14], 2, v[13:14]
	s_delay_alu instid0(VALU_DEP_1) | instskip(SKIP_1) | instid1(VALU_DEP_2)
	v_add_co_u32 v9, s4, s38, v13
	s_wait_alu 0xf1ff
	v_add_co_ci_u32_e64 v11, null, s39, v14, s4
	s_and_b32 s4, s0, vcc_lo
	s_wait_alu 0xfffe
	s_and_saveexec_b32 s5, s4
	s_cbranch_execz .LBB22_50
; %bb.49:                               ;   in Loop: Header=BB22_8 Depth=2
	v_add_co_u32 v13, s4, v9, v2
	s_wait_alu 0xf1ff
	v_add_co_ci_u32_e64 v14, null, v11, v3, s4
	global_load_b32 v15, v[13:14], off
	s_wait_loadcnt 0x0
	v_fmac_f32_e32 v15, v50, v54
	global_store_b32 v[13:14], v15, off
.LBB22_50:                              ;   in Loop: Header=BB22_8 Depth=2
	s_wait_alu 0xfffe
	s_or_b32 exec_lo, exec_lo, s5
	s_and_b32 s5, s1, vcc_lo
	s_wait_alu 0xfffe
	s_and_saveexec_b32 s4, s5
	s_cbranch_execz .LBB22_52
; %bb.51:                               ;   in Loop: Header=BB22_8 Depth=2
	v_lshlrev_b64_e32 v[13:14], 2, v[0:1]
	s_delay_alu instid0(VALU_DEP_1) | instskip(SKIP_1) | instid1(VALU_DEP_2)
	v_add_co_u32 v13, vcc_lo, v9, v13
	s_wait_alu 0xfffd
	v_add_co_ci_u32_e64 v14, null, v11, v14, vcc_lo
	global_load_b32 v9, v[13:14], off
	s_wait_loadcnt 0x0
	v_fmac_f32_e32 v9, v50, v53
	global_store_b32 v[13:14], v9, off
.LBB22_52:                              ;   in Loop: Header=BB22_8 Depth=2
	s_wait_alu 0xfffe
	s_or_b32 exec_lo, exec_lo, s4
	v_add_nc_u32_e32 v9, 16, v12
	s_delay_alu instid0(VALU_DEP_1) | instskip(SKIP_3) | instid1(VALU_DEP_4)
	v_ashrrev_i32_e32 v13, 31, v9
	v_mul_lo_u32 v14, s29, v9
	v_mad_co_u64_u32 v[11:12], null, s28, v9, 0
	v_cmp_gt_i32_e32 vcc_lo, s10, v9
	v_mul_lo_u32 v13, s28, v13
	s_delay_alu instid0(VALU_DEP_1) | instskip(NEXT) | instid1(VALU_DEP_1)
	v_add3_u32 v12, v12, v13, v14
	v_lshlrev_b64_e32 v[11:12], 2, v[11:12]
	s_delay_alu instid0(VALU_DEP_1) | instskip(SKIP_1) | instid1(VALU_DEP_2)
	v_add_co_u32 v9, s4, s38, v11
	s_wait_alu 0xf1ff
	v_add_co_ci_u32_e64 v11, null, s39, v12, s4
	s_and_b32 s4, s0, vcc_lo
	s_wait_alu 0xfffe
	s_and_saveexec_b32 s5, s4
	s_cbranch_execz .LBB22_54
; %bb.53:                               ;   in Loop: Header=BB22_8 Depth=2
	v_add_co_u32 v12, s4, v9, v2
	s_wait_alu 0xf1ff
	v_add_co_ci_u32_e64 v13, null, v11, v3, s4
	global_load_b32 v14, v[12:13], off
	s_wait_loadcnt 0x0
	v_fmac_f32_e32 v14, v50, v52
	global_store_b32 v[12:13], v14, off
.LBB22_54:                              ;   in Loop: Header=BB22_8 Depth=2
	s_wait_alu 0xfffe
	s_or_b32 exec_lo, exec_lo, s5
	s_and_b32 s5, s1, vcc_lo
	s_wait_alu 0xfffe
	s_and_saveexec_b32 s4, s5
	s_cbranch_execz .LBB22_7
; %bb.55:                               ;   in Loop: Header=BB22_8 Depth=2
	v_lshlrev_b64_e32 v[12:13], 2, v[0:1]
	s_delay_alu instid0(VALU_DEP_1) | instskip(SKIP_1) | instid1(VALU_DEP_2)
	v_add_co_u32 v12, vcc_lo, v9, v12
	s_wait_alu 0xfffd
	v_add_co_ci_u32_e64 v13, null, v11, v13, vcc_lo
	global_load_b32 v9, v[12:13], off
	s_wait_loadcnt 0x0
	v_fmac_f32_e32 v9, v50, v51
	global_store_b32 v[12:13], v9, off
	s_branch .LBB22_7
.LBB22_56:
	s_endpgm
	.section	.rodata,"a",@progbits
	.p2align	6, 0x0
	.amdhsa_kernel _ZL30rocblas_trmm_outofplace_kernelIfLi32ELi2ELb0ELb1ELb1ELb1EPKfS0_fEv17rocblas_diagonal_iiT6_lPT7_lllS5_lllPT8_llli
		.amdhsa_group_segment_fixed_size 8192
		.amdhsa_private_segment_fixed_size 0
		.amdhsa_kernarg_size 392
		.amdhsa_user_sgpr_count 2
		.amdhsa_user_sgpr_dispatch_ptr 0
		.amdhsa_user_sgpr_queue_ptr 0
		.amdhsa_user_sgpr_kernarg_segment_ptr 1
		.amdhsa_user_sgpr_dispatch_id 0
		.amdhsa_user_sgpr_private_segment_size 0
		.amdhsa_wavefront_size32 1
		.amdhsa_uses_dynamic_stack 0
		.amdhsa_enable_private_segment 0
		.amdhsa_system_sgpr_workgroup_id_x 1
		.amdhsa_system_sgpr_workgroup_id_y 1
		.amdhsa_system_sgpr_workgroup_id_z 1
		.amdhsa_system_sgpr_workgroup_info 0
		.amdhsa_system_vgpr_workitem_id 1
		.amdhsa_next_free_vgpr 95
		.amdhsa_next_free_sgpr 65
		.amdhsa_reserve_vcc 1
		.amdhsa_float_round_mode_32 0
		.amdhsa_float_round_mode_16_64 0
		.amdhsa_float_denorm_mode_32 3
		.amdhsa_float_denorm_mode_16_64 3
		.amdhsa_fp16_overflow 0
		.amdhsa_workgroup_processor_mode 1
		.amdhsa_memory_ordered 1
		.amdhsa_forward_progress 1
		.amdhsa_inst_pref_size 28
		.amdhsa_round_robin_scheduling 0
		.amdhsa_exception_fp_ieee_invalid_op 0
		.amdhsa_exception_fp_denorm_src 0
		.amdhsa_exception_fp_ieee_div_zero 0
		.amdhsa_exception_fp_ieee_overflow 0
		.amdhsa_exception_fp_ieee_underflow 0
		.amdhsa_exception_fp_ieee_inexact 0
		.amdhsa_exception_int_div_zero 0
	.end_amdhsa_kernel
	.section	.text._ZL30rocblas_trmm_outofplace_kernelIfLi32ELi2ELb0ELb1ELb1ELb1EPKfS0_fEv17rocblas_diagonal_iiT6_lPT7_lllS5_lllPT8_llli,"axG",@progbits,_ZL30rocblas_trmm_outofplace_kernelIfLi32ELi2ELb0ELb1ELb1ELb1EPKfS0_fEv17rocblas_diagonal_iiT6_lPT7_lllS5_lllPT8_llli,comdat
.Lfunc_end22:
	.size	_ZL30rocblas_trmm_outofplace_kernelIfLi32ELi2ELb0ELb1ELb1ELb1EPKfS0_fEv17rocblas_diagonal_iiT6_lPT7_lllS5_lllPT8_llli, .Lfunc_end22-_ZL30rocblas_trmm_outofplace_kernelIfLi32ELi2ELb0ELb1ELb1ELb1EPKfS0_fEv17rocblas_diagonal_iiT6_lPT7_lllS5_lllPT8_llli
                                        ; -- End function
	.set _ZL30rocblas_trmm_outofplace_kernelIfLi32ELi2ELb0ELb1ELb1ELb1EPKfS0_fEv17rocblas_diagonal_iiT6_lPT7_lllS5_lllPT8_llli.num_vgpr, 95
	.set _ZL30rocblas_trmm_outofplace_kernelIfLi32ELi2ELb0ELb1ELb1ELb1EPKfS0_fEv17rocblas_diagonal_iiT6_lPT7_lllS5_lllPT8_llli.num_agpr, 0
	.set _ZL30rocblas_trmm_outofplace_kernelIfLi32ELi2ELb0ELb1ELb1ELb1EPKfS0_fEv17rocblas_diagonal_iiT6_lPT7_lllS5_lllPT8_llli.numbered_sgpr, 65
	.set _ZL30rocblas_trmm_outofplace_kernelIfLi32ELi2ELb0ELb1ELb1ELb1EPKfS0_fEv17rocblas_diagonal_iiT6_lPT7_lllS5_lllPT8_llli.num_named_barrier, 0
	.set _ZL30rocblas_trmm_outofplace_kernelIfLi32ELi2ELb0ELb1ELb1ELb1EPKfS0_fEv17rocblas_diagonal_iiT6_lPT7_lllS5_lllPT8_llli.private_seg_size, 0
	.set _ZL30rocblas_trmm_outofplace_kernelIfLi32ELi2ELb0ELb1ELb1ELb1EPKfS0_fEv17rocblas_diagonal_iiT6_lPT7_lllS5_lllPT8_llli.uses_vcc, 1
	.set _ZL30rocblas_trmm_outofplace_kernelIfLi32ELi2ELb0ELb1ELb1ELb1EPKfS0_fEv17rocblas_diagonal_iiT6_lPT7_lllS5_lllPT8_llli.uses_flat_scratch, 0
	.set _ZL30rocblas_trmm_outofplace_kernelIfLi32ELi2ELb0ELb1ELb1ELb1EPKfS0_fEv17rocblas_diagonal_iiT6_lPT7_lllS5_lllPT8_llli.has_dyn_sized_stack, 0
	.set _ZL30rocblas_trmm_outofplace_kernelIfLi32ELi2ELb0ELb1ELb1ELb1EPKfS0_fEv17rocblas_diagonal_iiT6_lPT7_lllS5_lllPT8_llli.has_recursion, 0
	.set _ZL30rocblas_trmm_outofplace_kernelIfLi32ELi2ELb0ELb1ELb1ELb1EPKfS0_fEv17rocblas_diagonal_iiT6_lPT7_lllS5_lllPT8_llli.has_indirect_call, 0
	.section	.AMDGPU.csdata,"",@progbits
; Kernel info:
; codeLenInByte = 3572
; TotalNumSgprs: 67
; NumVgprs: 95
; ScratchSize: 0
; MemoryBound: 0
; FloatMode: 240
; IeeeMode: 1
; LDSByteSize: 8192 bytes/workgroup (compile time only)
; SGPRBlocks: 0
; VGPRBlocks: 11
; NumSGPRsForWavesPerEU: 67
; NumVGPRsForWavesPerEU: 95
; Occupancy: 16
; WaveLimiterHint : 0
; COMPUTE_PGM_RSRC2:SCRATCH_EN: 0
; COMPUTE_PGM_RSRC2:USER_SGPR: 2
; COMPUTE_PGM_RSRC2:TRAP_HANDLER: 0
; COMPUTE_PGM_RSRC2:TGID_X_EN: 1
; COMPUTE_PGM_RSRC2:TGID_Y_EN: 1
; COMPUTE_PGM_RSRC2:TGID_Z_EN: 1
; COMPUTE_PGM_RSRC2:TIDIG_COMP_CNT: 1
	.section	.text._ZL30rocblas_trmm_outofplace_kernelIfLi32ELi2ELb0ELb1ELb1ELb1EfKffEv17rocblas_diagonal_iiT6_lPT7_lllS4_lllPT8_llli,"axG",@progbits,_ZL30rocblas_trmm_outofplace_kernelIfLi32ELi2ELb0ELb1ELb1ELb1EfKffEv17rocblas_diagonal_iiT6_lPT7_lllS4_lllPT8_llli,comdat
	.globl	_ZL30rocblas_trmm_outofplace_kernelIfLi32ELi2ELb0ELb1ELb1ELb1EfKffEv17rocblas_diagonal_iiT6_lPT7_lllS4_lllPT8_llli ; -- Begin function _ZL30rocblas_trmm_outofplace_kernelIfLi32ELi2ELb0ELb1ELb1ELb1EfKffEv17rocblas_diagonal_iiT6_lPT7_lllS4_lllPT8_llli
	.p2align	8
	.type	_ZL30rocblas_trmm_outofplace_kernelIfLi32ELi2ELb0ELb1ELb1ELb1EfKffEv17rocblas_diagonal_iiT6_lPT7_lllS4_lllPT8_llli,@function
_ZL30rocblas_trmm_outofplace_kernelIfLi32ELi2ELb0ELb1ELb1ELb1EfKffEv17rocblas_diagonal_iiT6_lPT7_lllS4_lllPT8_llli: ; @_ZL30rocblas_trmm_outofplace_kernelIfLi32ELi2ELb0ELb1ELb1ELb1EfKffEv17rocblas_diagonal_iiT6_lPT7_lllS4_lllPT8_llli
; %bb.0:
	s_load_b32 s33, s[0:1], 0x78
	s_lshr_b32 s34, ttmp7, 16
	s_wait_kmcnt 0x0
	s_cmp_ge_u32 s34, s33
	s_cbranch_scc1 .LBB23_55
; %bb.1:
	s_load_b128 s[36:39], s[0:1], 0x0
	s_mov_b32 s35, 0
	s_wait_kmcnt 0x0
	s_cmp_eq_f32 s39, 0
	s_cbranch_scc1 .LBB23_55
; %bb.2:
	s_load_b256 s[24:31], s[0:1], 0x58
	s_add_co_i32 s2, s38, -1
	s_load_b512 s[8:23], s[0:1], 0x18
	v_dual_mov_b32 v45, 0 :: v_dual_and_b32 v6, 0x3ff, v0
	s_ashr_i32 s3, s2, 31
	v_bfe_u32 v38, v0, 10, 10
	s_lshr_b32 s3, s3, 27
	s_delay_alu instid0(VALU_DEP_2)
	v_lshl_add_u32 v2, ttmp9, 5, v6
	s_add_co_i32 s2, s2, s3
	s_and_b32 s52, ttmp7, 0xffff
	s_ashr_i32 s53, s2, 5
	v_lshlrev_b32_e32 v0, 2, v6
	s_cmp_le_i32 s52, s53
	v_ashrrev_i32_e32 v3, 31, v2
	s_cselect_b32 s54, -1, 0
	s_cmp_eq_u32 s36, 0x84
	v_dual_mov_b32 v46, 1.0 :: v_dual_lshlrev_b32 v39, 7, v38
	s_cselect_b32 s55, -1, 0
	s_ashr_i32 s2, s37, 31
	v_sub_co_u32 v4, vcc_lo, s37, v2
	s_delay_alu instid0(VALU_DEP_1)
	v_sub_co_ci_u32_e64 v5, null, s2, v3, vcc_lo
	s_wait_kmcnt 0x0
	s_lshl_b64 s[2:3], s[26:27], 2
	v_or_b32_e32 v40, 0x1000, v0
	v_add_nc_u32_e32 v41, v39, v0
	s_wait_alu 0xfffe
	s_add_nc_u64 s[24:25], s[24:25], s[2:3]
	v_add_nc_u32_e32 v0, 16, v2
	v_cmp_gt_i32_e64 s2, s37, v2
	s_lshl_b32 s4, s52, 5
	v_lshlrev_b64_e32 v[2:3], 2, v[2:3]
	v_add_nc_u32_e32 v43, s4, v6
	v_add_nc_u32_e32 v44, s4, v38
	s_lshl_b64 s[4:5], s[18:19], 2
	s_add_nc_u64 s[26:27], s[0:1], 0x80
	s_wait_alu 0xfffe
	s_add_nc_u64 s[4:5], s[16:17], s[4:5]
	v_cmp_gt_i64_e64 s0, 1, v[4:5]
	v_cmp_gt_i64_e64 s1, 17, v[4:5]
	s_wait_alu 0xfffe
	v_add_co_u32 v4, vcc_lo, s4, v2
	v_add_nc_u32_e32 v42, v40, v39
	v_cmp_gt_i32_e64 s3, s37, v0
	v_ashrrev_i32_e32 v1, 31, v0
	s_wait_alu 0xfffd
	v_add_co_ci_u32_e64 v5, null, s5, v3, vcc_lo
	v_add_nc_u32_e32 v47, 0x400, v40
	v_add_nc_u32_e32 v48, 0x800, v40
	;; [unrolled: 1-line block ×3, first 2 shown]
	s_ashr_i32 s41, s38, 31
	s_mov_b32 s40, s38
	s_lshl_b64 s[4:5], s[10:11], 2
	s_lshl_b64 s[42:43], s[12:13], 7
	;; [unrolled: 1-line block ×3, first 2 shown]
	s_add_nc_u64 s[46:47], s[40:41], -16
	s_lshl_b64 s[18:19], s[20:21], 2
	s_lshl_b64 s[16:17], s[22:23], 2
	s_wait_alu 0xfffe
	s_add_nc_u64 s[10:11], s[8:9], s[4:5]
	s_lshl_b64 s[14:15], s[14:15], 2
	s_lshl_b64 s[22:23], s[12:13], 2
	s_branch .LBB23_4
.LBB23_3:                               ;   in Loop: Header=BB23_4 Depth=1
	s_add_co_i32 s34, s34, 0x10000
	s_wait_alu 0xfffe
	s_cmp_ge_u32 s34, s33
	s_cbranch_scc1 .LBB23_55
.LBB23_4:                               ; =>This Loop Header: Depth=1
                                        ;     Child Loop BB23_7 Depth 2
                                        ;       Child Loop BB23_10 Depth 3
	s_and_not1_b32 vcc_lo, exec_lo, s54
	s_wait_alu 0xfffe
	s_cbranch_vccnz .LBB23_3
; %bb.5:                                ;   in Loop: Header=BB23_4 Depth=1
	s_load_b32 s56, s[26:27], 0x4
	v_mad_co_u64_u32 v[6:7], null, s16, s34, v[4:5]
	s_mul_u64 s[4:5], s[30:31], s[34:35]
	v_mov_b32_e32 v10, v43
	s_mul_u64 s[6:7], s[14:15], s[34:35]
	s_wait_alu 0xfffe
	s_lshl_b64 s[4:5], s[4:5], 2
	s_add_nc_u64 s[48:49], s[10:11], s[6:7]
	s_wait_alu 0xfffe
	s_add_nc_u64 s[36:37], s[24:25], s[4:5]
	v_mad_co_u64_u32 v[7:8], null, s17, s34, v[7:8]
	v_mov_b32_e32 v8, v44
	s_mov_b32 s58, s52
	s_wait_kmcnt 0x0
	s_lshl_b32 s57, s56, 5
	s_branch .LBB23_7
.LBB23_6:                               ;   in Loop: Header=BB23_7 Depth=2
	s_wait_alu 0xfffe
	s_or_b32 exec_lo, exec_lo, s4
	v_add_nc_u32_e32 v10, s57, v10
	v_add_nc_u32_e32 v8, s57, v8
	s_add_co_i32 s58, s56, s58
	s_delay_alu instid0(SALU_CYCLE_1)
	s_cmp_gt_i32 s58, s53
	s_cbranch_scc1 .LBB23_3
.LBB23_7:                               ;   Parent Loop BB23_4 Depth=1
                                        ; =>  This Loop Header: Depth=2
                                        ;       Child Loop BB23_10 Depth 3
	s_lshl_b32 s4, s58, 5
	v_ashrrev_i32_e32 v11, 31, v10
	s_wait_alu 0xfffe
	v_add_nc_u32_e32 v12, s4, v38
	v_ashrrev_i32_e32 v9, 31, v8
	s_sub_co_i32 s59, s38, s4
	s_delay_alu instid0(SALU_CYCLE_1) | instskip(NEXT) | instid1(VALU_DEP_2)
	s_cmp_lt_i32 s59, 1
	v_ashrrev_i32_e32 v13, 31, v12
	s_cbranch_scc1 .LBB23_46
; %bb.8:                                ;   in Loop: Header=BB23_7 Depth=2
	v_lshlrev_b64_e32 v[16:17], 2, v[8:9]
	v_lshlrev_b64_e32 v[20:21], 2, v[10:11]
	v_sub_co_u32 v14, vcc_lo, v8, v10
	s_wait_alu 0xfffd
	v_sub_co_ci_u32_e64 v15, null, v9, v11, vcc_lo
	s_delay_alu instid0(VALU_DEP_4)
	v_add_co_u32 v22, vcc_lo, v16, 64
	s_wait_alu 0xfffd
	v_add_co_ci_u32_e64 v23, null, 0, v17, vcc_lo
	v_add_co_u32 v24, vcc_lo, v20, 64
	v_mad_co_u64_u32 v[18:19], null, s18, v8, 64
	v_mul_lo_u32 v26, s18, v9
	v_mul_lo_u32 v27, s19, v8
	s_wait_alu 0xfffd
	v_add_co_ci_u32_e64 v25, null, 0, v21, vcc_lo
	v_mul_lo_u32 v28, s20, v23
	v_mul_lo_u32 v29, s21, v22
	v_mad_co_u64_u32 v[20:21], null, s20, v22, 64
	s_delay_alu instid0(VALU_DEP_4)
	v_mul_lo_u32 v30, s12, v25
	v_mul_lo_u32 v31, s13, v24
	v_mad_co_u64_u32 v[22:23], null, s12, v24, s[48:49]
	v_mad_co_u64_u32 v[24:25], null, s22, v10, s[48:49]
	v_mul_lo_u32 v32, s22, v11
	v_mul_lo_u32 v33, s23, v10
	v_add3_u32 v19, v27, v19, v26
	v_add_co_u32 v26, vcc_lo, v12, 16
	s_wait_alu 0xfffd
	v_add_co_ci_u32_e64 v27, null, 0, v13, vcc_lo
	v_add3_u32 v21, v29, v21, v28
	v_add_co_u32 v28, s5, v14, 16
	v_add3_u32 v23, v31, v23, v30
	s_wait_alu 0xf1ff
	v_add_co_ci_u32_e64 v29, null, 0, v15, s5
	v_add_co_u32 v30, s5, v14, -16
	v_add3_u32 v25, v33, v25, v32
	v_cmp_le_i64_e64 s4, s[40:41], v[26:27]
	v_dual_mov_b32 v50, 0 :: v_dual_mov_b32 v33, v7
	s_wait_alu 0xf1ff
	v_add_co_ci_u32_e64 v31, null, -1, v15, s5
	v_dual_mov_b32 v32, v6 :: v_dual_mov_b32 v51, 0
	v_dual_mov_b32 v52, 0 :: v_dual_mov_b32 v53, 0
	s_mov_b64 s[50:51], 0
	v_cmp_le_i32_e32 vcc_lo, s38, v12
	s_branch .LBB23_10
.LBB23_9:                               ;   in Loop: Header=BB23_10 Depth=3
	s_wait_alu 0xfffe
	s_or_b32 exec_lo, exec_lo, s5
	s_wait_dscnt 0x0
	s_barrier_signal -1
	s_barrier_wait -1
	global_inv scope:SCOPE_SE
	ds_load_b128 v[34:37], v39
	ds_load_2addr_b32 v[74:75], v40 offset1:16
	ds_load_b128 v[54:57], v39 offset:2048
	ds_load_2addr_b32 v[76:77], v40 offset0:32 offset1:48
	ds_load_b128 v[58:61], v39 offset:16
	ds_load_2addr_b32 v[78:79], v40 offset0:64 offset1:80
	ds_load_b128 v[62:65], v39 offset:32
	ds_load_b128 v[66:69], v39 offset:48
	ds_load_2addr_b32 v[80:81], v40 offset0:96 offset1:112
	ds_load_2addr_b32 v[82:83], v40 offset0:128 offset1:144
	ds_load_b128 v[70:73], v39 offset:2064
	ds_load_2addr_b32 v[84:85], v40 offset0:160 offset1:176
	ds_load_2addr_b32 v[86:87], v40 offset0:192 offset1:208
	;; [unrolled: 1-line block ×3, first 2 shown]
	ds_load_2addr_b32 v[90:91], v47 offset1:16
	ds_load_2addr_b32 v[92:93], v47 offset0:32 offset1:48
	v_add_co_u32 v32, s5, v32, s44
	s_wait_alu 0xf1ff
	v_add_co_ci_u32_e64 v33, null, s45, v33, s5
	v_add_co_u32 v22, s5, v22, s42
	s_wait_dscnt 0xe
	v_fmac_f32_e32 v52, v75, v34
	v_fmac_f32_e32 v53, v74, v34
	s_wait_dscnt 0xd
	v_fmac_f32_e32 v50, v75, v54
	v_fmac_f32_e32 v51, v74, v54
	ds_load_2addr_b32 v[74:75], v47 offset0:64 offset1:80
	s_wait_dscnt 0xd
	v_fmac_f32_e32 v52, v77, v35
	v_fmac_f32_e32 v53, v76, v35
	v_fmac_f32_e32 v50, v77, v55
	v_fmac_f32_e32 v51, v76, v55
	ds_load_2addr_b32 v[76:77], v47 offset0:96 offset1:112
	s_wait_dscnt 0xc
	v_fmac_f32_e32 v52, v79, v36
	v_fmac_f32_e32 v53, v78, v36
	;; [unrolled: 6-line block ×3, first 2 shown]
	v_fmac_f32_e32 v50, v81, v57
	v_fmac_f32_e32 v51, v80, v57
	ds_load_b128 v[34:37], v39 offset:2080
	ds_load_b128 v[54:57], v39 offset:2096
	s_wait_dscnt 0xb
	v_fmac_f32_e32 v52, v83, v58
	v_fmac_f32_e32 v53, v82, v58
	s_wait_dscnt 0xa
	v_fmac_f32_e32 v50, v83, v70
	v_fmac_f32_e32 v51, v82, v70
	ds_load_2addr_b32 v[80:81], v47 offset0:160 offset1:176
	s_wait_dscnt 0xa
	v_fmac_f32_e32 v52, v85, v59
	v_fmac_f32_e32 v53, v84, v59
	v_fmac_f32_e32 v50, v85, v71
	v_fmac_f32_e32 v51, v84, v71
	ds_load_2addr_b32 v[82:83], v47 offset0:192 offset1:208
	s_wait_dscnt 0xa
	v_fmac_f32_e32 v52, v87, v60
	v_fmac_f32_e32 v53, v86, v60
	;; [unrolled: 6-line block ×3, first 2 shown]
	v_fmac_f32_e32 v50, v89, v73
	v_fmac_f32_e32 v51, v88, v73
	ds_load_b128 v[58:61], v39 offset:64
	s_wait_dscnt 0xa
	v_fmac_f32_e32 v52, v91, v62
	v_fmac_f32_e32 v53, v90, v62
	s_wait_dscnt 0x5
	v_fmac_f32_e32 v50, v91, v34
	v_fmac_f32_e32 v51, v90, v34
	ds_load_2addr_b32 v[86:87], v48 offset1:16
	v_fmac_f32_e32 v52, v93, v63
	v_fmac_f32_e32 v53, v92, v63
	;; [unrolled: 1-line block ×4, first 2 shown]
	ds_load_b128 v[70:73], v39 offset:2112
	v_fmac_f32_e32 v52, v75, v64
	v_fmac_f32_e32 v53, v74, v64
	;; [unrolled: 1-line block ×4, first 2 shown]
	ds_load_2addr_b32 v[62:63], v48 offset0:32 offset1:48
	v_fmac_f32_e32 v52, v77, v65
	v_fmac_f32_e32 v53, v76, v65
	;; [unrolled: 1-line block ×4, first 2 shown]
	ds_load_2addr_b32 v[64:65], v48 offset0:64 offset1:80
	v_fmac_f32_e32 v52, v79, v66
	v_fmac_f32_e32 v53, v78, v66
	s_wait_dscnt 0x8
	v_fmac_f32_e32 v50, v79, v54
	v_fmac_f32_e32 v51, v78, v54
	ds_load_2addr_b32 v[74:75], v48 offset0:96 offset1:112
	s_wait_dscnt 0x8
	v_fmac_f32_e32 v52, v81, v67
	v_fmac_f32_e32 v53, v80, v67
	;; [unrolled: 1-line block ×4, first 2 shown]
	ds_load_b128 v[34:37], v39 offset:80
	s_wait_dscnt 0x8
	v_fmac_f32_e32 v52, v83, v68
	v_fmac_f32_e32 v53, v82, v68
	;; [unrolled: 1-line block ×4, first 2 shown]
	ds_load_2addr_b32 v[66:67], v48 offset0:128 offset1:144
	s_wait_dscnt 0x8
	v_fmac_f32_e32 v52, v85, v69
	v_fmac_f32_e32 v53, v84, v69
	;; [unrolled: 1-line block ×4, first 2 shown]
	ds_load_b128 v[54:57], v39 offset:2128
	s_wait_dscnt 0x7
	v_fmac_f32_e32 v52, v87, v58
	v_fmac_f32_e32 v53, v86, v58
	s_wait_dscnt 0x6
	v_fmac_f32_e32 v50, v87, v70
	v_fmac_f32_e32 v51, v86, v70
	ds_load_2addr_b32 v[68:69], v48 offset0:160 offset1:176
	s_wait_dscnt 0x6
	v_fmac_f32_e32 v52, v63, v59
	v_fmac_f32_e32 v53, v62, v59
	v_fmac_f32_e32 v50, v63, v71
	v_fmac_f32_e32 v51, v62, v71
	ds_load_2addr_b32 v[70:71], v48 offset0:192 offset1:208
	s_wait_dscnt 0x6
	v_fmac_f32_e32 v52, v65, v60
	v_fmac_f32_e32 v53, v64, v60
	;; [unrolled: 6-line block ×3, first 2 shown]
	v_fmac_f32_e32 v50, v75, v73
	v_fmac_f32_e32 v51, v74, v73
	ds_load_b128 v[58:61], v39 offset:96
	ds_load_2addr_b32 v[72:73], v49 offset1:16
	s_wait_dscnt 0x6
	v_fmac_f32_e32 v52, v67, v34
	v_fmac_f32_e32 v53, v66, v34
	s_wait_dscnt 0x5
	v_fmac_f32_e32 v50, v67, v54
	v_fmac_f32_e32 v51, v66, v54
	ds_load_b128 v[62:65], v39 offset:2144
	s_wait_dscnt 0x5
	v_fmac_f32_e32 v52, v69, v35
	v_fmac_f32_e32 v53, v68, v35
	ds_load_2addr_b32 v[66:67], v49 offset0:32 offset1:48
	v_fmac_f32_e32 v50, v69, v55
	s_wait_dscnt 0x5
	v_dual_fmac_f32 v51, v68, v55 :: v_dual_fmac_f32 v52, v71, v36
	v_fmac_f32_e32 v53, v70, v36
	ds_load_2addr_b32 v[68:69], v49 offset0:64 offset1:80
	v_fmac_f32_e32 v50, v71, v56
	s_wait_dscnt 0x5
	v_dual_fmac_f32 v51, v70, v56 :: v_dual_fmac_f32 v52, v77, v37
	v_fmac_f32_e32 v53, v76, v37
	ds_load_2addr_b32 v[70:71], v49 offset0:96 offset1:112
	v_fmac_f32_e32 v50, v77, v57
	v_fmac_f32_e32 v51, v76, v57
	ds_load_b128 v[34:37], v39 offset:112
	s_wait_dscnt 0x5
	v_fmac_f32_e32 v52, v73, v58
	v_fmac_f32_e32 v53, v72, v58
	ds_load_2addr_b32 v[74:75], v49 offset0:128 offset1:144
	ds_load_b128 v[54:57], v39 offset:2160
	s_wait_dscnt 0x6
	v_fmac_f32_e32 v50, v73, v62
	v_fmac_f32_e32 v51, v72, v62
	ds_load_2addr_b32 v[72:73], v49 offset0:160 offset1:176
	s_wait_dscnt 0x6
	v_fmac_f32_e32 v52, v67, v59
	v_fmac_f32_e32 v53, v66, v59
	v_fmac_f32_e32 v50, v67, v63
	v_fmac_f32_e32 v51, v66, v63
	ds_load_2addr_b32 v[58:59], v49 offset0:192 offset1:208
	s_wait_dscnt 0x6
	v_fmac_f32_e32 v52, v69, v60
	v_fmac_f32_e32 v53, v68, v60
	;; [unrolled: 6-line block ×3, first 2 shown]
	v_fmac_f32_e32 v50, v71, v65
	v_fmac_f32_e32 v51, v70, v65
	s_wait_alu 0xf1ff
	v_add_co_ci_u32_e64 v23, null, s43, v23, s5
	s_wait_dscnt 0x4
	v_fmac_f32_e32 v52, v75, v34
	v_fmac_f32_e32 v53, v74, v34
	s_wait_dscnt 0x3
	v_fmac_f32_e32 v50, v75, v54
	v_fmac_f32_e32 v51, v74, v54
	v_add_co_u32 v24, s5, v24, s42
	s_wait_dscnt 0x2
	v_fmac_f32_e32 v52, v73, v35
	v_fmac_f32_e32 v53, v72, v35
	;; [unrolled: 1-line block ×4, first 2 shown]
	s_wait_alu 0xf1ff
	v_add_co_ci_u32_e64 v25, null, s43, v25, s5
	s_wait_dscnt 0x1
	v_fmac_f32_e32 v52, v59, v36
	v_fmac_f32_e32 v53, v58, v36
	;; [unrolled: 1-line block ×4, first 2 shown]
	s_add_nc_u64 s[50:51], s[50:51], 32
	s_wait_dscnt 0x0
	v_fmac_f32_e32 v52, v63, v37
	v_fmac_f32_e32 v53, v62, v37
	;; [unrolled: 1-line block ×4, first 2 shown]
	s_wait_alu 0xfffe
	s_cmp_ge_i32 s50, s59
	s_wait_loadcnt 0x0
	s_barrier_signal -1
	s_barrier_wait -1
	global_inv scope:SCOPE_SE
	s_cbranch_scc1 .LBB23_47
.LBB23_10:                              ;   Parent Loop BB23_4 Depth=1
                                        ;     Parent Loop BB23_7 Depth=2
                                        ; =>    This Inner Loop Header: Depth=3
	s_wait_alu 0xfffe
	v_add_co_u32 v34, s5, v10, s50
	s_wait_alu 0xf1ff
	v_add_co_ci_u32_e64 v35, null, s51, v11, s5
	v_cmp_eq_u64_e64 s7, s[50:51], v[14:15]
	v_add_co_u32 v36, s8, v24, v16
	s_delay_alu instid0(VALU_DEP_3)
	v_cmp_lt_i64_e64 s5, v[34:35], v[12:13]
	v_cmp_le_i64_e64 s6, s[40:41], v[34:35]
	s_wait_alu 0xf1ff
	v_add_co_ci_u32_e64 v37, null, v25, v17, s8
	s_and_b32 s60, s55, s7
                                        ; implicit-def: $vgpr54
	s_or_b32 s8, vcc_lo, s5
	s_wait_alu 0xfffe
	s_or_b32 s7, s6, s8
	s_wait_alu 0xfffe
	s_nor_b32 s7, s7, s60
	s_wait_alu 0xfffe
	s_and_saveexec_b32 s8, s7
	s_wait_alu 0xfffe
	s_xor_b32 s7, exec_lo, s8
	s_cbranch_execz .LBB23_12
; %bb.11:                               ;   in Loop: Header=BB23_10 Depth=3
	global_load_b32 v54, v[36:37], off
.LBB23_12:                              ;   in Loop: Header=BB23_10 Depth=3
	s_wait_alu 0xfffe
	s_and_not1_saveexec_b32 s7, s7
	s_cbranch_execz .LBB23_14
; %bb.13:                               ;   in Loop: Header=BB23_10 Depth=3
	s_wait_loadcnt 0x0
	v_cndmask_b32_e64 v54, 0, 1.0, s60
.LBB23_14:                              ;   in Loop: Header=BB23_10 Depth=3
	s_wait_alu 0xfffe
	s_or_b32 exec_lo, exec_lo, s7
	v_add_co_u32 v55, s7, v34, 16
	s_wait_alu 0xf1ff
	v_add_co_ci_u32_e64 v56, null, 0, v35, s7
	v_cmp_eq_u64_e64 s9, s[50:51], v[30:31]
	s_wait_loadcnt 0x0
	ds_store_b32 v41, v54
	v_cmp_lt_i64_e64 s8, v[55:56], v[12:13]
	v_cmp_le_i64_e64 s7, s[40:41], v[55:56]
	s_and_b32 s9, s55, s9
	s_or_b32 s8, vcc_lo, s8
	s_wait_alu 0xfffe
	s_or_b32 s8, s7, s8
	s_wait_alu 0xfffe
	s_nor_b32 s8, s8, s9
	s_wait_alu 0xfffe
	s_and_saveexec_b32 s61, s8
	s_wait_alu 0xfffe
	s_xor_b32 s61, exec_lo, s61
	s_cbranch_execz .LBB23_16
; %bb.15:                               ;   in Loop: Header=BB23_10 Depth=3
	v_add_co_u32 v54, s8, v22, v16
	s_wait_alu 0xf1ff
	v_add_co_ci_u32_e64 v55, null, v23, v17, s8
	global_load_b32 v54, v[54:55], off
	s_wait_loadcnt 0x0
	ds_store_b32 v41, v54 offset:64
.LBB23_16:                              ;   in Loop: Header=BB23_10 Depth=3
	s_wait_alu 0xfffe
	s_and_not1_saveexec_b32 s8, s61
	s_cbranch_execz .LBB23_22
; %bb.17:                               ;   in Loop: Header=BB23_10 Depth=3
	s_xor_b32 s9, s9, -1
	s_wait_alu 0xfffe
	s_and_saveexec_b32 s61, s9
	s_wait_alu 0xfffe
	s_xor_b32 s9, exec_lo, s61
; %bb.18:                               ;   in Loop: Header=BB23_10 Depth=3
	ds_store_b32 v41, v45 offset:64
; %bb.19:                               ;   in Loop: Header=BB23_10 Depth=3
	s_wait_alu 0xfffe
	s_and_not1_saveexec_b32 s9, s9
; %bb.20:                               ;   in Loop: Header=BB23_10 Depth=3
	ds_store_b32 v41, v46 offset:64
; %bb.21:                               ;   in Loop: Header=BB23_10 Depth=3
	s_wait_alu 0xfffe
	s_or_b32 exec_lo, exec_lo, s9
.LBB23_22:                              ;   in Loop: Header=BB23_10 Depth=3
	s_wait_alu 0xfffe
	s_or_b32 exec_lo, exec_lo, s8
	v_cmp_eq_u64_e64 s8, s[50:51], v[28:29]
	v_cmp_lt_i64_e64 s9, v[34:35], v[26:27]
                                        ; implicit-def: $vgpr34
	s_and_b32 s8, s55, s8
	s_or_b32 s9, s4, s9
	s_wait_alu 0xfffe
	s_or_b32 s9, s9, s8
	s_wait_alu 0xfffe
	s_nor_b32 s6, s6, s9
	s_wait_alu 0xfffe
	s_and_saveexec_b32 s9, s6
	s_wait_alu 0xfffe
	s_xor_b32 s6, exec_lo, s9
	s_cbranch_execz .LBB23_24
; %bb.23:                               ;   in Loop: Header=BB23_10 Depth=3
	global_load_b32 v34, v[36:37], off offset:64
.LBB23_24:                              ;   in Loop: Header=BB23_10 Depth=3
	s_wait_alu 0xfffe
	s_and_not1_saveexec_b32 s6, s6
	s_cbranch_execz .LBB23_26
; %bb.25:                               ;   in Loop: Header=BB23_10 Depth=3
	s_wait_loadcnt 0x0
	v_cndmask_b32_e64 v34, 0, 1.0, s8
.LBB23_26:                              ;   in Loop: Header=BB23_10 Depth=3
	s_wait_alu 0xfffe
	s_or_b32 exec_lo, exec_lo, s6
	s_or_b32 s5, s4, s5
	s_wait_loadcnt 0x0
	ds_store_b32 v41, v34 offset:2048
	s_wait_alu 0xfffe
	s_or_b32 s5, s7, s5
	s_wait_alu 0xfffe
	s_nor_b32 s5, s5, s60
	s_wait_alu 0xfffe
	s_and_saveexec_b32 s6, s5
	s_wait_alu 0xfffe
	s_xor_b32 s6, exec_lo, s6
	s_cbranch_execz .LBB23_28
; %bb.27:                               ;   in Loop: Header=BB23_10 Depth=3
	v_add_co_u32 v34, s5, v22, v16
	s_wait_alu 0xf1ff
	v_add_co_ci_u32_e64 v35, null, v23, v17, s5
	global_load_b32 v34, v[34:35], off offset:64
	s_wait_loadcnt 0x0
	ds_store_b32 v41, v34 offset:2112
.LBB23_28:                              ;   in Loop: Header=BB23_10 Depth=3
	s_wait_alu 0xfffe
	s_and_not1_saveexec_b32 s5, s6
	s_cbranch_execz .LBB23_34
; %bb.29:                               ;   in Loop: Header=BB23_10 Depth=3
	s_xor_b32 s6, s60, -1
	s_wait_alu 0xfffe
	s_and_saveexec_b32 s7, s6
	s_wait_alu 0xfffe
	s_xor_b32 s6, exec_lo, s7
; %bb.30:                               ;   in Loop: Header=BB23_10 Depth=3
	ds_store_b32 v41, v45 offset:2112
; %bb.31:                               ;   in Loop: Header=BB23_10 Depth=3
	s_wait_alu 0xfffe
	s_and_not1_saveexec_b32 s6, s6
; %bb.32:                               ;   in Loop: Header=BB23_10 Depth=3
	ds_store_b32 v41, v46 offset:2112
; %bb.33:                               ;   in Loop: Header=BB23_10 Depth=3
	s_wait_alu 0xfffe
	s_or_b32 exec_lo, exec_lo, s6
.LBB23_34:                              ;   in Loop: Header=BB23_10 Depth=3
	s_wait_alu 0xfffe
	s_or_b32 exec_lo, exec_lo, s5
	v_add_co_u32 v34, s5, v8, s50
	s_wait_alu 0xf1ff
	v_add_co_ci_u32_e64 v35, null, s51, v9, s5
	v_add_co_u32 v36, s6, v32, v18
	s_wait_alu 0xf1ff
	v_add_co_ci_u32_e64 v37, null, v33, v19, s6
	s_delay_alu instid0(VALU_DEP_3)
	v_cmp_le_i64_e64 s5, s[40:41], v[34:35]
	v_mov_b32_e32 v54, 0
	s_nor_b32 s7, s5, s0
	s_wait_alu 0xfffe
	s_and_saveexec_b32 s6, s7
	s_cbranch_execz .LBB23_36
; %bb.35:                               ;   in Loop: Header=BB23_10 Depth=3
	global_load_b32 v54, v[36:37], off offset:-64
.LBB23_36:                              ;   in Loop: Header=BB23_10 Depth=3
	s_wait_alu 0xfffe
	s_or_b32 exec_lo, exec_lo, s6
	s_nor_b32 s5, s5, s1
	s_wait_loadcnt 0x0
	ds_store_b32 v42, v54
	s_wait_alu 0xfffe
	s_and_saveexec_b32 s6, s5
	s_wait_alu 0xfffe
	s_xor_b32 s5, exec_lo, s6
	s_cbranch_execz .LBB23_38
; %bb.37:                               ;   in Loop: Header=BB23_10 Depth=3
	global_load_b32 v36, v[36:37], off
	s_wait_loadcnt 0x0
	ds_store_b32 v42, v36 offset:64
.LBB23_38:                              ;   in Loop: Header=BB23_10 Depth=3
	s_wait_alu 0xfffe
	s_and_not1_saveexec_b32 s5, s5
; %bb.39:                               ;   in Loop: Header=BB23_10 Depth=3
	ds_store_b32 v42, v45 offset:64
; %bb.40:                               ;   in Loop: Header=BB23_10 Depth=3
	s_wait_alu 0xfffe
	s_or_b32 exec_lo, exec_lo, s5
	v_cmp_le_i64_e64 s5, s[46:47], v[34:35]
	v_add_co_u32 v34, s6, v32, v20
	s_wait_alu 0xf1ff
	v_add_co_ci_u32_e64 v35, null, v33, v21, s6
	v_mov_b32_e32 v36, 0
	s_delay_alu instid0(VALU_DEP_4)
	s_nor_b32 s7, s5, s0
	s_wait_alu 0xfffe
	s_and_saveexec_b32 s6, s7
	s_cbranch_execz .LBB23_42
; %bb.41:                               ;   in Loop: Header=BB23_10 Depth=3
	global_load_b32 v36, v[34:35], off offset:-64
.LBB23_42:                              ;   in Loop: Header=BB23_10 Depth=3
	s_wait_alu 0xfffe
	s_or_b32 exec_lo, exec_lo, s6
	s_nor_b32 s5, s5, s1
	s_wait_loadcnt 0x0
	ds_store_b32 v42, v36 offset:2048
	s_wait_alu 0xfffe
	s_and_saveexec_b32 s6, s5
	s_wait_alu 0xfffe
	s_xor_b32 s5, exec_lo, s6
	s_cbranch_execz .LBB23_44
; %bb.43:                               ;   in Loop: Header=BB23_10 Depth=3
	global_load_b32 v34, v[34:35], off
	s_wait_loadcnt 0x0
	ds_store_b32 v42, v34 offset:2112
.LBB23_44:                              ;   in Loop: Header=BB23_10 Depth=3
	s_wait_alu 0xfffe
	s_and_not1_saveexec_b32 s5, s5
	s_cbranch_execz .LBB23_9
; %bb.45:                               ;   in Loop: Header=BB23_10 Depth=3
	ds_store_b32 v42, v45 offset:2112
	s_branch .LBB23_9
.LBB23_46:                              ;   in Loop: Header=BB23_7 Depth=2
	v_dual_mov_b32 v53, 0 :: v_dual_mov_b32 v52, 0
	v_dual_mov_b32 v51, 0 :: v_dual_mov_b32 v50, 0
.LBB23_47:                              ;   in Loop: Header=BB23_7 Depth=2
	v_mul_lo_u32 v9, s29, v12
	v_mul_lo_u32 v11, s28, v13
	v_mad_co_u64_u32 v[13:14], null, s28, v12, 0
	v_cmp_gt_i32_e32 vcc_lo, s38, v12
	s_delay_alu instid0(VALU_DEP_2) | instskip(NEXT) | instid1(VALU_DEP_1)
	v_add3_u32 v14, v14, v11, v9
	v_lshlrev_b64_e32 v[13:14], 2, v[13:14]
	s_delay_alu instid0(VALU_DEP_1) | instskip(SKIP_1) | instid1(VALU_DEP_2)
	v_add_co_u32 v9, s4, s36, v13
	s_wait_alu 0xf1ff
	v_add_co_ci_u32_e64 v11, null, s37, v14, s4
	s_and_b32 s4, s2, vcc_lo
	s_wait_alu 0xfffe
	s_and_saveexec_b32 s5, s4
	s_cbranch_execz .LBB23_49
; %bb.48:                               ;   in Loop: Header=BB23_7 Depth=2
	v_add_co_u32 v13, s4, v9, v2
	s_wait_alu 0xf1ff
	v_add_co_ci_u32_e64 v14, null, v11, v3, s4
	global_load_b32 v15, v[13:14], off
	s_wait_loadcnt 0x0
	v_fmac_f32_e32 v15, s39, v53
	global_store_b32 v[13:14], v15, off
.LBB23_49:                              ;   in Loop: Header=BB23_7 Depth=2
	s_wait_alu 0xfffe
	s_or_b32 exec_lo, exec_lo, s5
	s_and_b32 s5, s3, vcc_lo
	s_wait_alu 0xfffe
	s_and_saveexec_b32 s4, s5
	s_cbranch_execz .LBB23_51
; %bb.50:                               ;   in Loop: Header=BB23_7 Depth=2
	v_lshlrev_b64_e32 v[13:14], 2, v[0:1]
	s_delay_alu instid0(VALU_DEP_1) | instskip(SKIP_1) | instid1(VALU_DEP_2)
	v_add_co_u32 v13, vcc_lo, v9, v13
	s_wait_alu 0xfffd
	v_add_co_ci_u32_e64 v14, null, v11, v14, vcc_lo
	global_load_b32 v9, v[13:14], off
	s_wait_loadcnt 0x0
	v_fmac_f32_e32 v9, s39, v52
	global_store_b32 v[13:14], v9, off
.LBB23_51:                              ;   in Loop: Header=BB23_7 Depth=2
	s_wait_alu 0xfffe
	s_or_b32 exec_lo, exec_lo, s4
	v_add_nc_u32_e32 v9, 16, v12
	s_delay_alu instid0(VALU_DEP_1) | instskip(SKIP_3) | instid1(VALU_DEP_4)
	v_ashrrev_i32_e32 v13, 31, v9
	v_mul_lo_u32 v14, s29, v9
	v_mad_co_u64_u32 v[11:12], null, s28, v9, 0
	v_cmp_gt_i32_e32 vcc_lo, s38, v9
	v_mul_lo_u32 v13, s28, v13
	s_delay_alu instid0(VALU_DEP_1) | instskip(NEXT) | instid1(VALU_DEP_1)
	v_add3_u32 v12, v12, v13, v14
	v_lshlrev_b64_e32 v[11:12], 2, v[11:12]
	s_delay_alu instid0(VALU_DEP_1) | instskip(SKIP_1) | instid1(VALU_DEP_2)
	v_add_co_u32 v9, s4, s36, v11
	s_wait_alu 0xf1ff
	v_add_co_ci_u32_e64 v11, null, s37, v12, s4
	s_and_b32 s4, s2, vcc_lo
	s_wait_alu 0xfffe
	s_and_saveexec_b32 s5, s4
	s_cbranch_execz .LBB23_53
; %bb.52:                               ;   in Loop: Header=BB23_7 Depth=2
	v_add_co_u32 v12, s4, v9, v2
	s_wait_alu 0xf1ff
	v_add_co_ci_u32_e64 v13, null, v11, v3, s4
	global_load_b32 v14, v[12:13], off
	s_wait_loadcnt 0x0
	v_fmac_f32_e32 v14, s39, v51
	global_store_b32 v[12:13], v14, off
.LBB23_53:                              ;   in Loop: Header=BB23_7 Depth=2
	s_wait_alu 0xfffe
	s_or_b32 exec_lo, exec_lo, s5
	s_and_b32 s5, s3, vcc_lo
	s_wait_alu 0xfffe
	s_and_saveexec_b32 s4, s5
	s_cbranch_execz .LBB23_6
; %bb.54:                               ;   in Loop: Header=BB23_7 Depth=2
	v_lshlrev_b64_e32 v[12:13], 2, v[0:1]
	s_delay_alu instid0(VALU_DEP_1) | instskip(SKIP_1) | instid1(VALU_DEP_2)
	v_add_co_u32 v12, vcc_lo, v9, v12
	s_wait_alu 0xfffd
	v_add_co_ci_u32_e64 v13, null, v11, v13, vcc_lo
	global_load_b32 v9, v[12:13], off
	s_wait_loadcnt 0x0
	v_fmac_f32_e32 v9, s39, v50
	global_store_b32 v[12:13], v9, off
	s_branch .LBB23_6
.LBB23_55:
	s_endpgm
	.section	.rodata,"a",@progbits
	.p2align	6, 0x0
	.amdhsa_kernel _ZL30rocblas_trmm_outofplace_kernelIfLi32ELi2ELb0ELb1ELb1ELb1EfKffEv17rocblas_diagonal_iiT6_lPT7_lllS4_lllPT8_llli
		.amdhsa_group_segment_fixed_size 8192
		.amdhsa_private_segment_fixed_size 0
		.amdhsa_kernarg_size 384
		.amdhsa_user_sgpr_count 2
		.amdhsa_user_sgpr_dispatch_ptr 0
		.amdhsa_user_sgpr_queue_ptr 0
		.amdhsa_user_sgpr_kernarg_segment_ptr 1
		.amdhsa_user_sgpr_dispatch_id 0
		.amdhsa_user_sgpr_private_segment_size 0
		.amdhsa_wavefront_size32 1
		.amdhsa_uses_dynamic_stack 0
		.amdhsa_enable_private_segment 0
		.amdhsa_system_sgpr_workgroup_id_x 1
		.amdhsa_system_sgpr_workgroup_id_y 1
		.amdhsa_system_sgpr_workgroup_id_z 1
		.amdhsa_system_sgpr_workgroup_info 0
		.amdhsa_system_vgpr_workitem_id 1
		.amdhsa_next_free_vgpr 94
		.amdhsa_next_free_sgpr 62
		.amdhsa_reserve_vcc 1
		.amdhsa_float_round_mode_32 0
		.amdhsa_float_round_mode_16_64 0
		.amdhsa_float_denorm_mode_32 3
		.amdhsa_float_denorm_mode_16_64 3
		.amdhsa_fp16_overflow 0
		.amdhsa_workgroup_processor_mode 1
		.amdhsa_memory_ordered 1
		.amdhsa_forward_progress 1
		.amdhsa_inst_pref_size 28
		.amdhsa_round_robin_scheduling 0
		.amdhsa_exception_fp_ieee_invalid_op 0
		.amdhsa_exception_fp_denorm_src 0
		.amdhsa_exception_fp_ieee_div_zero 0
		.amdhsa_exception_fp_ieee_overflow 0
		.amdhsa_exception_fp_ieee_underflow 0
		.amdhsa_exception_fp_ieee_inexact 0
		.amdhsa_exception_int_div_zero 0
	.end_amdhsa_kernel
	.section	.text._ZL30rocblas_trmm_outofplace_kernelIfLi32ELi2ELb0ELb1ELb1ELb1EfKffEv17rocblas_diagonal_iiT6_lPT7_lllS4_lllPT8_llli,"axG",@progbits,_ZL30rocblas_trmm_outofplace_kernelIfLi32ELi2ELb0ELb1ELb1ELb1EfKffEv17rocblas_diagonal_iiT6_lPT7_lllS4_lllPT8_llli,comdat
.Lfunc_end23:
	.size	_ZL30rocblas_trmm_outofplace_kernelIfLi32ELi2ELb0ELb1ELb1ELb1EfKffEv17rocblas_diagonal_iiT6_lPT7_lllS4_lllPT8_llli, .Lfunc_end23-_ZL30rocblas_trmm_outofplace_kernelIfLi32ELi2ELb0ELb1ELb1ELb1EfKffEv17rocblas_diagonal_iiT6_lPT7_lllS4_lllPT8_llli
                                        ; -- End function
	.set _ZL30rocblas_trmm_outofplace_kernelIfLi32ELi2ELb0ELb1ELb1ELb1EfKffEv17rocblas_diagonal_iiT6_lPT7_lllS4_lllPT8_llli.num_vgpr, 94
	.set _ZL30rocblas_trmm_outofplace_kernelIfLi32ELi2ELb0ELb1ELb1ELb1EfKffEv17rocblas_diagonal_iiT6_lPT7_lllS4_lllPT8_llli.num_agpr, 0
	.set _ZL30rocblas_trmm_outofplace_kernelIfLi32ELi2ELb0ELb1ELb1ELb1EfKffEv17rocblas_diagonal_iiT6_lPT7_lllS4_lllPT8_llli.numbered_sgpr, 62
	.set _ZL30rocblas_trmm_outofplace_kernelIfLi32ELi2ELb0ELb1ELb1ELb1EfKffEv17rocblas_diagonal_iiT6_lPT7_lllS4_lllPT8_llli.num_named_barrier, 0
	.set _ZL30rocblas_trmm_outofplace_kernelIfLi32ELi2ELb0ELb1ELb1ELb1EfKffEv17rocblas_diagonal_iiT6_lPT7_lllS4_lllPT8_llli.private_seg_size, 0
	.set _ZL30rocblas_trmm_outofplace_kernelIfLi32ELi2ELb0ELb1ELb1ELb1EfKffEv17rocblas_diagonal_iiT6_lPT7_lllS4_lllPT8_llli.uses_vcc, 1
	.set _ZL30rocblas_trmm_outofplace_kernelIfLi32ELi2ELb0ELb1ELb1ELb1EfKffEv17rocblas_diagonal_iiT6_lPT7_lllS4_lllPT8_llli.uses_flat_scratch, 0
	.set _ZL30rocblas_trmm_outofplace_kernelIfLi32ELi2ELb0ELb1ELb1ELb1EfKffEv17rocblas_diagonal_iiT6_lPT7_lllS4_lllPT8_llli.has_dyn_sized_stack, 0
	.set _ZL30rocblas_trmm_outofplace_kernelIfLi32ELi2ELb0ELb1ELb1ELb1EfKffEv17rocblas_diagonal_iiT6_lPT7_lllS4_lllPT8_llli.has_recursion, 0
	.set _ZL30rocblas_trmm_outofplace_kernelIfLi32ELi2ELb0ELb1ELb1ELb1EfKffEv17rocblas_diagonal_iiT6_lPT7_lllS4_lllPT8_llli.has_indirect_call, 0
	.section	.AMDGPU.csdata,"",@progbits
; Kernel info:
; codeLenInByte = 3516
; TotalNumSgprs: 64
; NumVgprs: 94
; ScratchSize: 0
; MemoryBound: 0
; FloatMode: 240
; IeeeMode: 1
; LDSByteSize: 8192 bytes/workgroup (compile time only)
; SGPRBlocks: 0
; VGPRBlocks: 11
; NumSGPRsForWavesPerEU: 64
; NumVGPRsForWavesPerEU: 94
; Occupancy: 16
; WaveLimiterHint : 0
; COMPUTE_PGM_RSRC2:SCRATCH_EN: 0
; COMPUTE_PGM_RSRC2:USER_SGPR: 2
; COMPUTE_PGM_RSRC2:TRAP_HANDLER: 0
; COMPUTE_PGM_RSRC2:TGID_X_EN: 1
; COMPUTE_PGM_RSRC2:TGID_Y_EN: 1
; COMPUTE_PGM_RSRC2:TGID_Z_EN: 1
; COMPUTE_PGM_RSRC2:TIDIG_COMP_CNT: 1
	.section	.text._ZL23rocblas_trmm_lNx_kernelILi32EfPKfS0_fEv13rocblas_fill_17rocblas_diagonal_iiT1_lPT2_llS6_llPT3_lli,"axG",@progbits,_ZL23rocblas_trmm_lNx_kernelILi32EfPKfS0_fEv13rocblas_fill_17rocblas_diagonal_iiT1_lPT2_llS6_llPT3_lli,comdat
	.globl	_ZL23rocblas_trmm_lNx_kernelILi32EfPKfS0_fEv13rocblas_fill_17rocblas_diagonal_iiT1_lPT2_llS6_llPT3_lli ; -- Begin function _ZL23rocblas_trmm_lNx_kernelILi32EfPKfS0_fEv13rocblas_fill_17rocblas_diagonal_iiT1_lPT2_llS6_llPT3_lli
	.p2align	8
	.type	_ZL23rocblas_trmm_lNx_kernelILi32EfPKfS0_fEv13rocblas_fill_17rocblas_diagonal_iiT1_lPT2_llS6_llPT3_lli,@function
_ZL23rocblas_trmm_lNx_kernelILi32EfPKfS0_fEv13rocblas_fill_17rocblas_diagonal_iiT1_lPT2_llS6_llPT3_lli: ; @_ZL23rocblas_trmm_lNx_kernelILi32EfPKfS0_fEv13rocblas_fill_17rocblas_diagonal_iiT1_lPT2_llS6_llPT3_lli
; %bb.0:
	s_load_b32 s30, s[0:1], 0x68
	s_lshr_b32 s2, ttmp7, 16
	s_wait_kmcnt 0x0
	s_cmp_ge_u32 s2, s30
	s_cbranch_scc1 .LBB24_19
; %bb.1:
	s_clause 0x3
	s_load_b128 s[20:23], s[0:1], 0x0
	s_load_b512 s[4:19], s[0:1], 0x10
	s_load_b128 s[24:27], s[0:1], 0x50
	s_load_b64 s[28:29], s[0:1], 0x60
	v_bfe_u32 v13, v0, 10, 10
	v_dual_mov_b32 v1, 0 :: v_dual_and_b32 v14, 0x3ff, v0
	s_wait_kmcnt 0x0
	s_add_co_i32 s1, s23, -1
	s_delay_alu instid0(VALU_DEP_2)
	v_mad_co_u64_u32 v[4:5], null, s10, v13, 0
	v_mad_co_u64_u32 v[6:7], null, s16, v13, 0
	;; [unrolled: 1-line block ×3, first 2 shown]
	s_ashr_i32 s0, s1, 31
	v_cmp_gt_i32_e32 vcc_lo, s22, v13
	s_lshr_b32 s3, s0, 27
	v_cmp_gt_i32_e64 s0, s22, v14
	v_mad_co_u64_u32 v[10:11], null, s11, v13, v[5:6]
	v_mad_co_u64_u32 v[11:12], null, s17, v13, v[7:8]
	s_add_co_i32 s1, s1, s3
	v_lshlrev_b32_e32 v0, 5, v13
	s_ashr_i32 s3, s1, 5
	s_and_not1_b32 s1, s1, 31
	v_lshlrev_b32_e32 v2, 2, v14
	s_sub_co_i32 s1, s23, s1
	s_cmp_ge_i32 ttmp9, s3
	v_mov_b32_e32 v5, v10
	v_mov_b32_e32 v7, v11
	s_cselect_b32 s1, s1, 32
	s_lshl_b32 s22, ttmp9, 5
	s_and_b32 s10, vcc_lo, s0
	s_wait_alu 0xfffe
	s_ashr_i32 s23, s22, 31
	v_lshlrev_b64_e32 v[4:5], 2, v[4:5]
	s_wait_alu 0xfffe
	s_mul_u64 s[16:17], s[16:17], s[22:23]
	v_lshlrev_b64_e32 v[6:7], 2, v[6:7]
	v_cmp_gt_i32_e32 vcc_lo, s1, v13
	v_mad_co_u64_u32 v[9:10], null, s27, v13, v[9:10]
	s_wait_alu 0xfffe
	s_lshl_b64 s[16:17], s[16:17], 2
	v_add_co_u32 v4, s1, s8, v4
	s_wait_alu 0xfffe
	s_add_nc_u64 s[14:15], s[14:15], s[16:17]
	s_and_b32 s8, s0, vcc_lo
	v_add_co_u32 v6, vcc_lo, s14, v6
	s_mul_u64 s[22:23], s[26:27], s[22:23]
	v_add_co_ci_u32_e64 v7, null, s15, v7, vcc_lo
	v_lshlrev_b64_e32 v[8:9], 2, v[8:9]
	s_wait_alu 0xfffe
	s_lshl_b64 s[22:23], s[22:23], 2
	v_cmp_eq_u32_e32 vcc_lo, v13, v14
	s_cmp_eq_u32 s21, 0x84
	v_add_co_u32 v6, s0, v6, v2
	s_wait_alu 0xfffe
	s_add_nc_u64 s[16:17], s[24:25], s[22:23]
	v_add_co_ci_u32_e64 v7, null, 0, v7, s0
	s_cselect_b32 s0, -1, 0
	v_add_co_ci_u32_e64 v5, null, s9, v5, s1
	s_wait_alu 0xfffe
	s_and_b32 s9, vcc_lo, s0
	v_add_co_u32 v10, vcc_lo, s16, v8
	v_add_lshl_u32 v0, v0, v14, 2
	s_wait_alu 0xfffd
	v_add_co_ci_u32_e64 v11, null, s17, v9, vcc_lo
	v_add_co_u32 v4, s1, v4, v2
	v_add_co_u32 v9, vcc_lo, v10, v2
	v_add_nc_u32_e32 v3, 0x1000, v0
	s_wait_alu 0xf1ff
	v_add_co_ci_u32_e64 v5, null, 0, v5, s1
	v_cmp_lt_u32_e64 s0, v14, v13
	v_cmp_gt_u32_e64 s1, v14, v13
	v_lshl_add_u32 v8, v13, 7, 0x1000
	s_wait_alu 0xfffd
	v_add_co_ci_u32_e64 v10, null, 0, v11, vcc_lo
	v_dual_mov_b32 v11, 1.0 :: v_dual_add_nc_u32 v12, 0x400, v2
	v_add_nc_u32_e32 v13, 0x800, v2
	v_add_nc_u32_e32 v14, 0xc00, v2
	s_cmp_lg_u32 s20, 0x79
	s_mov_b32 s3, 0
	s_cselect_b32 s11, -1, 0
	s_branch .LBB24_4
.LBB24_2:                               ;   in Loop: Header=BB24_4 Depth=1
	s_wait_alu 0xfffe
	s_or_b32 exec_lo, exec_lo, s14
.LBB24_3:                               ;   in Loop: Header=BB24_4 Depth=1
	s_add_co_i32 s2, s2, 0x10000
	s_delay_alu instid0(SALU_CYCLE_1)
	s_cmp_lt_u32 s2, s30
	s_cbranch_scc0 .LBB24_19
.LBB24_4:                               ; =>This Inner Loop Header: Depth=1
	s_mul_u64 s[14:15], s[6:7], s[2:3]
	s_wait_alu 0xfffe
	s_lshl_b64 s[14:15], s[14:15], 2
	s_wait_alu 0xfffe
	s_add_nc_u64 s[14:15], s[4:5], s[14:15]
	global_load_b32 v15, v1, s[14:15]
	s_wait_loadcnt 0x0
	v_cmp_eq_f32_e32 vcc_lo, 0, v15
	s_cbranch_vccnz .LBB24_3
; %bb.5:                                ;   in Loop: Header=BB24_4 Depth=1
	ds_store_b32 v0, v1
	ds_store_b32 v3, v1
	s_and_saveexec_b32 s14, s10
	s_cbranch_execnz .LBB24_10
; %bb.6:                                ;   in Loop: Header=BB24_4 Depth=1
	s_wait_alu 0xfffe
	s_or_b32 exec_lo, exec_lo, s14
	s_and_saveexec_b32 s14, s8
	s_cbranch_execnz .LBB24_11
.LBB24_7:                               ;   in Loop: Header=BB24_4 Depth=1
	s_wait_alu 0xfffe
	s_or_b32 exec_lo, exec_lo, s14
	s_and_saveexec_b32 s14, s9
	s_cbranch_execnz .LBB24_12
.LBB24_8:                               ;   in Loop: Header=BB24_4 Depth=1
	s_wait_alu 0xfffe
	s_or_b32 exec_lo, exec_lo, s14
	s_delay_alu instid0(SALU_CYCLE_1)
	s_and_b32 vcc_lo, exec_lo, s11
	s_wait_alu 0xfffe
	s_cbranch_vccz .LBB24_13
.LBB24_9:                               ;   in Loop: Header=BB24_4 Depth=1
	s_and_b32 s14, s0, exec_lo
	s_cbranch_execz .LBB24_14
	s_branch .LBB24_15
.LBB24_10:                              ;   in Loop: Header=BB24_4 Depth=1
	s_mul_u64 s[16:17], s[12:13], s[2:3]
	s_wait_alu 0xfffe
	s_lshl_b64 s[16:17], s[16:17], 2
	s_wait_alu 0xfffe
	v_add_co_u32 v16, vcc_lo, v4, s16
	s_wait_alu 0xfffd
	v_add_co_ci_u32_e64 v17, null, s17, v5, vcc_lo
	global_load_b32 v16, v[16:17], off
	s_wait_loadcnt 0x0
	ds_store_b32 v0, v16
	s_or_b32 exec_lo, exec_lo, s14
	s_and_saveexec_b32 s14, s8
	s_cbranch_execz .LBB24_7
.LBB24_11:                              ;   in Loop: Header=BB24_4 Depth=1
	s_mul_u64 s[16:17], s[18:19], s[2:3]
	s_wait_alu 0xfffe
	s_lshl_b64 s[16:17], s[16:17], 2
	s_wait_alu 0xfffe
	v_add_co_u32 v16, vcc_lo, v6, s16
	s_wait_alu 0xfffd
	v_add_co_ci_u32_e64 v17, null, s17, v7, vcc_lo
	global_load_b32 v16, v[16:17], off
	s_wait_loadcnt 0x0
	ds_store_b32 v3, v16
	s_or_b32 exec_lo, exec_lo, s14
	s_and_saveexec_b32 s14, s9
	s_cbranch_execz .LBB24_8
.LBB24_12:                              ;   in Loop: Header=BB24_4 Depth=1
	ds_store_b32 v0, v11
	s_wait_alu 0xfffe
	s_or_b32 exec_lo, exec_lo, s14
	s_delay_alu instid0(SALU_CYCLE_1)
	s_and_b32 vcc_lo, exec_lo, s11
	s_wait_alu 0xfffe
	s_cbranch_vccnz .LBB24_9
.LBB24_13:                              ;   in Loop: Header=BB24_4 Depth=1
	s_mov_b32 s14, 0
.LBB24_14:                              ;   in Loop: Header=BB24_4 Depth=1
	s_wait_alu 0xfffe
	s_and_not1_b32 s14, s14, exec_lo
	s_and_b32 s15, s1, exec_lo
	s_wait_alu 0xfffe
	s_or_b32 s14, s14, s15
.LBB24_15:                              ;   in Loop: Header=BB24_4 Depth=1
	s_wait_alu 0xfffe
	s_and_saveexec_b32 s15, s14
; %bb.16:                               ;   in Loop: Header=BB24_4 Depth=1
	ds_store_b32 v0, v1
; %bb.17:                               ;   in Loop: Header=BB24_4 Depth=1
	s_wait_alu 0xfffe
	s_or_b32 exec_lo, exec_lo, s15
	s_wait_dscnt 0x0
	s_barrier_signal -1
	s_barrier_wait -1
	global_inv scope:SCOPE_SE
	s_and_saveexec_b32 s14, s8
	s_cbranch_execz .LBB24_2
; %bb.18:                               ;   in Loop: Header=BB24_4 Depth=1
	ds_load_2addr_b32 v[24:25], v2 offset1:32
	ds_load_b128 v[16:19], v8
	ds_load_2addr_b32 v[26:27], v2 offset0:64 offset1:96
	ds_load_b128 v[20:23], v8 offset:16
	ds_load_2addr_b32 v[28:29], v2 offset0:128 offset1:160
	s_mul_u64 s[16:17], s[28:29], s[2:3]
	s_wait_alu 0xfffe
	s_lshl_b64 s[16:17], s[16:17], 2
	s_wait_dscnt 0x3
	v_fma_f32 v30, v24, v16, 0
	s_delay_alu instid0(VALU_DEP_1) | instskip(SKIP_3) | instid1(VALU_DEP_1)
	v_fmac_f32_e32 v30, v25, v17
	ds_load_2addr_b32 v[24:25], v2 offset0:192 offset1:224
	s_wait_dscnt 0x3
	v_fmac_f32_e32 v30, v26, v18
	v_fmac_f32_e32 v30, v27, v19
	ds_load_b128 v[16:19], v8 offset:32
	ds_load_2addr_b32 v[26:27], v12 offset1:32
	s_wait_dscnt 0x3
	v_fmac_f32_e32 v30, v28, v20
	s_delay_alu instid0(VALU_DEP_1) | instskip(SKIP_3) | instid1(VALU_DEP_1)
	v_fmac_f32_e32 v30, v29, v21
	ds_load_2addr_b32 v[28:29], v12 offset0:64 offset1:96
	s_wait_dscnt 0x3
	v_fmac_f32_e32 v30, v24, v22
	v_fmac_f32_e32 v30, v25, v23
	ds_load_b128 v[20:23], v8 offset:48
	ds_load_2addr_b32 v[24:25], v12 offset0:128 offset1:160
	s_wait_dscnt 0x3
	v_fmac_f32_e32 v30, v26, v16
	s_delay_alu instid0(VALU_DEP_1) | instskip(SKIP_3) | instid1(VALU_DEP_1)
	v_fmac_f32_e32 v30, v27, v17
	ds_load_2addr_b32 v[26:27], v12 offset0:192 offset1:224
	s_wait_dscnt 0x3
	v_fmac_f32_e32 v30, v28, v18
	v_fmac_f32_e32 v30, v29, v19
	ds_load_2addr_b32 v[28:29], v13 offset1:32
	ds_load_b128 v[16:19], v8 offset:64
	s_wait_dscnt 0x3
	v_fmac_f32_e32 v30, v24, v20
	s_delay_alu instid0(VALU_DEP_1) | instskip(SKIP_3) | instid1(VALU_DEP_1)
	v_fmac_f32_e32 v30, v25, v21
	ds_load_2addr_b32 v[24:25], v13 offset0:64 offset1:96
	s_wait_dscnt 0x3
	v_fmac_f32_e32 v30, v26, v22
	v_fmac_f32_e32 v30, v27, v23
	ds_load_2addr_b32 v[26:27], v13 offset0:128 offset1:160
	ds_load_b128 v[20:23], v8 offset:80
	s_wait_dscnt 0x3
	v_fmac_f32_e32 v30, v28, v16
	s_delay_alu instid0(VALU_DEP_1) | instskip(SKIP_3) | instid1(VALU_DEP_1)
	v_fmac_f32_e32 v30, v29, v17
	ds_load_2addr_b32 v[28:29], v13 offset0:192 offset1:224
	s_wait_dscnt 0x3
	v_fmac_f32_e32 v30, v24, v18
	v_fmac_f32_e32 v30, v25, v19
	ds_load_2addr_b32 v[24:25], v14 offset1:32
	ds_load_b128 v[16:19], v8 offset:96
	s_wait_dscnt 0x3
	v_fmac_f32_e32 v30, v26, v20
	s_delay_alu instid0(VALU_DEP_1) | instskip(SKIP_3) | instid1(VALU_DEP_1)
	v_fmac_f32_e32 v30, v27, v21
	ds_load_2addr_b32 v[26:27], v14 offset0:64 offset1:96
	s_wait_dscnt 0x3
	v_fmac_f32_e32 v30, v28, v22
	v_fmac_f32_e32 v30, v29, v23
	ds_load_2addr_b32 v[28:29], v14 offset0:128 offset1:160
	ds_load_b128 v[20:23], v8 offset:112
	s_wait_dscnt 0x3
	v_fmac_f32_e32 v30, v24, v16
	s_delay_alu instid0(VALU_DEP_1) | instskip(SKIP_3) | instid1(VALU_DEP_1)
	v_fmac_f32_e32 v30, v25, v17
	ds_load_2addr_b32 v[16:17], v14 offset0:192 offset1:224
	s_wait_dscnt 0x3
	v_fmac_f32_e32 v30, v26, v18
	v_fmac_f32_e32 v30, v27, v19
	s_wait_dscnt 0x1
	s_delay_alu instid0(VALU_DEP_1) | instskip(NEXT) | instid1(VALU_DEP_1)
	v_fmac_f32_e32 v30, v28, v20
	v_fmac_f32_e32 v30, v29, v21
	s_wait_dscnt 0x0
	s_delay_alu instid0(VALU_DEP_1) | instskip(NEXT) | instid1(VALU_DEP_1)
	v_fmac_f32_e32 v30, v16, v22
	v_fmac_f32_e32 v30, v17, v23
	s_delay_alu instid0(VALU_DEP_1)
	v_mul_f32_e32 v17, v15, v30
	s_wait_alu 0xfffe
	v_add_co_u32 v15, vcc_lo, v9, s16
	s_wait_alu 0xfffd
	v_add_co_ci_u32_e64 v16, null, s17, v10, vcc_lo
	global_store_b32 v[15:16], v17, off
	s_branch .LBB24_2
.LBB24_19:
	s_endpgm
	.section	.rodata,"a",@progbits
	.p2align	6, 0x0
	.amdhsa_kernel _ZL23rocblas_trmm_lNx_kernelILi32EfPKfS0_fEv13rocblas_fill_17rocblas_diagonal_iiT1_lPT2_llS6_llPT3_lli
		.amdhsa_group_segment_fixed_size 8192
		.amdhsa_private_segment_fixed_size 0
		.amdhsa_kernarg_size 108
		.amdhsa_user_sgpr_count 2
		.amdhsa_user_sgpr_dispatch_ptr 0
		.amdhsa_user_sgpr_queue_ptr 0
		.amdhsa_user_sgpr_kernarg_segment_ptr 1
		.amdhsa_user_sgpr_dispatch_id 0
		.amdhsa_user_sgpr_private_segment_size 0
		.amdhsa_wavefront_size32 1
		.amdhsa_uses_dynamic_stack 0
		.amdhsa_enable_private_segment 0
		.amdhsa_system_sgpr_workgroup_id_x 1
		.amdhsa_system_sgpr_workgroup_id_y 0
		.amdhsa_system_sgpr_workgroup_id_z 1
		.amdhsa_system_sgpr_workgroup_info 0
		.amdhsa_system_vgpr_workitem_id 1
		.amdhsa_next_free_vgpr 31
		.amdhsa_next_free_sgpr 31
		.amdhsa_reserve_vcc 1
		.amdhsa_float_round_mode_32 0
		.amdhsa_float_round_mode_16_64 0
		.amdhsa_float_denorm_mode_32 3
		.amdhsa_float_denorm_mode_16_64 3
		.amdhsa_fp16_overflow 0
		.amdhsa_workgroup_processor_mode 1
		.amdhsa_memory_ordered 1
		.amdhsa_forward_progress 1
		.amdhsa_inst_pref_size 12
		.amdhsa_round_robin_scheduling 0
		.amdhsa_exception_fp_ieee_invalid_op 0
		.amdhsa_exception_fp_denorm_src 0
		.amdhsa_exception_fp_ieee_div_zero 0
		.amdhsa_exception_fp_ieee_overflow 0
		.amdhsa_exception_fp_ieee_underflow 0
		.amdhsa_exception_fp_ieee_inexact 0
		.amdhsa_exception_int_div_zero 0
	.end_amdhsa_kernel
	.section	.text._ZL23rocblas_trmm_lNx_kernelILi32EfPKfS0_fEv13rocblas_fill_17rocblas_diagonal_iiT1_lPT2_llS6_llPT3_lli,"axG",@progbits,_ZL23rocblas_trmm_lNx_kernelILi32EfPKfS0_fEv13rocblas_fill_17rocblas_diagonal_iiT1_lPT2_llS6_llPT3_lli,comdat
.Lfunc_end24:
	.size	_ZL23rocblas_trmm_lNx_kernelILi32EfPKfS0_fEv13rocblas_fill_17rocblas_diagonal_iiT1_lPT2_llS6_llPT3_lli, .Lfunc_end24-_ZL23rocblas_trmm_lNx_kernelILi32EfPKfS0_fEv13rocblas_fill_17rocblas_diagonal_iiT1_lPT2_llS6_llPT3_lli
                                        ; -- End function
	.set _ZL23rocblas_trmm_lNx_kernelILi32EfPKfS0_fEv13rocblas_fill_17rocblas_diagonal_iiT1_lPT2_llS6_llPT3_lli.num_vgpr, 31
	.set _ZL23rocblas_trmm_lNx_kernelILi32EfPKfS0_fEv13rocblas_fill_17rocblas_diagonal_iiT1_lPT2_llS6_llPT3_lli.num_agpr, 0
	.set _ZL23rocblas_trmm_lNx_kernelILi32EfPKfS0_fEv13rocblas_fill_17rocblas_diagonal_iiT1_lPT2_llS6_llPT3_lli.numbered_sgpr, 31
	.set _ZL23rocblas_trmm_lNx_kernelILi32EfPKfS0_fEv13rocblas_fill_17rocblas_diagonal_iiT1_lPT2_llS6_llPT3_lli.num_named_barrier, 0
	.set _ZL23rocblas_trmm_lNx_kernelILi32EfPKfS0_fEv13rocblas_fill_17rocblas_diagonal_iiT1_lPT2_llS6_llPT3_lli.private_seg_size, 0
	.set _ZL23rocblas_trmm_lNx_kernelILi32EfPKfS0_fEv13rocblas_fill_17rocblas_diagonal_iiT1_lPT2_llS6_llPT3_lli.uses_vcc, 1
	.set _ZL23rocblas_trmm_lNx_kernelILi32EfPKfS0_fEv13rocblas_fill_17rocblas_diagonal_iiT1_lPT2_llS6_llPT3_lli.uses_flat_scratch, 0
	.set _ZL23rocblas_trmm_lNx_kernelILi32EfPKfS0_fEv13rocblas_fill_17rocblas_diagonal_iiT1_lPT2_llS6_llPT3_lli.has_dyn_sized_stack, 0
	.set _ZL23rocblas_trmm_lNx_kernelILi32EfPKfS0_fEv13rocblas_fill_17rocblas_diagonal_iiT1_lPT2_llS6_llPT3_lli.has_recursion, 0
	.set _ZL23rocblas_trmm_lNx_kernelILi32EfPKfS0_fEv13rocblas_fill_17rocblas_diagonal_iiT1_lPT2_llS6_llPT3_lli.has_indirect_call, 0
	.section	.AMDGPU.csdata,"",@progbits
; Kernel info:
; codeLenInByte = 1412
; TotalNumSgprs: 33
; NumVgprs: 31
; ScratchSize: 0
; MemoryBound: 0
; FloatMode: 240
; IeeeMode: 1
; LDSByteSize: 8192 bytes/workgroup (compile time only)
; SGPRBlocks: 0
; VGPRBlocks: 3
; NumSGPRsForWavesPerEU: 33
; NumVGPRsForWavesPerEU: 31
; Occupancy: 16
; WaveLimiterHint : 0
; COMPUTE_PGM_RSRC2:SCRATCH_EN: 0
; COMPUTE_PGM_RSRC2:USER_SGPR: 2
; COMPUTE_PGM_RSRC2:TRAP_HANDLER: 0
; COMPUTE_PGM_RSRC2:TGID_X_EN: 1
; COMPUTE_PGM_RSRC2:TGID_Y_EN: 0
; COMPUTE_PGM_RSRC2:TGID_Z_EN: 1
; COMPUTE_PGM_RSRC2:TIDIG_COMP_CNT: 1
	.section	.text._ZL23rocblas_trmm_lNx_kernelILi32EffKffEv13rocblas_fill_17rocblas_diagonal_iiT1_lPT2_llS5_llPT3_lli,"axG",@progbits,_ZL23rocblas_trmm_lNx_kernelILi32EffKffEv13rocblas_fill_17rocblas_diagonal_iiT1_lPT2_llS5_llPT3_lli,comdat
	.globl	_ZL23rocblas_trmm_lNx_kernelILi32EffKffEv13rocblas_fill_17rocblas_diagonal_iiT1_lPT2_llS5_llPT3_lli ; -- Begin function _ZL23rocblas_trmm_lNx_kernelILi32EffKffEv13rocblas_fill_17rocblas_diagonal_iiT1_lPT2_llS5_llPT3_lli
	.p2align	8
	.type	_ZL23rocblas_trmm_lNx_kernelILi32EffKffEv13rocblas_fill_17rocblas_diagonal_iiT1_lPT2_llS5_llPT3_lli,@function
_ZL23rocblas_trmm_lNx_kernelILi32EffKffEv13rocblas_fill_17rocblas_diagonal_iiT1_lPT2_llS5_llPT3_lli: ; @_ZL23rocblas_trmm_lNx_kernelILi32EffKffEv13rocblas_fill_17rocblas_diagonal_iiT1_lPT2_llS5_llPT3_lli
; %bb.0:
	s_load_b32 s26, s[0:1], 0x68
	s_lshr_b32 s2, ttmp7, 16
	s_wait_kmcnt 0x0
	s_cmp_ge_u32 s2, s26
	s_cbranch_scc1 .LBB25_19
; %bb.1:
	s_clause 0x2
	s_load_b32 s27, s[0:1], 0x10
	s_load_b128 s[20:23], s[0:1], 0x0
	s_load_b512 s[4:19], s[0:1], 0x20
	v_bfe_u32 v13, v0, 10, 10
	s_load_b64 s[24:25], s[0:1], 0x60
	v_dual_mov_b32 v1, 0 :: v_dual_and_b32 v14, 0x3ff, v0
	s_wait_kmcnt 0x0
	s_cmp_neq_f32 s27, 0
	v_cmp_gt_i32_e32 vcc_lo, s22, v13
	v_mad_co_u64_u32 v[4:5], null, s6, v13, 0
	v_mad_co_u64_u32 v[6:7], null, s12, v13, 0
	;; [unrolled: 1-line block ×3, first 2 shown]
	s_cselect_b32 s6, -1, 0
	s_add_co_i32 s1, s23, -1
	v_cmp_gt_i32_e64 s0, s22, v14
	s_ashr_i32 s3, s1, 31
	v_mad_co_u64_u32 v[10:11], null, s7, v13, v[5:6]
	s_lshr_b32 s3, s3, 27
	v_mad_co_u64_u32 v[11:12], null, s13, v13, v[7:8]
	v_lshlrev_b32_e32 v0, 5, v13
	s_add_co_i32 s1, s1, s3
	v_dual_mov_b32 v5, v10 :: v_dual_lshlrev_b32 v2, 2, v14
	s_ashr_i32 s3, s1, 5
	s_and_not1_b32 s1, s1, 31
	s_delay_alu instid0(VALU_DEP_3)
	v_mov_b32_e32 v7, v11
	s_sub_co_i32 s1, s23, s1
	v_lshlrev_b64_e32 v[4:5], 2, v[4:5]
	s_cmp_ge_i32 ttmp9, s3
	v_mad_co_u64_u32 v[9:10], null, s19, v13, v[9:10]
	s_cselect_b32 s1, s1, 32
	s_lshl_b32 s22, ttmp9, 5
	s_and_b32 s7, vcc_lo, s0
	s_wait_alu 0xfffe
	s_ashr_i32 s23, s22, 31
	v_add_co_u32 v4, vcc_lo, s4, v4
	s_wait_alu 0xfffe
	s_mul_u64 s[12:13], s[12:13], s[22:23]
	v_lshlrev_b64_e32 v[6:7], 2, v[6:7]
	v_add_co_ci_u32_e64 v5, null, s5, v5, vcc_lo
	v_cmp_gt_i32_e32 vcc_lo, s1, v13
	s_wait_alu 0xfffe
	s_lshl_b64 s[12:13], s[12:13], 2
	s_mul_u64 s[22:23], s[18:19], s[22:23]
	s_wait_alu 0xfffe
	s_add_nc_u64 s[10:11], s[10:11], s[12:13]
	v_lshlrev_b64_e32 v[8:9], 2, v[8:9]
	s_and_b32 s4, s0, vcc_lo
	v_add_co_u32 v6, vcc_lo, s10, v6
	s_lshl_b64 s[22:23], s[22:23], 2
	s_wait_alu 0xfffd
	v_add_co_ci_u32_e64 v7, null, s11, v7, vcc_lo
	v_cmp_eq_u32_e32 vcc_lo, v13, v14
	v_add_co_u32 v4, s1, v4, v2
	s_cmp_eq_u32 s21, 0x84
	s_wait_alu 0xfffe
	s_add_nc_u64 s[12:13], s[16:17], s[22:23]
	v_add_co_ci_u32_e64 v5, null, 0, v5, s1
	s_cselect_b32 s1, -1, 0
	v_add_lshl_u32 v0, v0, v14, 2
	s_wait_alu 0xfffe
	s_and_b32 s5, vcc_lo, s1
	v_add_co_u32 v10, vcc_lo, s12, v8
	s_wait_alu 0xfffd
	v_add_co_ci_u32_e64 v11, null, s13, v9, vcc_lo
	v_add_co_u32 v6, s0, v6, v2
	s_delay_alu instid0(VALU_DEP_3)
	v_add_co_u32 v9, vcc_lo, v10, v2
	v_add_nc_u32_e32 v3, 0x1000, v0
	s_wait_alu 0xf1ff
	v_add_co_ci_u32_e64 v7, null, 0, v7, s0
	v_cmp_lt_u32_e64 s0, v14, v13
	v_cmp_gt_u32_e64 s1, v14, v13
	v_lshl_add_u32 v8, v13, 7, 0x1000
	s_wait_alu 0xfffd
	v_add_co_ci_u32_e64 v10, null, 0, v11, vcc_lo
	v_dual_mov_b32 v11, 1.0 :: v_dual_add_nc_u32 v12, 0x400, v2
	v_add_nc_u32_e32 v13, 0x800, v2
	v_add_nc_u32_e32 v14, 0xc00, v2
	s_cmp_lg_u32 s20, 0x79
	s_mov_b32 s3, 0
	s_cselect_b32 s10, -1, 0
	s_branch .LBB25_4
.LBB25_2:                               ;   in Loop: Header=BB25_4 Depth=1
	s_wait_alu 0xfffe
	s_or_b32 exec_lo, exec_lo, s11
.LBB25_3:                               ;   in Loop: Header=BB25_4 Depth=1
	s_add_co_i32 s2, s2, 0x10000
	s_delay_alu instid0(SALU_CYCLE_1)
	s_cmp_lt_u32 s2, s26
	s_cbranch_scc0 .LBB25_19
.LBB25_4:                               ; =>This Inner Loop Header: Depth=1
	s_and_not1_b32 vcc_lo, exec_lo, s6
	s_wait_alu 0xfffe
	s_cbranch_vccnz .LBB25_3
; %bb.5:                                ;   in Loop: Header=BB25_4 Depth=1
	ds_store_b32 v0, v1
	ds_store_b32 v3, v1
	s_and_saveexec_b32 s11, s7
	s_cbranch_execnz .LBB25_10
; %bb.6:                                ;   in Loop: Header=BB25_4 Depth=1
	s_wait_alu 0xfffe
	s_or_b32 exec_lo, exec_lo, s11
	s_and_saveexec_b32 s11, s4
	s_cbranch_execnz .LBB25_11
.LBB25_7:                               ;   in Loop: Header=BB25_4 Depth=1
	s_wait_alu 0xfffe
	s_or_b32 exec_lo, exec_lo, s11
	s_and_saveexec_b32 s11, s5
	s_cbranch_execnz .LBB25_12
.LBB25_8:                               ;   in Loop: Header=BB25_4 Depth=1
	s_wait_alu 0xfffe
	s_or_b32 exec_lo, exec_lo, s11
	s_delay_alu instid0(SALU_CYCLE_1)
	s_and_b32 vcc_lo, exec_lo, s10
	s_wait_alu 0xfffe
	s_cbranch_vccz .LBB25_13
.LBB25_9:                               ;   in Loop: Header=BB25_4 Depth=1
	s_and_b32 s11, s0, exec_lo
	s_cbranch_execz .LBB25_14
	s_branch .LBB25_15
.LBB25_10:                              ;   in Loop: Header=BB25_4 Depth=1
	s_mul_u64 s[12:13], s[8:9], s[2:3]
	s_wait_alu 0xfffe
	s_lshl_b64 s[12:13], s[12:13], 2
	s_wait_alu 0xfffe
	v_add_co_u32 v15, vcc_lo, v4, s12
	s_wait_alu 0xfffd
	v_add_co_ci_u32_e64 v16, null, s13, v5, vcc_lo
	global_load_b32 v15, v[15:16], off
	s_wait_loadcnt 0x0
	ds_store_b32 v0, v15
	s_or_b32 exec_lo, exec_lo, s11
	s_and_saveexec_b32 s11, s4
	s_cbranch_execz .LBB25_7
.LBB25_11:                              ;   in Loop: Header=BB25_4 Depth=1
	s_mul_u64 s[12:13], s[14:15], s[2:3]
	s_wait_alu 0xfffe
	s_lshl_b64 s[12:13], s[12:13], 2
	s_wait_alu 0xfffe
	v_add_co_u32 v15, vcc_lo, v6, s12
	s_wait_alu 0xfffd
	v_add_co_ci_u32_e64 v16, null, s13, v7, vcc_lo
	global_load_b32 v15, v[15:16], off
	s_wait_loadcnt 0x0
	ds_store_b32 v3, v15
	s_or_b32 exec_lo, exec_lo, s11
	s_and_saveexec_b32 s11, s5
	s_cbranch_execz .LBB25_8
.LBB25_12:                              ;   in Loop: Header=BB25_4 Depth=1
	ds_store_b32 v0, v11
	s_wait_alu 0xfffe
	s_or_b32 exec_lo, exec_lo, s11
	s_delay_alu instid0(SALU_CYCLE_1)
	s_and_b32 vcc_lo, exec_lo, s10
	s_wait_alu 0xfffe
	s_cbranch_vccnz .LBB25_9
.LBB25_13:                              ;   in Loop: Header=BB25_4 Depth=1
	s_mov_b32 s11, 0
.LBB25_14:                              ;   in Loop: Header=BB25_4 Depth=1
	s_wait_alu 0xfffe
	s_and_not1_b32 s11, s11, exec_lo
	s_and_b32 s12, s1, exec_lo
	s_wait_alu 0xfffe
	s_or_b32 s11, s11, s12
.LBB25_15:                              ;   in Loop: Header=BB25_4 Depth=1
	s_wait_alu 0xfffe
	s_and_saveexec_b32 s12, s11
; %bb.16:                               ;   in Loop: Header=BB25_4 Depth=1
	ds_store_b32 v0, v1
; %bb.17:                               ;   in Loop: Header=BB25_4 Depth=1
	s_wait_alu 0xfffe
	s_or_b32 exec_lo, exec_lo, s12
	s_wait_dscnt 0x0
	s_barrier_signal -1
	s_barrier_wait -1
	global_inv scope:SCOPE_SE
	s_and_saveexec_b32 s11, s4
	s_cbranch_execz .LBB25_2
; %bb.18:                               ;   in Loop: Header=BB25_4 Depth=1
	ds_load_2addr_b32 v[23:24], v2 offset1:32
	ds_load_b128 v[15:18], v8
	ds_load_2addr_b32 v[25:26], v2 offset0:64 offset1:96
	ds_load_b128 v[19:22], v8 offset:16
	ds_load_2addr_b32 v[27:28], v2 offset0:128 offset1:160
	s_mul_u64 s[12:13], s[24:25], s[2:3]
	s_wait_alu 0xfffe
	s_lshl_b64 s[12:13], s[12:13], 2
	s_wait_dscnt 0x3
	v_fma_f32 v29, v23, v15, 0
	s_delay_alu instid0(VALU_DEP_1) | instskip(SKIP_3) | instid1(VALU_DEP_1)
	v_fmac_f32_e32 v29, v24, v16
	ds_load_2addr_b32 v[23:24], v2 offset0:192 offset1:224
	s_wait_dscnt 0x3
	v_fmac_f32_e32 v29, v25, v17
	v_fmac_f32_e32 v29, v26, v18
	ds_load_b128 v[15:18], v8 offset:32
	ds_load_2addr_b32 v[25:26], v12 offset1:32
	s_wait_dscnt 0x3
	v_fmac_f32_e32 v29, v27, v19
	s_delay_alu instid0(VALU_DEP_1) | instskip(SKIP_3) | instid1(VALU_DEP_1)
	v_fmac_f32_e32 v29, v28, v20
	ds_load_2addr_b32 v[27:28], v12 offset0:64 offset1:96
	s_wait_dscnt 0x3
	v_fmac_f32_e32 v29, v23, v21
	v_fmac_f32_e32 v29, v24, v22
	ds_load_b128 v[19:22], v8 offset:48
	ds_load_2addr_b32 v[23:24], v12 offset0:128 offset1:160
	s_wait_dscnt 0x3
	v_fmac_f32_e32 v29, v25, v15
	s_delay_alu instid0(VALU_DEP_1) | instskip(SKIP_3) | instid1(VALU_DEP_1)
	v_fmac_f32_e32 v29, v26, v16
	ds_load_2addr_b32 v[25:26], v12 offset0:192 offset1:224
	s_wait_dscnt 0x3
	v_fmac_f32_e32 v29, v27, v17
	v_fmac_f32_e32 v29, v28, v18
	ds_load_2addr_b32 v[27:28], v13 offset1:32
	ds_load_b128 v[15:18], v8 offset:64
	s_wait_dscnt 0x3
	v_fmac_f32_e32 v29, v23, v19
	s_delay_alu instid0(VALU_DEP_1) | instskip(SKIP_3) | instid1(VALU_DEP_1)
	v_fmac_f32_e32 v29, v24, v20
	ds_load_2addr_b32 v[23:24], v13 offset0:64 offset1:96
	s_wait_dscnt 0x3
	v_fmac_f32_e32 v29, v25, v21
	v_fmac_f32_e32 v29, v26, v22
	ds_load_2addr_b32 v[25:26], v13 offset0:128 offset1:160
	ds_load_b128 v[19:22], v8 offset:80
	s_wait_dscnt 0x3
	v_fmac_f32_e32 v29, v27, v15
	s_delay_alu instid0(VALU_DEP_1) | instskip(SKIP_3) | instid1(VALU_DEP_1)
	v_fmac_f32_e32 v29, v28, v16
	ds_load_2addr_b32 v[27:28], v13 offset0:192 offset1:224
	s_wait_dscnt 0x3
	v_fmac_f32_e32 v29, v23, v17
	v_fmac_f32_e32 v29, v24, v18
	ds_load_2addr_b32 v[23:24], v14 offset1:32
	ds_load_b128 v[15:18], v8 offset:96
	s_wait_dscnt 0x3
	v_fmac_f32_e32 v29, v25, v19
	s_delay_alu instid0(VALU_DEP_1) | instskip(SKIP_3) | instid1(VALU_DEP_1)
	v_fmac_f32_e32 v29, v26, v20
	ds_load_2addr_b32 v[25:26], v14 offset0:64 offset1:96
	s_wait_dscnt 0x3
	v_fmac_f32_e32 v29, v27, v21
	v_fmac_f32_e32 v29, v28, v22
	ds_load_2addr_b32 v[27:28], v14 offset0:128 offset1:160
	ds_load_b128 v[19:22], v8 offset:112
	s_wait_dscnt 0x3
	v_fmac_f32_e32 v29, v23, v15
	s_delay_alu instid0(VALU_DEP_1) | instskip(SKIP_3) | instid1(VALU_DEP_1)
	v_fmac_f32_e32 v29, v24, v16
	ds_load_2addr_b32 v[15:16], v14 offset0:192 offset1:224
	s_wait_dscnt 0x3
	v_fmac_f32_e32 v29, v25, v17
	v_fmac_f32_e32 v29, v26, v18
	s_wait_dscnt 0x1
	s_delay_alu instid0(VALU_DEP_1) | instskip(NEXT) | instid1(VALU_DEP_1)
	v_fmac_f32_e32 v29, v27, v19
	v_fmac_f32_e32 v29, v28, v20
	s_wait_dscnt 0x0
	s_delay_alu instid0(VALU_DEP_1) | instskip(SKIP_2) | instid1(VALU_DEP_2)
	v_fmac_f32_e32 v29, v15, v21
	s_wait_alu 0xfffe
	v_add_co_u32 v15, vcc_lo, v9, s12
	v_fmac_f32_e32 v29, v16, v22
	s_wait_alu 0xfffd
	v_add_co_ci_u32_e64 v16, null, s13, v10, vcc_lo
	s_delay_alu instid0(VALU_DEP_2)
	v_mul_f32_e32 v17, s27, v29
	global_store_b32 v[15:16], v17, off
	s_branch .LBB25_2
.LBB25_19:
	s_endpgm
	.section	.rodata,"a",@progbits
	.p2align	6, 0x0
	.amdhsa_kernel _ZL23rocblas_trmm_lNx_kernelILi32EffKffEv13rocblas_fill_17rocblas_diagonal_iiT1_lPT2_llS5_llPT3_lli
		.amdhsa_group_segment_fixed_size 8192
		.amdhsa_private_segment_fixed_size 0
		.amdhsa_kernarg_size 108
		.amdhsa_user_sgpr_count 2
		.amdhsa_user_sgpr_dispatch_ptr 0
		.amdhsa_user_sgpr_queue_ptr 0
		.amdhsa_user_sgpr_kernarg_segment_ptr 1
		.amdhsa_user_sgpr_dispatch_id 0
		.amdhsa_user_sgpr_private_segment_size 0
		.amdhsa_wavefront_size32 1
		.amdhsa_uses_dynamic_stack 0
		.amdhsa_enable_private_segment 0
		.amdhsa_system_sgpr_workgroup_id_x 1
		.amdhsa_system_sgpr_workgroup_id_y 0
		.amdhsa_system_sgpr_workgroup_id_z 1
		.amdhsa_system_sgpr_workgroup_info 0
		.amdhsa_system_vgpr_workitem_id 1
		.amdhsa_next_free_vgpr 30
		.amdhsa_next_free_sgpr 28
		.amdhsa_reserve_vcc 1
		.amdhsa_float_round_mode_32 0
		.amdhsa_float_round_mode_16_64 0
		.amdhsa_float_denorm_mode_32 3
		.amdhsa_float_denorm_mode_16_64 3
		.amdhsa_fp16_overflow 0
		.amdhsa_workgroup_processor_mode 1
		.amdhsa_memory_ordered 1
		.amdhsa_forward_progress 1
		.amdhsa_inst_pref_size 11
		.amdhsa_round_robin_scheduling 0
		.amdhsa_exception_fp_ieee_invalid_op 0
		.amdhsa_exception_fp_denorm_src 0
		.amdhsa_exception_fp_ieee_div_zero 0
		.amdhsa_exception_fp_ieee_overflow 0
		.amdhsa_exception_fp_ieee_underflow 0
		.amdhsa_exception_fp_ieee_inexact 0
		.amdhsa_exception_int_div_zero 0
	.end_amdhsa_kernel
	.section	.text._ZL23rocblas_trmm_lNx_kernelILi32EffKffEv13rocblas_fill_17rocblas_diagonal_iiT1_lPT2_llS5_llPT3_lli,"axG",@progbits,_ZL23rocblas_trmm_lNx_kernelILi32EffKffEv13rocblas_fill_17rocblas_diagonal_iiT1_lPT2_llS5_llPT3_lli,comdat
.Lfunc_end25:
	.size	_ZL23rocblas_trmm_lNx_kernelILi32EffKffEv13rocblas_fill_17rocblas_diagonal_iiT1_lPT2_llS5_llPT3_lli, .Lfunc_end25-_ZL23rocblas_trmm_lNx_kernelILi32EffKffEv13rocblas_fill_17rocblas_diagonal_iiT1_lPT2_llS5_llPT3_lli
                                        ; -- End function
	.set _ZL23rocblas_trmm_lNx_kernelILi32EffKffEv13rocblas_fill_17rocblas_diagonal_iiT1_lPT2_llS5_llPT3_lli.num_vgpr, 30
	.set _ZL23rocblas_trmm_lNx_kernelILi32EffKffEv13rocblas_fill_17rocblas_diagonal_iiT1_lPT2_llS5_llPT3_lli.num_agpr, 0
	.set _ZL23rocblas_trmm_lNx_kernelILi32EffKffEv13rocblas_fill_17rocblas_diagonal_iiT1_lPT2_llS5_llPT3_lli.numbered_sgpr, 28
	.set _ZL23rocblas_trmm_lNx_kernelILi32EffKffEv13rocblas_fill_17rocblas_diagonal_iiT1_lPT2_llS5_llPT3_lli.num_named_barrier, 0
	.set _ZL23rocblas_trmm_lNx_kernelILi32EffKffEv13rocblas_fill_17rocblas_diagonal_iiT1_lPT2_llS5_llPT3_lli.private_seg_size, 0
	.set _ZL23rocblas_trmm_lNx_kernelILi32EffKffEv13rocblas_fill_17rocblas_diagonal_iiT1_lPT2_llS5_llPT3_lli.uses_vcc, 1
	.set _ZL23rocblas_trmm_lNx_kernelILi32EffKffEv13rocblas_fill_17rocblas_diagonal_iiT1_lPT2_llS5_llPT3_lli.uses_flat_scratch, 0
	.set _ZL23rocblas_trmm_lNx_kernelILi32EffKffEv13rocblas_fill_17rocblas_diagonal_iiT1_lPT2_llS5_llPT3_lli.has_dyn_sized_stack, 0
	.set _ZL23rocblas_trmm_lNx_kernelILi32EffKffEv13rocblas_fill_17rocblas_diagonal_iiT1_lPT2_llS5_llPT3_lli.has_recursion, 0
	.set _ZL23rocblas_trmm_lNx_kernelILi32EffKffEv13rocblas_fill_17rocblas_diagonal_iiT1_lPT2_llS5_llPT3_lli.has_indirect_call, 0
	.section	.AMDGPU.csdata,"",@progbits
; Kernel info:
; codeLenInByte = 1392
; TotalNumSgprs: 30
; NumVgprs: 30
; ScratchSize: 0
; MemoryBound: 0
; FloatMode: 240
; IeeeMode: 1
; LDSByteSize: 8192 bytes/workgroup (compile time only)
; SGPRBlocks: 0
; VGPRBlocks: 3
; NumSGPRsForWavesPerEU: 30
; NumVGPRsForWavesPerEU: 30
; Occupancy: 16
; WaveLimiterHint : 0
; COMPUTE_PGM_RSRC2:SCRATCH_EN: 0
; COMPUTE_PGM_RSRC2:USER_SGPR: 2
; COMPUTE_PGM_RSRC2:TRAP_HANDLER: 0
; COMPUTE_PGM_RSRC2:TGID_X_EN: 1
; COMPUTE_PGM_RSRC2:TGID_Y_EN: 0
; COMPUTE_PGM_RSRC2:TGID_Z_EN: 1
; COMPUTE_PGM_RSRC2:TIDIG_COMP_CNT: 1
	.section	.text._ZL23rocblas_trmm_lTx_kernelILi32ELb0EfPKfS0_fEv13rocblas_fill_17rocblas_diagonal_iiT2_lPT3_llS6_llPT4_lli,"axG",@progbits,_ZL23rocblas_trmm_lTx_kernelILi32ELb0EfPKfS0_fEv13rocblas_fill_17rocblas_diagonal_iiT2_lPT3_llS6_llPT4_lli,comdat
	.globl	_ZL23rocblas_trmm_lTx_kernelILi32ELb0EfPKfS0_fEv13rocblas_fill_17rocblas_diagonal_iiT2_lPT3_llS6_llPT4_lli ; -- Begin function _ZL23rocblas_trmm_lTx_kernelILi32ELb0EfPKfS0_fEv13rocblas_fill_17rocblas_diagonal_iiT2_lPT3_llS6_llPT4_lli
	.p2align	8
	.type	_ZL23rocblas_trmm_lTx_kernelILi32ELb0EfPKfS0_fEv13rocblas_fill_17rocblas_diagonal_iiT2_lPT3_llS6_llPT4_lli,@function
_ZL23rocblas_trmm_lTx_kernelILi32ELb0EfPKfS0_fEv13rocblas_fill_17rocblas_diagonal_iiT2_lPT3_llS6_llPT4_lli: ; @_ZL23rocblas_trmm_lTx_kernelILi32ELb0EfPKfS0_fEv13rocblas_fill_17rocblas_diagonal_iiT2_lPT3_llS6_llPT4_lli
; %bb.0:
	s_load_b32 s30, s[0:1], 0x68
	s_lshr_b32 s2, ttmp7, 16
	s_wait_kmcnt 0x0
	s_cmp_ge_u32 s2, s30
	s_cbranch_scc1 .LBB26_19
; %bb.1:
	s_clause 0x3
	s_load_b128 s[20:23], s[0:1], 0x0
	s_load_b512 s[4:19], s[0:1], 0x10
	s_load_b128 s[24:27], s[0:1], 0x50
	s_load_b64 s[28:29], s[0:1], 0x60
	v_bfe_u32 v13, v0, 10, 10
	v_dual_mov_b32 v1, 0 :: v_dual_and_b32 v14, 0x3ff, v0
	s_delay_alu instid0(VALU_DEP_2)
	v_lshlrev_b32_e32 v15, 2, v13
	s_wait_kmcnt 0x0
	s_add_co_i32 s1, s23, -1
	v_mad_co_u64_u32 v[4:5], null, s10, v13, 0
	v_mad_co_u64_u32 v[6:7], null, s16, v13, 0
	;; [unrolled: 1-line block ×3, first 2 shown]
	s_ashr_i32 s0, s1, 31
	v_cmp_gt_i32_e32 vcc_lo, s22, v13
	s_lshr_b32 s3, s0, 27
	v_cmp_gt_i32_e64 s0, s22, v14
	v_mad_co_u64_u32 v[10:11], null, s11, v13, v[5:6]
	v_mad_co_u64_u32 v[11:12], null, s17, v13, v[7:8]
	s_add_co_i32 s1, s1, s3
	v_lshlrev_b32_e32 v0, 5, v13
	s_ashr_i32 s3, s1, 5
	s_and_not1_b32 s1, s1, 31
	v_lshlrev_b32_e32 v2, 2, v14
	s_sub_co_i32 s1, s23, s1
	s_cmp_ge_i32 ttmp9, s3
	v_mov_b32_e32 v5, v10
	v_mov_b32_e32 v7, v11
	s_cselect_b32 s1, s1, 32
	s_lshl_b32 s22, ttmp9, 5
	s_and_b32 s10, vcc_lo, s0
	s_wait_alu 0xfffe
	s_ashr_i32 s23, s22, 31
	v_lshlrev_b64_e32 v[4:5], 2, v[4:5]
	s_wait_alu 0xfffe
	s_mul_u64 s[16:17], s[16:17], s[22:23]
	v_lshlrev_b64_e32 v[6:7], 2, v[6:7]
	v_cmp_gt_i32_e32 vcc_lo, s1, v13
	v_mad_co_u64_u32 v[9:10], null, s27, v13, v[9:10]
	s_wait_alu 0xfffe
	s_lshl_b64 s[16:17], s[16:17], 2
	v_add_co_u32 v4, s1, s8, v4
	s_wait_alu 0xfffe
	s_add_nc_u64 s[14:15], s[14:15], s[16:17]
	s_and_b32 s8, s0, vcc_lo
	v_add_co_u32 v6, vcc_lo, s14, v6
	s_mul_u64 s[22:23], s[26:27], s[22:23]
	v_add_co_ci_u32_e64 v7, null, s15, v7, vcc_lo
	v_lshlrev_b64_e32 v[8:9], 2, v[8:9]
	s_wait_alu 0xfffe
	s_lshl_b64 s[22:23], s[22:23], 2
	v_cmp_eq_u32_e32 vcc_lo, v13, v14
	s_cmp_eq_u32 s21, 0x84
	v_add_co_u32 v6, s0, v6, v2
	s_wait_alu 0xfffe
	s_add_nc_u64 s[16:17], s[24:25], s[22:23]
	v_add_co_ci_u32_e64 v7, null, 0, v7, s0
	s_cselect_b32 s0, -1, 0
	v_add_co_ci_u32_e64 v5, null, s9, v5, s1
	s_wait_alu 0xfffe
	s_and_b32 s9, vcc_lo, s0
	v_add_co_u32 v10, vcc_lo, s16, v8
	v_add_lshl_u32 v0, v0, v14, 2
	v_lshlrev_b32_e32 v11, 7, v14
	s_wait_alu 0xfffd
	v_add_co_ci_u32_e64 v12, null, s17, v9, vcc_lo
	v_add_co_u32 v4, s1, v4, v2
	v_add_co_u32 v9, vcc_lo, v10, v2
	v_add_nc_u32_e32 v3, 0x1000, v0
	s_wait_alu 0xf1ff
	v_add_co_ci_u32_e64 v5, null, 0, v5, s1
	v_cmp_lt_u32_e64 s0, v14, v13
	v_cmp_gt_u32_e64 s1, v14, v13
	v_lshl_add_u32 v8, v13, 7, 0x1000
	s_wait_alu 0xfffd
	v_add_co_ci_u32_e64 v10, null, 0, v12, vcc_lo
	v_dual_mov_b32 v12, 1.0 :: v_dual_add_nc_u32 v11, v15, v11
	v_add_nc_u32_e32 v13, 0x400, v2
	v_add_nc_u32_e32 v14, 0x800, v2
	v_add_nc_u32_e32 v15, 0xc00, v2
	s_cmp_lg_u32 s20, 0x7a
	s_mov_b32 s3, 0
	s_cselect_b32 s11, -1, 0
	s_branch .LBB26_4
.LBB26_2:                               ;   in Loop: Header=BB26_4 Depth=1
	s_wait_alu 0xfffe
	s_or_b32 exec_lo, exec_lo, s14
.LBB26_3:                               ;   in Loop: Header=BB26_4 Depth=1
	s_add_co_i32 s2, s2, 0x10000
	s_delay_alu instid0(SALU_CYCLE_1)
	s_cmp_lt_u32 s2, s30
	s_cbranch_scc0 .LBB26_19
.LBB26_4:                               ; =>This Inner Loop Header: Depth=1
	s_mul_u64 s[14:15], s[6:7], s[2:3]
	s_wait_alu 0xfffe
	s_lshl_b64 s[14:15], s[14:15], 2
	s_wait_alu 0xfffe
	s_add_nc_u64 s[14:15], s[4:5], s[14:15]
	global_load_b32 v16, v1, s[14:15]
	s_wait_loadcnt 0x0
	v_cmp_eq_f32_e32 vcc_lo, 0, v16
	s_cbranch_vccnz .LBB26_3
; %bb.5:                                ;   in Loop: Header=BB26_4 Depth=1
	ds_store_b32 v0, v1
	ds_store_b32 v3, v1
	s_wait_dscnt 0x0
	s_barrier_signal -1
	s_barrier_wait -1
	global_inv scope:SCOPE_SE
	s_and_saveexec_b32 s14, s10
	s_cbranch_execnz .LBB26_11
; %bb.6:                                ;   in Loop: Header=BB26_4 Depth=1
	s_wait_alu 0xfffe
	s_or_b32 exec_lo, exec_lo, s14
	s_and_saveexec_b32 s14, s8
	s_cbranch_execnz .LBB26_12
.LBB26_7:                               ;   in Loop: Header=BB26_4 Depth=1
	s_wait_alu 0xfffe
	s_or_b32 exec_lo, exec_lo, s14
	s_and_saveexec_b32 s14, s9
.LBB26_8:                               ;   in Loop: Header=BB26_4 Depth=1
	ds_store_b32 v0, v12
.LBB26_9:                               ;   in Loop: Header=BB26_4 Depth=1
	s_wait_alu 0xfffe
	s_or_b32 exec_lo, exec_lo, s14
	s_delay_alu instid0(SALU_CYCLE_1)
	s_and_b32 vcc_lo, exec_lo, s11
	s_wait_loadcnt_dscnt 0x0
	s_barrier_signal -1
	s_barrier_wait -1
	global_inv scope:SCOPE_SE
	s_wait_alu 0xfffe
	s_cbranch_vccz .LBB26_13
; %bb.10:                               ;   in Loop: Header=BB26_4 Depth=1
	s_and_b32 s14, s0, exec_lo
	s_cbranch_execz .LBB26_14
	s_branch .LBB26_15
.LBB26_11:                              ;   in Loop: Header=BB26_4 Depth=1
	s_mul_u64 s[16:17], s[12:13], s[2:3]
	s_wait_alu 0xfffe
	s_lshl_b64 s[16:17], s[16:17], 2
	s_wait_alu 0xfffe
	v_add_co_u32 v17, vcc_lo, v4, s16
	s_wait_alu 0xfffd
	v_add_co_ci_u32_e64 v18, null, s17, v5, vcc_lo
	global_load_b32 v17, v[17:18], off
	s_wait_loadcnt 0x0
	ds_store_b32 v11, v17
	s_or_b32 exec_lo, exec_lo, s14
	s_and_saveexec_b32 s14, s8
	s_cbranch_execz .LBB26_7
.LBB26_12:                              ;   in Loop: Header=BB26_4 Depth=1
	s_mul_u64 s[16:17], s[18:19], s[2:3]
	s_wait_alu 0xfffe
	s_lshl_b64 s[16:17], s[16:17], 2
	s_wait_alu 0xfffe
	v_add_co_u32 v17, vcc_lo, v6, s16
	s_wait_alu 0xfffd
	v_add_co_ci_u32_e64 v18, null, s17, v7, vcc_lo
	global_load_b32 v17, v[17:18], off
	s_wait_loadcnt 0x0
	ds_store_b32 v3, v17
	s_or_b32 exec_lo, exec_lo, s14
	s_and_saveexec_b32 s14, s9
	s_cbranch_execnz .LBB26_8
	s_branch .LBB26_9
.LBB26_13:                              ;   in Loop: Header=BB26_4 Depth=1
	s_mov_b32 s14, 0
.LBB26_14:                              ;   in Loop: Header=BB26_4 Depth=1
	s_wait_alu 0xfffe
	s_and_not1_b32 s14, s14, exec_lo
	s_and_b32 s15, s1, exec_lo
	s_wait_alu 0xfffe
	s_or_b32 s14, s14, s15
.LBB26_15:                              ;   in Loop: Header=BB26_4 Depth=1
	s_wait_alu 0xfffe
	s_and_saveexec_b32 s15, s14
; %bb.16:                               ;   in Loop: Header=BB26_4 Depth=1
	ds_store_b32 v0, v1
; %bb.17:                               ;   in Loop: Header=BB26_4 Depth=1
	s_wait_alu 0xfffe
	s_or_b32 exec_lo, exec_lo, s15
	s_wait_loadcnt_dscnt 0x0
	s_barrier_signal -1
	s_barrier_wait -1
	global_inv scope:SCOPE_SE
	s_and_saveexec_b32 s14, s8
	s_cbranch_execz .LBB26_2
; %bb.18:                               ;   in Loop: Header=BB26_4 Depth=1
	ds_load_2addr_b32 v[25:26], v2 offset1:32
	ds_load_b128 v[17:20], v8
	ds_load_2addr_b32 v[27:28], v2 offset0:64 offset1:96
	ds_load_b128 v[21:24], v8 offset:16
	ds_load_2addr_b32 v[29:30], v2 offset0:128 offset1:160
	s_mul_u64 s[16:17], s[28:29], s[2:3]
	s_wait_alu 0xfffe
	s_lshl_b64 s[16:17], s[16:17], 2
	s_wait_dscnt 0x3
	v_fma_f32 v31, v25, v17, 0
	s_delay_alu instid0(VALU_DEP_1) | instskip(SKIP_3) | instid1(VALU_DEP_1)
	v_fmac_f32_e32 v31, v26, v18
	ds_load_2addr_b32 v[25:26], v2 offset0:192 offset1:224
	s_wait_dscnt 0x3
	v_fmac_f32_e32 v31, v27, v19
	v_fmac_f32_e32 v31, v28, v20
	ds_load_b128 v[17:20], v8 offset:32
	ds_load_2addr_b32 v[27:28], v13 offset1:32
	s_wait_dscnt 0x3
	v_fmac_f32_e32 v31, v29, v21
	s_delay_alu instid0(VALU_DEP_1) | instskip(SKIP_3) | instid1(VALU_DEP_1)
	v_fmac_f32_e32 v31, v30, v22
	ds_load_2addr_b32 v[29:30], v13 offset0:64 offset1:96
	s_wait_dscnt 0x3
	v_fmac_f32_e32 v31, v25, v23
	v_fmac_f32_e32 v31, v26, v24
	ds_load_b128 v[21:24], v8 offset:48
	ds_load_2addr_b32 v[25:26], v13 offset0:128 offset1:160
	s_wait_dscnt 0x3
	v_fmac_f32_e32 v31, v27, v17
	s_delay_alu instid0(VALU_DEP_1) | instskip(SKIP_3) | instid1(VALU_DEP_1)
	v_fmac_f32_e32 v31, v28, v18
	ds_load_2addr_b32 v[27:28], v13 offset0:192 offset1:224
	s_wait_dscnt 0x3
	v_fmac_f32_e32 v31, v29, v19
	v_fmac_f32_e32 v31, v30, v20
	ds_load_2addr_b32 v[29:30], v14 offset1:32
	ds_load_b128 v[17:20], v8 offset:64
	s_wait_dscnt 0x3
	v_fmac_f32_e32 v31, v25, v21
	s_delay_alu instid0(VALU_DEP_1) | instskip(SKIP_3) | instid1(VALU_DEP_1)
	v_fmac_f32_e32 v31, v26, v22
	ds_load_2addr_b32 v[25:26], v14 offset0:64 offset1:96
	s_wait_dscnt 0x3
	v_fmac_f32_e32 v31, v27, v23
	v_fmac_f32_e32 v31, v28, v24
	ds_load_2addr_b32 v[27:28], v14 offset0:128 offset1:160
	ds_load_b128 v[21:24], v8 offset:80
	s_wait_dscnt 0x3
	v_fmac_f32_e32 v31, v29, v17
	s_delay_alu instid0(VALU_DEP_1) | instskip(SKIP_3) | instid1(VALU_DEP_1)
	v_fmac_f32_e32 v31, v30, v18
	ds_load_2addr_b32 v[29:30], v14 offset0:192 offset1:224
	s_wait_dscnt 0x3
	v_fmac_f32_e32 v31, v25, v19
	v_fmac_f32_e32 v31, v26, v20
	ds_load_2addr_b32 v[25:26], v15 offset1:32
	ds_load_b128 v[17:20], v8 offset:96
	s_wait_dscnt 0x3
	v_fmac_f32_e32 v31, v27, v21
	s_delay_alu instid0(VALU_DEP_1) | instskip(SKIP_3) | instid1(VALU_DEP_1)
	v_fmac_f32_e32 v31, v28, v22
	ds_load_2addr_b32 v[27:28], v15 offset0:64 offset1:96
	s_wait_dscnt 0x3
	v_fmac_f32_e32 v31, v29, v23
	v_fmac_f32_e32 v31, v30, v24
	ds_load_2addr_b32 v[29:30], v15 offset0:128 offset1:160
	ds_load_b128 v[21:24], v8 offset:112
	s_wait_dscnt 0x3
	v_fmac_f32_e32 v31, v25, v17
	s_delay_alu instid0(VALU_DEP_1) | instskip(SKIP_3) | instid1(VALU_DEP_1)
	v_fmac_f32_e32 v31, v26, v18
	ds_load_2addr_b32 v[17:18], v15 offset0:192 offset1:224
	s_wait_dscnt 0x3
	v_fmac_f32_e32 v31, v27, v19
	v_fmac_f32_e32 v31, v28, v20
	s_wait_dscnt 0x1
	s_delay_alu instid0(VALU_DEP_1) | instskip(NEXT) | instid1(VALU_DEP_1)
	v_fmac_f32_e32 v31, v29, v21
	v_fmac_f32_e32 v31, v30, v22
	s_wait_dscnt 0x0
	s_delay_alu instid0(VALU_DEP_1) | instskip(NEXT) | instid1(VALU_DEP_1)
	v_fmac_f32_e32 v31, v17, v23
	v_fmac_f32_e32 v31, v18, v24
	s_delay_alu instid0(VALU_DEP_1)
	v_mul_f32_e32 v18, v16, v31
	s_wait_alu 0xfffe
	v_add_co_u32 v16, vcc_lo, v9, s16
	s_wait_alu 0xfffd
	v_add_co_ci_u32_e64 v17, null, s17, v10, vcc_lo
	global_store_b32 v[16:17], v18, off
	s_branch .LBB26_2
.LBB26_19:
	s_endpgm
	.section	.rodata,"a",@progbits
	.p2align	6, 0x0
	.amdhsa_kernel _ZL23rocblas_trmm_lTx_kernelILi32ELb0EfPKfS0_fEv13rocblas_fill_17rocblas_diagonal_iiT2_lPT3_llS6_llPT4_lli
		.amdhsa_group_segment_fixed_size 8192
		.amdhsa_private_segment_fixed_size 0
		.amdhsa_kernarg_size 108
		.amdhsa_user_sgpr_count 2
		.amdhsa_user_sgpr_dispatch_ptr 0
		.amdhsa_user_sgpr_queue_ptr 0
		.amdhsa_user_sgpr_kernarg_segment_ptr 1
		.amdhsa_user_sgpr_dispatch_id 0
		.amdhsa_user_sgpr_private_segment_size 0
		.amdhsa_wavefront_size32 1
		.amdhsa_uses_dynamic_stack 0
		.amdhsa_enable_private_segment 0
		.amdhsa_system_sgpr_workgroup_id_x 1
		.amdhsa_system_sgpr_workgroup_id_y 0
		.amdhsa_system_sgpr_workgroup_id_z 1
		.amdhsa_system_sgpr_workgroup_info 0
		.amdhsa_system_vgpr_workitem_id 1
		.amdhsa_next_free_vgpr 32
		.amdhsa_next_free_sgpr 31
		.amdhsa_reserve_vcc 1
		.amdhsa_float_round_mode_32 0
		.amdhsa_float_round_mode_16_64 0
		.amdhsa_float_denorm_mode_32 3
		.amdhsa_float_denorm_mode_16_64 3
		.amdhsa_fp16_overflow 0
		.amdhsa_workgroup_processor_mode 1
		.amdhsa_memory_ordered 1
		.amdhsa_forward_progress 1
		.amdhsa_inst_pref_size 12
		.amdhsa_round_robin_scheduling 0
		.amdhsa_exception_fp_ieee_invalid_op 0
		.amdhsa_exception_fp_denorm_src 0
		.amdhsa_exception_fp_ieee_div_zero 0
		.amdhsa_exception_fp_ieee_overflow 0
		.amdhsa_exception_fp_ieee_underflow 0
		.amdhsa_exception_fp_ieee_inexact 0
		.amdhsa_exception_int_div_zero 0
	.end_amdhsa_kernel
	.section	.text._ZL23rocblas_trmm_lTx_kernelILi32ELb0EfPKfS0_fEv13rocblas_fill_17rocblas_diagonal_iiT2_lPT3_llS6_llPT4_lli,"axG",@progbits,_ZL23rocblas_trmm_lTx_kernelILi32ELb0EfPKfS0_fEv13rocblas_fill_17rocblas_diagonal_iiT2_lPT3_llS6_llPT4_lli,comdat
.Lfunc_end26:
	.size	_ZL23rocblas_trmm_lTx_kernelILi32ELb0EfPKfS0_fEv13rocblas_fill_17rocblas_diagonal_iiT2_lPT3_llS6_llPT4_lli, .Lfunc_end26-_ZL23rocblas_trmm_lTx_kernelILi32ELb0EfPKfS0_fEv13rocblas_fill_17rocblas_diagonal_iiT2_lPT3_llS6_llPT4_lli
                                        ; -- End function
	.set _ZL23rocblas_trmm_lTx_kernelILi32ELb0EfPKfS0_fEv13rocblas_fill_17rocblas_diagonal_iiT2_lPT3_llS6_llPT4_lli.num_vgpr, 32
	.set _ZL23rocblas_trmm_lTx_kernelILi32ELb0EfPKfS0_fEv13rocblas_fill_17rocblas_diagonal_iiT2_lPT3_llS6_llPT4_lli.num_agpr, 0
	.set _ZL23rocblas_trmm_lTx_kernelILi32ELb0EfPKfS0_fEv13rocblas_fill_17rocblas_diagonal_iiT2_lPT3_llS6_llPT4_lli.numbered_sgpr, 31
	.set _ZL23rocblas_trmm_lTx_kernelILi32ELb0EfPKfS0_fEv13rocblas_fill_17rocblas_diagonal_iiT2_lPT3_llS6_llPT4_lli.num_named_barrier, 0
	.set _ZL23rocblas_trmm_lTx_kernelILi32ELb0EfPKfS0_fEv13rocblas_fill_17rocblas_diagonal_iiT2_lPT3_llS6_llPT4_lli.private_seg_size, 0
	.set _ZL23rocblas_trmm_lTx_kernelILi32ELb0EfPKfS0_fEv13rocblas_fill_17rocblas_diagonal_iiT2_lPT3_llS6_llPT4_lli.uses_vcc, 1
	.set _ZL23rocblas_trmm_lTx_kernelILi32ELb0EfPKfS0_fEv13rocblas_fill_17rocblas_diagonal_iiT2_lPT3_llS6_llPT4_lli.uses_flat_scratch, 0
	.set _ZL23rocblas_trmm_lTx_kernelILi32ELb0EfPKfS0_fEv13rocblas_fill_17rocblas_diagonal_iiT2_lPT3_llS6_llPT4_lli.has_dyn_sized_stack, 0
	.set _ZL23rocblas_trmm_lTx_kernelILi32ELb0EfPKfS0_fEv13rocblas_fill_17rocblas_diagonal_iiT2_lPT3_llS6_llPT4_lli.has_recursion, 0
	.set _ZL23rocblas_trmm_lTx_kernelILi32ELb0EfPKfS0_fEv13rocblas_fill_17rocblas_diagonal_iiT2_lPT3_llS6_llPT4_lli.has_indirect_call, 0
	.section	.AMDGPU.csdata,"",@progbits
; Kernel info:
; codeLenInByte = 1448
; TotalNumSgprs: 33
; NumVgprs: 32
; ScratchSize: 0
; MemoryBound: 0
; FloatMode: 240
; IeeeMode: 1
; LDSByteSize: 8192 bytes/workgroup (compile time only)
; SGPRBlocks: 0
; VGPRBlocks: 3
; NumSGPRsForWavesPerEU: 33
; NumVGPRsForWavesPerEU: 32
; Occupancy: 16
; WaveLimiterHint : 0
; COMPUTE_PGM_RSRC2:SCRATCH_EN: 0
; COMPUTE_PGM_RSRC2:USER_SGPR: 2
; COMPUTE_PGM_RSRC2:TRAP_HANDLER: 0
; COMPUTE_PGM_RSRC2:TGID_X_EN: 1
; COMPUTE_PGM_RSRC2:TGID_Y_EN: 0
; COMPUTE_PGM_RSRC2:TGID_Z_EN: 1
; COMPUTE_PGM_RSRC2:TIDIG_COMP_CNT: 1
	.section	.text._ZL23rocblas_trmm_lTx_kernelILi32ELb0EffKffEv13rocblas_fill_17rocblas_diagonal_iiT2_lPT3_llS5_llPT4_lli,"axG",@progbits,_ZL23rocblas_trmm_lTx_kernelILi32ELb0EffKffEv13rocblas_fill_17rocblas_diagonal_iiT2_lPT3_llS5_llPT4_lli,comdat
	.globl	_ZL23rocblas_trmm_lTx_kernelILi32ELb0EffKffEv13rocblas_fill_17rocblas_diagonal_iiT2_lPT3_llS5_llPT4_lli ; -- Begin function _ZL23rocblas_trmm_lTx_kernelILi32ELb0EffKffEv13rocblas_fill_17rocblas_diagonal_iiT2_lPT3_llS5_llPT4_lli
	.p2align	8
	.type	_ZL23rocblas_trmm_lTx_kernelILi32ELb0EffKffEv13rocblas_fill_17rocblas_diagonal_iiT2_lPT3_llS5_llPT4_lli,@function
_ZL23rocblas_trmm_lTx_kernelILi32ELb0EffKffEv13rocblas_fill_17rocblas_diagonal_iiT2_lPT3_llS5_llPT4_lli: ; @_ZL23rocblas_trmm_lTx_kernelILi32ELb0EffKffEv13rocblas_fill_17rocblas_diagonal_iiT2_lPT3_llS5_llPT4_lli
; %bb.0:
	s_load_b32 s26, s[0:1], 0x68
	s_lshr_b32 s2, ttmp7, 16
	s_wait_kmcnt 0x0
	s_cmp_ge_u32 s2, s26
	s_cbranch_scc1 .LBB27_19
; %bb.1:
	s_clause 0x3
	s_load_b32 s27, s[0:1], 0x10
	s_load_b512 s[4:19], s[0:1], 0x20
	s_load_b128 s[20:23], s[0:1], 0x0
	s_load_b64 s[24:25], s[0:1], 0x60
	v_bfe_u32 v13, v0, 10, 10
	v_dual_mov_b32 v1, 0 :: v_dual_and_b32 v14, 0x3ff, v0
	s_delay_alu instid0(VALU_DEP_2)
	v_lshlrev_b32_e32 v15, 2, v13
	s_wait_kmcnt 0x0
	s_cmp_neq_f32 s27, 0
	v_mad_co_u64_u32 v[4:5], null, s6, v13, 0
	v_mad_co_u64_u32 v[6:7], null, s12, v13, 0
	;; [unrolled: 1-line block ×3, first 2 shown]
	s_cselect_b32 s6, -1, 0
	s_add_co_i32 s1, s23, -1
	v_cmp_gt_i32_e32 vcc_lo, s22, v13
	s_ashr_i32 s3, s1, 31
	v_mad_co_u64_u32 v[10:11], null, s7, v13, v[5:6]
	s_lshr_b32 s3, s3, 27
	v_mad_co_u64_u32 v[11:12], null, s13, v13, v[7:8]
	v_lshlrev_b32_e32 v0, 5, v13
	s_add_co_i32 s1, s1, s3
	v_cmp_gt_i32_e64 s0, s22, v14
	v_mov_b32_e32 v5, v10
	s_and_b32 s3, s1, 0xffffffe0
	s_ashr_i32 s1, s1, 5
	s_sub_co_i32 s3, s23, s3
	s_cmp_ge_i32 ttmp9, s1
	v_lshlrev_b64_e32 v[4:5], 2, v[4:5]
	v_dual_mov_b32 v7, v11 :: v_dual_lshlrev_b32 v2, 2, v14
	s_cselect_b32 s1, s3, 32
	s_lshl_b32 s22, ttmp9, 5
	s_and_b32 s7, vcc_lo, s0
	s_wait_alu 0xfffe
	s_ashr_i32 s23, s22, 31
	v_add_co_u32 v4, vcc_lo, s4, v4
	v_mad_co_u64_u32 v[9:10], null, s19, v13, v[9:10]
	s_wait_alu 0xfffe
	s_mul_u64 s[12:13], s[12:13], s[22:23]
	v_lshlrev_b64_e32 v[6:7], 2, v[6:7]
	v_add_co_ci_u32_e64 v5, null, s5, v5, vcc_lo
	v_cmp_gt_i32_e32 vcc_lo, s1, v13
	s_wait_alu 0xfffe
	s_lshl_b64 s[12:13], s[12:13], 2
	s_mul_u64 s[22:23], s[18:19], s[22:23]
	s_wait_alu 0xfffe
	s_add_nc_u64 s[10:11], s[10:11], s[12:13]
	v_lshlrev_b64_e32 v[8:9], 2, v[8:9]
	s_and_b32 s4, s0, vcc_lo
	v_add_co_u32 v6, vcc_lo, s10, v6
	s_lshl_b64 s[22:23], s[22:23], 2
	s_wait_alu 0xfffd
	v_add_co_ci_u32_e64 v7, null, s11, v7, vcc_lo
	v_cmp_eq_u32_e32 vcc_lo, v13, v14
	v_add_co_u32 v4, s1, v4, v2
	s_cmp_eq_u32 s21, 0x84
	s_wait_alu 0xfffe
	s_add_nc_u64 s[12:13], s[16:17], s[22:23]
	v_add_co_ci_u32_e64 v5, null, 0, v5, s1
	s_cselect_b32 s1, -1, 0
	v_add_lshl_u32 v0, v0, v14, 2
	s_wait_alu 0xfffe
	s_and_b32 s5, vcc_lo, s1
	v_add_co_u32 v10, vcc_lo, s12, v8
	v_lshlrev_b32_e32 v11, 7, v14
	s_wait_alu 0xfffd
	v_add_co_ci_u32_e64 v12, null, s13, v9, vcc_lo
	v_add_co_u32 v6, s0, v6, v2
	v_add_co_u32 v9, vcc_lo, v10, v2
	v_add_nc_u32_e32 v3, 0x1000, v0
	s_wait_alu 0xf1ff
	v_add_co_ci_u32_e64 v7, null, 0, v7, s0
	v_cmp_lt_u32_e64 s0, v14, v13
	v_cmp_gt_u32_e64 s1, v14, v13
	v_lshl_add_u32 v8, v13, 7, 0x1000
	s_wait_alu 0xfffd
	v_add_co_ci_u32_e64 v10, null, 0, v12, vcc_lo
	v_dual_mov_b32 v12, 1.0 :: v_dual_add_nc_u32 v11, v15, v11
	v_add_nc_u32_e32 v13, 0x400, v2
	v_add_nc_u32_e32 v14, 0x800, v2
	;; [unrolled: 1-line block ×3, first 2 shown]
	s_cmp_lg_u32 s20, 0x7a
	s_mov_b32 s3, 0
	s_cselect_b32 s10, -1, 0
	s_branch .LBB27_4
.LBB27_2:                               ;   in Loop: Header=BB27_4 Depth=1
	s_wait_alu 0xfffe
	s_or_b32 exec_lo, exec_lo, s11
.LBB27_3:                               ;   in Loop: Header=BB27_4 Depth=1
	s_add_co_i32 s2, s2, 0x10000
	s_delay_alu instid0(SALU_CYCLE_1)
	s_cmp_lt_u32 s2, s26
	s_cbranch_scc0 .LBB27_19
.LBB27_4:                               ; =>This Inner Loop Header: Depth=1
	s_and_not1_b32 vcc_lo, exec_lo, s6
	s_wait_alu 0xfffe
	s_cbranch_vccnz .LBB27_3
; %bb.5:                                ;   in Loop: Header=BB27_4 Depth=1
	ds_store_b32 v0, v1
	ds_store_b32 v3, v1
	s_wait_dscnt 0x0
	s_barrier_signal -1
	s_barrier_wait -1
	global_inv scope:SCOPE_SE
	s_and_saveexec_b32 s11, s7
	s_cbranch_execnz .LBB27_11
; %bb.6:                                ;   in Loop: Header=BB27_4 Depth=1
	s_wait_alu 0xfffe
	s_or_b32 exec_lo, exec_lo, s11
	s_and_saveexec_b32 s11, s4
	s_cbranch_execnz .LBB27_12
.LBB27_7:                               ;   in Loop: Header=BB27_4 Depth=1
	s_wait_alu 0xfffe
	s_or_b32 exec_lo, exec_lo, s11
	s_and_saveexec_b32 s11, s5
.LBB27_8:                               ;   in Loop: Header=BB27_4 Depth=1
	ds_store_b32 v0, v12
.LBB27_9:                               ;   in Loop: Header=BB27_4 Depth=1
	s_wait_alu 0xfffe
	s_or_b32 exec_lo, exec_lo, s11
	s_delay_alu instid0(SALU_CYCLE_1)
	s_and_b32 vcc_lo, exec_lo, s10
	s_wait_loadcnt_dscnt 0x0
	s_barrier_signal -1
	s_barrier_wait -1
	global_inv scope:SCOPE_SE
	s_wait_alu 0xfffe
	s_cbranch_vccz .LBB27_13
; %bb.10:                               ;   in Loop: Header=BB27_4 Depth=1
	s_and_b32 s11, s0, exec_lo
	s_cbranch_execz .LBB27_14
	s_branch .LBB27_15
.LBB27_11:                              ;   in Loop: Header=BB27_4 Depth=1
	s_mul_u64 s[12:13], s[8:9], s[2:3]
	s_wait_alu 0xfffe
	s_lshl_b64 s[12:13], s[12:13], 2
	s_wait_alu 0xfffe
	v_add_co_u32 v16, vcc_lo, v4, s12
	s_wait_alu 0xfffd
	v_add_co_ci_u32_e64 v17, null, s13, v5, vcc_lo
	global_load_b32 v16, v[16:17], off
	s_wait_loadcnt 0x0
	ds_store_b32 v11, v16
	s_or_b32 exec_lo, exec_lo, s11
	s_and_saveexec_b32 s11, s4
	s_cbranch_execz .LBB27_7
.LBB27_12:                              ;   in Loop: Header=BB27_4 Depth=1
	s_mul_u64 s[12:13], s[14:15], s[2:3]
	s_wait_alu 0xfffe
	s_lshl_b64 s[12:13], s[12:13], 2
	s_wait_alu 0xfffe
	v_add_co_u32 v16, vcc_lo, v6, s12
	s_wait_alu 0xfffd
	v_add_co_ci_u32_e64 v17, null, s13, v7, vcc_lo
	global_load_b32 v16, v[16:17], off
	s_wait_loadcnt 0x0
	ds_store_b32 v3, v16
	s_or_b32 exec_lo, exec_lo, s11
	s_and_saveexec_b32 s11, s5
	s_cbranch_execnz .LBB27_8
	s_branch .LBB27_9
.LBB27_13:                              ;   in Loop: Header=BB27_4 Depth=1
	s_mov_b32 s11, 0
.LBB27_14:                              ;   in Loop: Header=BB27_4 Depth=1
	s_wait_alu 0xfffe
	s_and_not1_b32 s11, s11, exec_lo
	s_and_b32 s12, s1, exec_lo
	s_wait_alu 0xfffe
	s_or_b32 s11, s11, s12
.LBB27_15:                              ;   in Loop: Header=BB27_4 Depth=1
	s_wait_alu 0xfffe
	s_and_saveexec_b32 s12, s11
; %bb.16:                               ;   in Loop: Header=BB27_4 Depth=1
	ds_store_b32 v0, v1
; %bb.17:                               ;   in Loop: Header=BB27_4 Depth=1
	s_wait_alu 0xfffe
	s_or_b32 exec_lo, exec_lo, s12
	s_wait_loadcnt_dscnt 0x0
	s_barrier_signal -1
	s_barrier_wait -1
	global_inv scope:SCOPE_SE
	s_and_saveexec_b32 s11, s4
	s_cbranch_execz .LBB27_2
; %bb.18:                               ;   in Loop: Header=BB27_4 Depth=1
	ds_load_2addr_b32 v[24:25], v2 offset1:32
	ds_load_b128 v[16:19], v8
	ds_load_2addr_b32 v[26:27], v2 offset0:64 offset1:96
	ds_load_b128 v[20:23], v8 offset:16
	ds_load_2addr_b32 v[28:29], v2 offset0:128 offset1:160
	s_mul_u64 s[12:13], s[24:25], s[2:3]
	s_wait_alu 0xfffe
	s_lshl_b64 s[12:13], s[12:13], 2
	s_wait_dscnt 0x3
	v_fma_f32 v30, v24, v16, 0
	s_delay_alu instid0(VALU_DEP_1) | instskip(SKIP_3) | instid1(VALU_DEP_1)
	v_fmac_f32_e32 v30, v25, v17
	ds_load_2addr_b32 v[24:25], v2 offset0:192 offset1:224
	s_wait_dscnt 0x3
	v_fmac_f32_e32 v30, v26, v18
	v_fmac_f32_e32 v30, v27, v19
	ds_load_b128 v[16:19], v8 offset:32
	ds_load_2addr_b32 v[26:27], v13 offset1:32
	s_wait_dscnt 0x3
	v_fmac_f32_e32 v30, v28, v20
	s_delay_alu instid0(VALU_DEP_1) | instskip(SKIP_3) | instid1(VALU_DEP_1)
	v_fmac_f32_e32 v30, v29, v21
	ds_load_2addr_b32 v[28:29], v13 offset0:64 offset1:96
	s_wait_dscnt 0x3
	v_fmac_f32_e32 v30, v24, v22
	v_fmac_f32_e32 v30, v25, v23
	ds_load_b128 v[20:23], v8 offset:48
	ds_load_2addr_b32 v[24:25], v13 offset0:128 offset1:160
	s_wait_dscnt 0x3
	v_fmac_f32_e32 v30, v26, v16
	s_delay_alu instid0(VALU_DEP_1) | instskip(SKIP_3) | instid1(VALU_DEP_1)
	v_fmac_f32_e32 v30, v27, v17
	ds_load_2addr_b32 v[26:27], v13 offset0:192 offset1:224
	s_wait_dscnt 0x3
	v_fmac_f32_e32 v30, v28, v18
	v_fmac_f32_e32 v30, v29, v19
	ds_load_2addr_b32 v[28:29], v14 offset1:32
	ds_load_b128 v[16:19], v8 offset:64
	s_wait_dscnt 0x3
	v_fmac_f32_e32 v30, v24, v20
	s_delay_alu instid0(VALU_DEP_1) | instskip(SKIP_3) | instid1(VALU_DEP_1)
	v_fmac_f32_e32 v30, v25, v21
	ds_load_2addr_b32 v[24:25], v14 offset0:64 offset1:96
	s_wait_dscnt 0x3
	v_fmac_f32_e32 v30, v26, v22
	v_fmac_f32_e32 v30, v27, v23
	ds_load_2addr_b32 v[26:27], v14 offset0:128 offset1:160
	ds_load_b128 v[20:23], v8 offset:80
	s_wait_dscnt 0x3
	v_fmac_f32_e32 v30, v28, v16
	s_delay_alu instid0(VALU_DEP_1) | instskip(SKIP_3) | instid1(VALU_DEP_1)
	v_fmac_f32_e32 v30, v29, v17
	ds_load_2addr_b32 v[28:29], v14 offset0:192 offset1:224
	s_wait_dscnt 0x3
	v_fmac_f32_e32 v30, v24, v18
	v_fmac_f32_e32 v30, v25, v19
	ds_load_2addr_b32 v[24:25], v15 offset1:32
	ds_load_b128 v[16:19], v8 offset:96
	s_wait_dscnt 0x3
	v_fmac_f32_e32 v30, v26, v20
	s_delay_alu instid0(VALU_DEP_1) | instskip(SKIP_3) | instid1(VALU_DEP_1)
	v_fmac_f32_e32 v30, v27, v21
	ds_load_2addr_b32 v[26:27], v15 offset0:64 offset1:96
	s_wait_dscnt 0x3
	v_fmac_f32_e32 v30, v28, v22
	v_fmac_f32_e32 v30, v29, v23
	ds_load_2addr_b32 v[28:29], v15 offset0:128 offset1:160
	ds_load_b128 v[20:23], v8 offset:112
	s_wait_dscnt 0x3
	v_fmac_f32_e32 v30, v24, v16
	s_delay_alu instid0(VALU_DEP_1) | instskip(SKIP_3) | instid1(VALU_DEP_1)
	v_fmac_f32_e32 v30, v25, v17
	ds_load_2addr_b32 v[16:17], v15 offset0:192 offset1:224
	s_wait_dscnt 0x3
	v_fmac_f32_e32 v30, v26, v18
	v_fmac_f32_e32 v30, v27, v19
	s_wait_dscnt 0x1
	s_delay_alu instid0(VALU_DEP_1) | instskip(NEXT) | instid1(VALU_DEP_1)
	v_fmac_f32_e32 v30, v28, v20
	v_fmac_f32_e32 v30, v29, v21
	s_wait_dscnt 0x0
	s_delay_alu instid0(VALU_DEP_1) | instskip(SKIP_2) | instid1(VALU_DEP_2)
	v_fmac_f32_e32 v30, v16, v22
	s_wait_alu 0xfffe
	v_add_co_u32 v16, vcc_lo, v9, s12
	v_fmac_f32_e32 v30, v17, v23
	s_wait_alu 0xfffd
	v_add_co_ci_u32_e64 v17, null, s13, v10, vcc_lo
	s_delay_alu instid0(VALU_DEP_2)
	v_mul_f32_e32 v18, s27, v30
	global_store_b32 v[16:17], v18, off
	s_branch .LBB27_2
.LBB27_19:
	s_endpgm
	.section	.rodata,"a",@progbits
	.p2align	6, 0x0
	.amdhsa_kernel _ZL23rocblas_trmm_lTx_kernelILi32ELb0EffKffEv13rocblas_fill_17rocblas_diagonal_iiT2_lPT3_llS5_llPT4_lli
		.amdhsa_group_segment_fixed_size 8192
		.amdhsa_private_segment_fixed_size 0
		.amdhsa_kernarg_size 108
		.amdhsa_user_sgpr_count 2
		.amdhsa_user_sgpr_dispatch_ptr 0
		.amdhsa_user_sgpr_queue_ptr 0
		.amdhsa_user_sgpr_kernarg_segment_ptr 1
		.amdhsa_user_sgpr_dispatch_id 0
		.amdhsa_user_sgpr_private_segment_size 0
		.amdhsa_wavefront_size32 1
		.amdhsa_uses_dynamic_stack 0
		.amdhsa_enable_private_segment 0
		.amdhsa_system_sgpr_workgroup_id_x 1
		.amdhsa_system_sgpr_workgroup_id_y 0
		.amdhsa_system_sgpr_workgroup_id_z 1
		.amdhsa_system_sgpr_workgroup_info 0
		.amdhsa_system_vgpr_workitem_id 1
		.amdhsa_next_free_vgpr 31
		.amdhsa_next_free_sgpr 28
		.amdhsa_reserve_vcc 1
		.amdhsa_float_round_mode_32 0
		.amdhsa_float_round_mode_16_64 0
		.amdhsa_float_denorm_mode_32 3
		.amdhsa_float_denorm_mode_16_64 3
		.amdhsa_fp16_overflow 0
		.amdhsa_workgroup_processor_mode 1
		.amdhsa_memory_ordered 1
		.amdhsa_forward_progress 1
		.amdhsa_inst_pref_size 12
		.amdhsa_round_robin_scheduling 0
		.amdhsa_exception_fp_ieee_invalid_op 0
		.amdhsa_exception_fp_denorm_src 0
		.amdhsa_exception_fp_ieee_div_zero 0
		.amdhsa_exception_fp_ieee_overflow 0
		.amdhsa_exception_fp_ieee_underflow 0
		.amdhsa_exception_fp_ieee_inexact 0
		.amdhsa_exception_int_div_zero 0
	.end_amdhsa_kernel
	.section	.text._ZL23rocblas_trmm_lTx_kernelILi32ELb0EffKffEv13rocblas_fill_17rocblas_diagonal_iiT2_lPT3_llS5_llPT4_lli,"axG",@progbits,_ZL23rocblas_trmm_lTx_kernelILi32ELb0EffKffEv13rocblas_fill_17rocblas_diagonal_iiT2_lPT3_llS5_llPT4_lli,comdat
.Lfunc_end27:
	.size	_ZL23rocblas_trmm_lTx_kernelILi32ELb0EffKffEv13rocblas_fill_17rocblas_diagonal_iiT2_lPT3_llS5_llPT4_lli, .Lfunc_end27-_ZL23rocblas_trmm_lTx_kernelILi32ELb0EffKffEv13rocblas_fill_17rocblas_diagonal_iiT2_lPT3_llS5_llPT4_lli
                                        ; -- End function
	.set _ZL23rocblas_trmm_lTx_kernelILi32ELb0EffKffEv13rocblas_fill_17rocblas_diagonal_iiT2_lPT3_llS5_llPT4_lli.num_vgpr, 31
	.set _ZL23rocblas_trmm_lTx_kernelILi32ELb0EffKffEv13rocblas_fill_17rocblas_diagonal_iiT2_lPT3_llS5_llPT4_lli.num_agpr, 0
	.set _ZL23rocblas_trmm_lTx_kernelILi32ELb0EffKffEv13rocblas_fill_17rocblas_diagonal_iiT2_lPT3_llS5_llPT4_lli.numbered_sgpr, 28
	.set _ZL23rocblas_trmm_lTx_kernelILi32ELb0EffKffEv13rocblas_fill_17rocblas_diagonal_iiT2_lPT3_llS5_llPT4_lli.num_named_barrier, 0
	.set _ZL23rocblas_trmm_lTx_kernelILi32ELb0EffKffEv13rocblas_fill_17rocblas_diagonal_iiT2_lPT3_llS5_llPT4_lli.private_seg_size, 0
	.set _ZL23rocblas_trmm_lTx_kernelILi32ELb0EffKffEv13rocblas_fill_17rocblas_diagonal_iiT2_lPT3_llS5_llPT4_lli.uses_vcc, 1
	.set _ZL23rocblas_trmm_lTx_kernelILi32ELb0EffKffEv13rocblas_fill_17rocblas_diagonal_iiT2_lPT3_llS5_llPT4_lli.uses_flat_scratch, 0
	.set _ZL23rocblas_trmm_lTx_kernelILi32ELb0EffKffEv13rocblas_fill_17rocblas_diagonal_iiT2_lPT3_llS5_llPT4_lli.has_dyn_sized_stack, 0
	.set _ZL23rocblas_trmm_lTx_kernelILi32ELb0EffKffEv13rocblas_fill_17rocblas_diagonal_iiT2_lPT3_llS5_llPT4_lli.has_recursion, 0
	.set _ZL23rocblas_trmm_lTx_kernelILi32ELb0EffKffEv13rocblas_fill_17rocblas_diagonal_iiT2_lPT3_llS5_llPT4_lli.has_indirect_call, 0
	.section	.AMDGPU.csdata,"",@progbits
; Kernel info:
; codeLenInByte = 1428
; TotalNumSgprs: 30
; NumVgprs: 31
; ScratchSize: 0
; MemoryBound: 0
; FloatMode: 240
; IeeeMode: 1
; LDSByteSize: 8192 bytes/workgroup (compile time only)
; SGPRBlocks: 0
; VGPRBlocks: 3
; NumSGPRsForWavesPerEU: 30
; NumVGPRsForWavesPerEU: 31
; Occupancy: 16
; WaveLimiterHint : 0
; COMPUTE_PGM_RSRC2:SCRATCH_EN: 0
; COMPUTE_PGM_RSRC2:USER_SGPR: 2
; COMPUTE_PGM_RSRC2:TRAP_HANDLER: 0
; COMPUTE_PGM_RSRC2:TGID_X_EN: 1
; COMPUTE_PGM_RSRC2:TGID_Y_EN: 0
; COMPUTE_PGM_RSRC2:TGID_Z_EN: 1
; COMPUTE_PGM_RSRC2:TIDIG_COMP_CNT: 1
	.section	.text._ZL23rocblas_trmm_lTx_kernelILi32ELb1EfPKfS0_fEv13rocblas_fill_17rocblas_diagonal_iiT2_lPT3_llS6_llPT4_lli,"axG",@progbits,_ZL23rocblas_trmm_lTx_kernelILi32ELb1EfPKfS0_fEv13rocblas_fill_17rocblas_diagonal_iiT2_lPT3_llS6_llPT4_lli,comdat
	.globl	_ZL23rocblas_trmm_lTx_kernelILi32ELb1EfPKfS0_fEv13rocblas_fill_17rocblas_diagonal_iiT2_lPT3_llS6_llPT4_lli ; -- Begin function _ZL23rocblas_trmm_lTx_kernelILi32ELb1EfPKfS0_fEv13rocblas_fill_17rocblas_diagonal_iiT2_lPT3_llS6_llPT4_lli
	.p2align	8
	.type	_ZL23rocblas_trmm_lTx_kernelILi32ELb1EfPKfS0_fEv13rocblas_fill_17rocblas_diagonal_iiT2_lPT3_llS6_llPT4_lli,@function
_ZL23rocblas_trmm_lTx_kernelILi32ELb1EfPKfS0_fEv13rocblas_fill_17rocblas_diagonal_iiT2_lPT3_llS6_llPT4_lli: ; @_ZL23rocblas_trmm_lTx_kernelILi32ELb1EfPKfS0_fEv13rocblas_fill_17rocblas_diagonal_iiT2_lPT3_llS6_llPT4_lli
; %bb.0:
	s_load_b32 s30, s[0:1], 0x68
	s_lshr_b32 s2, ttmp7, 16
	s_wait_kmcnt 0x0
	s_cmp_ge_u32 s2, s30
	s_cbranch_scc1 .LBB28_19
; %bb.1:
	s_clause 0x3
	s_load_b128 s[20:23], s[0:1], 0x0
	s_load_b512 s[4:19], s[0:1], 0x10
	s_load_b128 s[24:27], s[0:1], 0x50
	s_load_b64 s[28:29], s[0:1], 0x60
	v_bfe_u32 v13, v0, 10, 10
	v_dual_mov_b32 v1, 0 :: v_dual_and_b32 v14, 0x3ff, v0
	s_delay_alu instid0(VALU_DEP_2)
	v_lshlrev_b32_e32 v15, 2, v13
	s_wait_kmcnt 0x0
	s_add_co_i32 s1, s23, -1
	v_mad_co_u64_u32 v[4:5], null, s10, v13, 0
	v_mad_co_u64_u32 v[6:7], null, s16, v13, 0
	;; [unrolled: 1-line block ×3, first 2 shown]
	s_ashr_i32 s0, s1, 31
	v_cmp_gt_i32_e32 vcc_lo, s22, v13
	s_lshr_b32 s3, s0, 27
	v_cmp_gt_i32_e64 s0, s22, v14
	v_mad_co_u64_u32 v[10:11], null, s11, v13, v[5:6]
	v_mad_co_u64_u32 v[11:12], null, s17, v13, v[7:8]
	s_add_co_i32 s1, s1, s3
	v_lshlrev_b32_e32 v0, 5, v13
	s_ashr_i32 s3, s1, 5
	s_and_not1_b32 s1, s1, 31
	v_lshlrev_b32_e32 v2, 2, v14
	s_sub_co_i32 s1, s23, s1
	s_cmp_ge_i32 ttmp9, s3
	v_mov_b32_e32 v5, v10
	v_mov_b32_e32 v7, v11
	s_cselect_b32 s1, s1, 32
	s_lshl_b32 s22, ttmp9, 5
	s_and_b32 s10, vcc_lo, s0
	s_wait_alu 0xfffe
	s_ashr_i32 s23, s22, 31
	v_lshlrev_b64_e32 v[4:5], 2, v[4:5]
	s_wait_alu 0xfffe
	s_mul_u64 s[16:17], s[16:17], s[22:23]
	v_lshlrev_b64_e32 v[6:7], 2, v[6:7]
	v_cmp_gt_i32_e32 vcc_lo, s1, v13
	v_mad_co_u64_u32 v[9:10], null, s27, v13, v[9:10]
	s_wait_alu 0xfffe
	s_lshl_b64 s[16:17], s[16:17], 2
	v_add_co_u32 v4, s1, s8, v4
	s_wait_alu 0xfffe
	s_add_nc_u64 s[14:15], s[14:15], s[16:17]
	s_and_b32 s8, s0, vcc_lo
	v_add_co_u32 v6, vcc_lo, s14, v6
	s_mul_u64 s[22:23], s[26:27], s[22:23]
	v_add_co_ci_u32_e64 v7, null, s15, v7, vcc_lo
	v_lshlrev_b64_e32 v[8:9], 2, v[8:9]
	s_wait_alu 0xfffe
	s_lshl_b64 s[22:23], s[22:23], 2
	v_cmp_eq_u32_e32 vcc_lo, v13, v14
	s_cmp_eq_u32 s21, 0x84
	v_add_co_u32 v6, s0, v6, v2
	s_wait_alu 0xfffe
	s_add_nc_u64 s[16:17], s[24:25], s[22:23]
	v_add_co_ci_u32_e64 v7, null, 0, v7, s0
	s_cselect_b32 s0, -1, 0
	v_add_co_ci_u32_e64 v5, null, s9, v5, s1
	s_wait_alu 0xfffe
	s_and_b32 s9, vcc_lo, s0
	v_add_co_u32 v10, vcc_lo, s16, v8
	v_add_lshl_u32 v0, v0, v14, 2
	v_lshlrev_b32_e32 v11, 7, v14
	s_wait_alu 0xfffd
	v_add_co_ci_u32_e64 v12, null, s17, v9, vcc_lo
	v_add_co_u32 v4, s1, v4, v2
	v_add_co_u32 v9, vcc_lo, v10, v2
	v_add_nc_u32_e32 v3, 0x1000, v0
	s_wait_alu 0xf1ff
	v_add_co_ci_u32_e64 v5, null, 0, v5, s1
	v_cmp_lt_u32_e64 s0, v14, v13
	v_cmp_gt_u32_e64 s1, v14, v13
	v_lshl_add_u32 v8, v13, 7, 0x1000
	s_wait_alu 0xfffd
	v_add_co_ci_u32_e64 v10, null, 0, v12, vcc_lo
	v_dual_mov_b32 v12, 1.0 :: v_dual_add_nc_u32 v11, v15, v11
	v_add_nc_u32_e32 v13, 0x400, v2
	v_add_nc_u32_e32 v14, 0x800, v2
	;; [unrolled: 1-line block ×3, first 2 shown]
	s_cmp_lg_u32 s20, 0x7a
	s_mov_b32 s3, 0
	s_cselect_b32 s11, -1, 0
	s_branch .LBB28_4
.LBB28_2:                               ;   in Loop: Header=BB28_4 Depth=1
	s_wait_alu 0xfffe
	s_or_b32 exec_lo, exec_lo, s14
.LBB28_3:                               ;   in Loop: Header=BB28_4 Depth=1
	s_add_co_i32 s2, s2, 0x10000
	s_delay_alu instid0(SALU_CYCLE_1)
	s_cmp_lt_u32 s2, s30
	s_cbranch_scc0 .LBB28_19
.LBB28_4:                               ; =>This Inner Loop Header: Depth=1
	s_mul_u64 s[14:15], s[6:7], s[2:3]
	s_wait_alu 0xfffe
	s_lshl_b64 s[14:15], s[14:15], 2
	s_wait_alu 0xfffe
	s_add_nc_u64 s[14:15], s[4:5], s[14:15]
	global_load_b32 v16, v1, s[14:15]
	s_wait_loadcnt 0x0
	v_cmp_eq_f32_e32 vcc_lo, 0, v16
	s_cbranch_vccnz .LBB28_3
; %bb.5:                                ;   in Loop: Header=BB28_4 Depth=1
	ds_store_b32 v0, v1
	ds_store_b32 v3, v1
	s_wait_dscnt 0x0
	s_barrier_signal -1
	s_barrier_wait -1
	global_inv scope:SCOPE_SE
	s_and_saveexec_b32 s14, s10
	s_cbranch_execnz .LBB28_11
; %bb.6:                                ;   in Loop: Header=BB28_4 Depth=1
	s_wait_alu 0xfffe
	s_or_b32 exec_lo, exec_lo, s14
	s_and_saveexec_b32 s14, s8
	s_cbranch_execnz .LBB28_12
.LBB28_7:                               ;   in Loop: Header=BB28_4 Depth=1
	s_wait_alu 0xfffe
	s_or_b32 exec_lo, exec_lo, s14
	s_and_saveexec_b32 s14, s9
.LBB28_8:                               ;   in Loop: Header=BB28_4 Depth=1
	ds_store_b32 v0, v12
.LBB28_9:                               ;   in Loop: Header=BB28_4 Depth=1
	s_wait_alu 0xfffe
	s_or_b32 exec_lo, exec_lo, s14
	s_delay_alu instid0(SALU_CYCLE_1)
	s_and_b32 vcc_lo, exec_lo, s11
	s_wait_loadcnt_dscnt 0x0
	s_barrier_signal -1
	s_barrier_wait -1
	global_inv scope:SCOPE_SE
	s_wait_alu 0xfffe
	s_cbranch_vccz .LBB28_13
; %bb.10:                               ;   in Loop: Header=BB28_4 Depth=1
	s_and_b32 s14, s0, exec_lo
	s_cbranch_execz .LBB28_14
	s_branch .LBB28_15
.LBB28_11:                              ;   in Loop: Header=BB28_4 Depth=1
	s_mul_u64 s[16:17], s[12:13], s[2:3]
	s_wait_alu 0xfffe
	s_lshl_b64 s[16:17], s[16:17], 2
	s_wait_alu 0xfffe
	v_add_co_u32 v17, vcc_lo, v4, s16
	s_wait_alu 0xfffd
	v_add_co_ci_u32_e64 v18, null, s17, v5, vcc_lo
	global_load_b32 v17, v[17:18], off
	s_wait_loadcnt 0x0
	ds_store_b32 v11, v17
	s_or_b32 exec_lo, exec_lo, s14
	s_and_saveexec_b32 s14, s8
	s_cbranch_execz .LBB28_7
.LBB28_12:                              ;   in Loop: Header=BB28_4 Depth=1
	s_mul_u64 s[16:17], s[18:19], s[2:3]
	s_wait_alu 0xfffe
	s_lshl_b64 s[16:17], s[16:17], 2
	s_wait_alu 0xfffe
	v_add_co_u32 v17, vcc_lo, v6, s16
	s_wait_alu 0xfffd
	v_add_co_ci_u32_e64 v18, null, s17, v7, vcc_lo
	global_load_b32 v17, v[17:18], off
	s_wait_loadcnt 0x0
	ds_store_b32 v3, v17
	s_or_b32 exec_lo, exec_lo, s14
	s_and_saveexec_b32 s14, s9
	s_cbranch_execnz .LBB28_8
	s_branch .LBB28_9
.LBB28_13:                              ;   in Loop: Header=BB28_4 Depth=1
	s_mov_b32 s14, 0
.LBB28_14:                              ;   in Loop: Header=BB28_4 Depth=1
	s_wait_alu 0xfffe
	s_and_not1_b32 s14, s14, exec_lo
	s_and_b32 s15, s1, exec_lo
	s_wait_alu 0xfffe
	s_or_b32 s14, s14, s15
.LBB28_15:                              ;   in Loop: Header=BB28_4 Depth=1
	s_wait_alu 0xfffe
	s_and_saveexec_b32 s15, s14
; %bb.16:                               ;   in Loop: Header=BB28_4 Depth=1
	ds_store_b32 v0, v1
; %bb.17:                               ;   in Loop: Header=BB28_4 Depth=1
	s_wait_alu 0xfffe
	s_or_b32 exec_lo, exec_lo, s15
	s_wait_loadcnt_dscnt 0x0
	s_barrier_signal -1
	s_barrier_wait -1
	global_inv scope:SCOPE_SE
	s_and_saveexec_b32 s14, s8
	s_cbranch_execz .LBB28_2
; %bb.18:                               ;   in Loop: Header=BB28_4 Depth=1
	ds_load_2addr_b32 v[25:26], v2 offset1:32
	ds_load_b128 v[17:20], v8
	ds_load_2addr_b32 v[27:28], v2 offset0:64 offset1:96
	ds_load_b128 v[21:24], v8 offset:16
	ds_load_2addr_b32 v[29:30], v2 offset0:128 offset1:160
	s_mul_u64 s[16:17], s[28:29], s[2:3]
	s_wait_alu 0xfffe
	s_lshl_b64 s[16:17], s[16:17], 2
	s_wait_dscnt 0x3
	v_fma_f32 v31, v25, v17, 0
	s_delay_alu instid0(VALU_DEP_1) | instskip(SKIP_3) | instid1(VALU_DEP_1)
	v_fmac_f32_e32 v31, v26, v18
	ds_load_2addr_b32 v[25:26], v2 offset0:192 offset1:224
	s_wait_dscnt 0x3
	v_fmac_f32_e32 v31, v27, v19
	v_fmac_f32_e32 v31, v28, v20
	ds_load_b128 v[17:20], v8 offset:32
	ds_load_2addr_b32 v[27:28], v13 offset1:32
	s_wait_dscnt 0x3
	v_fmac_f32_e32 v31, v29, v21
	s_delay_alu instid0(VALU_DEP_1) | instskip(SKIP_3) | instid1(VALU_DEP_1)
	v_fmac_f32_e32 v31, v30, v22
	ds_load_2addr_b32 v[29:30], v13 offset0:64 offset1:96
	s_wait_dscnt 0x3
	v_fmac_f32_e32 v31, v25, v23
	v_fmac_f32_e32 v31, v26, v24
	ds_load_b128 v[21:24], v8 offset:48
	ds_load_2addr_b32 v[25:26], v13 offset0:128 offset1:160
	s_wait_dscnt 0x3
	v_fmac_f32_e32 v31, v27, v17
	s_delay_alu instid0(VALU_DEP_1) | instskip(SKIP_3) | instid1(VALU_DEP_1)
	v_fmac_f32_e32 v31, v28, v18
	ds_load_2addr_b32 v[27:28], v13 offset0:192 offset1:224
	s_wait_dscnt 0x3
	v_fmac_f32_e32 v31, v29, v19
	v_fmac_f32_e32 v31, v30, v20
	ds_load_2addr_b32 v[29:30], v14 offset1:32
	ds_load_b128 v[17:20], v8 offset:64
	s_wait_dscnt 0x3
	v_fmac_f32_e32 v31, v25, v21
	s_delay_alu instid0(VALU_DEP_1) | instskip(SKIP_3) | instid1(VALU_DEP_1)
	v_fmac_f32_e32 v31, v26, v22
	ds_load_2addr_b32 v[25:26], v14 offset0:64 offset1:96
	s_wait_dscnt 0x3
	v_fmac_f32_e32 v31, v27, v23
	v_fmac_f32_e32 v31, v28, v24
	ds_load_2addr_b32 v[27:28], v14 offset0:128 offset1:160
	ds_load_b128 v[21:24], v8 offset:80
	s_wait_dscnt 0x3
	v_fmac_f32_e32 v31, v29, v17
	s_delay_alu instid0(VALU_DEP_1) | instskip(SKIP_3) | instid1(VALU_DEP_1)
	v_fmac_f32_e32 v31, v30, v18
	ds_load_2addr_b32 v[29:30], v14 offset0:192 offset1:224
	s_wait_dscnt 0x3
	v_fmac_f32_e32 v31, v25, v19
	v_fmac_f32_e32 v31, v26, v20
	ds_load_2addr_b32 v[25:26], v15 offset1:32
	ds_load_b128 v[17:20], v8 offset:96
	s_wait_dscnt 0x3
	v_fmac_f32_e32 v31, v27, v21
	s_delay_alu instid0(VALU_DEP_1) | instskip(SKIP_3) | instid1(VALU_DEP_1)
	v_fmac_f32_e32 v31, v28, v22
	ds_load_2addr_b32 v[27:28], v15 offset0:64 offset1:96
	s_wait_dscnt 0x3
	v_fmac_f32_e32 v31, v29, v23
	v_fmac_f32_e32 v31, v30, v24
	ds_load_2addr_b32 v[29:30], v15 offset0:128 offset1:160
	ds_load_b128 v[21:24], v8 offset:112
	s_wait_dscnt 0x3
	v_fmac_f32_e32 v31, v25, v17
	s_delay_alu instid0(VALU_DEP_1) | instskip(SKIP_3) | instid1(VALU_DEP_1)
	v_fmac_f32_e32 v31, v26, v18
	ds_load_2addr_b32 v[17:18], v15 offset0:192 offset1:224
	s_wait_dscnt 0x3
	v_fmac_f32_e32 v31, v27, v19
	v_fmac_f32_e32 v31, v28, v20
	s_wait_dscnt 0x1
	s_delay_alu instid0(VALU_DEP_1) | instskip(NEXT) | instid1(VALU_DEP_1)
	v_fmac_f32_e32 v31, v29, v21
	v_fmac_f32_e32 v31, v30, v22
	s_wait_dscnt 0x0
	s_delay_alu instid0(VALU_DEP_1) | instskip(NEXT) | instid1(VALU_DEP_1)
	v_fmac_f32_e32 v31, v17, v23
	v_fmac_f32_e32 v31, v18, v24
	s_delay_alu instid0(VALU_DEP_1)
	v_mul_f32_e32 v18, v16, v31
	s_wait_alu 0xfffe
	v_add_co_u32 v16, vcc_lo, v9, s16
	s_wait_alu 0xfffd
	v_add_co_ci_u32_e64 v17, null, s17, v10, vcc_lo
	global_store_b32 v[16:17], v18, off
	s_branch .LBB28_2
.LBB28_19:
	s_endpgm
	.section	.rodata,"a",@progbits
	.p2align	6, 0x0
	.amdhsa_kernel _ZL23rocblas_trmm_lTx_kernelILi32ELb1EfPKfS0_fEv13rocblas_fill_17rocblas_diagonal_iiT2_lPT3_llS6_llPT4_lli
		.amdhsa_group_segment_fixed_size 8192
		.amdhsa_private_segment_fixed_size 0
		.amdhsa_kernarg_size 108
		.amdhsa_user_sgpr_count 2
		.amdhsa_user_sgpr_dispatch_ptr 0
		.amdhsa_user_sgpr_queue_ptr 0
		.amdhsa_user_sgpr_kernarg_segment_ptr 1
		.amdhsa_user_sgpr_dispatch_id 0
		.amdhsa_user_sgpr_private_segment_size 0
		.amdhsa_wavefront_size32 1
		.amdhsa_uses_dynamic_stack 0
		.amdhsa_enable_private_segment 0
		.amdhsa_system_sgpr_workgroup_id_x 1
		.amdhsa_system_sgpr_workgroup_id_y 0
		.amdhsa_system_sgpr_workgroup_id_z 1
		.amdhsa_system_sgpr_workgroup_info 0
		.amdhsa_system_vgpr_workitem_id 1
		.amdhsa_next_free_vgpr 32
		.amdhsa_next_free_sgpr 31
		.amdhsa_reserve_vcc 1
		.amdhsa_float_round_mode_32 0
		.amdhsa_float_round_mode_16_64 0
		.amdhsa_float_denorm_mode_32 3
		.amdhsa_float_denorm_mode_16_64 3
		.amdhsa_fp16_overflow 0
		.amdhsa_workgroup_processor_mode 1
		.amdhsa_memory_ordered 1
		.amdhsa_forward_progress 1
		.amdhsa_inst_pref_size 12
		.amdhsa_round_robin_scheduling 0
		.amdhsa_exception_fp_ieee_invalid_op 0
		.amdhsa_exception_fp_denorm_src 0
		.amdhsa_exception_fp_ieee_div_zero 0
		.amdhsa_exception_fp_ieee_overflow 0
		.amdhsa_exception_fp_ieee_underflow 0
		.amdhsa_exception_fp_ieee_inexact 0
		.amdhsa_exception_int_div_zero 0
	.end_amdhsa_kernel
	.section	.text._ZL23rocblas_trmm_lTx_kernelILi32ELb1EfPKfS0_fEv13rocblas_fill_17rocblas_diagonal_iiT2_lPT3_llS6_llPT4_lli,"axG",@progbits,_ZL23rocblas_trmm_lTx_kernelILi32ELb1EfPKfS0_fEv13rocblas_fill_17rocblas_diagonal_iiT2_lPT3_llS6_llPT4_lli,comdat
.Lfunc_end28:
	.size	_ZL23rocblas_trmm_lTx_kernelILi32ELb1EfPKfS0_fEv13rocblas_fill_17rocblas_diagonal_iiT2_lPT3_llS6_llPT4_lli, .Lfunc_end28-_ZL23rocblas_trmm_lTx_kernelILi32ELb1EfPKfS0_fEv13rocblas_fill_17rocblas_diagonal_iiT2_lPT3_llS6_llPT4_lli
                                        ; -- End function
	.set _ZL23rocblas_trmm_lTx_kernelILi32ELb1EfPKfS0_fEv13rocblas_fill_17rocblas_diagonal_iiT2_lPT3_llS6_llPT4_lli.num_vgpr, 32
	.set _ZL23rocblas_trmm_lTx_kernelILi32ELb1EfPKfS0_fEv13rocblas_fill_17rocblas_diagonal_iiT2_lPT3_llS6_llPT4_lli.num_agpr, 0
	.set _ZL23rocblas_trmm_lTx_kernelILi32ELb1EfPKfS0_fEv13rocblas_fill_17rocblas_diagonal_iiT2_lPT3_llS6_llPT4_lli.numbered_sgpr, 31
	.set _ZL23rocblas_trmm_lTx_kernelILi32ELb1EfPKfS0_fEv13rocblas_fill_17rocblas_diagonal_iiT2_lPT3_llS6_llPT4_lli.num_named_barrier, 0
	.set _ZL23rocblas_trmm_lTx_kernelILi32ELb1EfPKfS0_fEv13rocblas_fill_17rocblas_diagonal_iiT2_lPT3_llS6_llPT4_lli.private_seg_size, 0
	.set _ZL23rocblas_trmm_lTx_kernelILi32ELb1EfPKfS0_fEv13rocblas_fill_17rocblas_diagonal_iiT2_lPT3_llS6_llPT4_lli.uses_vcc, 1
	.set _ZL23rocblas_trmm_lTx_kernelILi32ELb1EfPKfS0_fEv13rocblas_fill_17rocblas_diagonal_iiT2_lPT3_llS6_llPT4_lli.uses_flat_scratch, 0
	.set _ZL23rocblas_trmm_lTx_kernelILi32ELb1EfPKfS0_fEv13rocblas_fill_17rocblas_diagonal_iiT2_lPT3_llS6_llPT4_lli.has_dyn_sized_stack, 0
	.set _ZL23rocblas_trmm_lTx_kernelILi32ELb1EfPKfS0_fEv13rocblas_fill_17rocblas_diagonal_iiT2_lPT3_llS6_llPT4_lli.has_recursion, 0
	.set _ZL23rocblas_trmm_lTx_kernelILi32ELb1EfPKfS0_fEv13rocblas_fill_17rocblas_diagonal_iiT2_lPT3_llS6_llPT4_lli.has_indirect_call, 0
	.section	.AMDGPU.csdata,"",@progbits
; Kernel info:
; codeLenInByte = 1448
; TotalNumSgprs: 33
; NumVgprs: 32
; ScratchSize: 0
; MemoryBound: 0
; FloatMode: 240
; IeeeMode: 1
; LDSByteSize: 8192 bytes/workgroup (compile time only)
; SGPRBlocks: 0
; VGPRBlocks: 3
; NumSGPRsForWavesPerEU: 33
; NumVGPRsForWavesPerEU: 32
; Occupancy: 16
; WaveLimiterHint : 0
; COMPUTE_PGM_RSRC2:SCRATCH_EN: 0
; COMPUTE_PGM_RSRC2:USER_SGPR: 2
; COMPUTE_PGM_RSRC2:TRAP_HANDLER: 0
; COMPUTE_PGM_RSRC2:TGID_X_EN: 1
; COMPUTE_PGM_RSRC2:TGID_Y_EN: 0
; COMPUTE_PGM_RSRC2:TGID_Z_EN: 1
; COMPUTE_PGM_RSRC2:TIDIG_COMP_CNT: 1
	.section	.text._ZL23rocblas_trmm_lTx_kernelILi32ELb1EffKffEv13rocblas_fill_17rocblas_diagonal_iiT2_lPT3_llS5_llPT4_lli,"axG",@progbits,_ZL23rocblas_trmm_lTx_kernelILi32ELb1EffKffEv13rocblas_fill_17rocblas_diagonal_iiT2_lPT3_llS5_llPT4_lli,comdat
	.globl	_ZL23rocblas_trmm_lTx_kernelILi32ELb1EffKffEv13rocblas_fill_17rocblas_diagonal_iiT2_lPT3_llS5_llPT4_lli ; -- Begin function _ZL23rocblas_trmm_lTx_kernelILi32ELb1EffKffEv13rocblas_fill_17rocblas_diagonal_iiT2_lPT3_llS5_llPT4_lli
	.p2align	8
	.type	_ZL23rocblas_trmm_lTx_kernelILi32ELb1EffKffEv13rocblas_fill_17rocblas_diagonal_iiT2_lPT3_llS5_llPT4_lli,@function
_ZL23rocblas_trmm_lTx_kernelILi32ELb1EffKffEv13rocblas_fill_17rocblas_diagonal_iiT2_lPT3_llS5_llPT4_lli: ; @_ZL23rocblas_trmm_lTx_kernelILi32ELb1EffKffEv13rocblas_fill_17rocblas_diagonal_iiT2_lPT3_llS5_llPT4_lli
; %bb.0:
	s_load_b32 s26, s[0:1], 0x68
	s_lshr_b32 s2, ttmp7, 16
	s_wait_kmcnt 0x0
	s_cmp_ge_u32 s2, s26
	s_cbranch_scc1 .LBB29_19
; %bb.1:
	s_clause 0x3
	s_load_b32 s27, s[0:1], 0x10
	s_load_b512 s[4:19], s[0:1], 0x20
	s_load_b128 s[20:23], s[0:1], 0x0
	s_load_b64 s[24:25], s[0:1], 0x60
	v_bfe_u32 v13, v0, 10, 10
	v_dual_mov_b32 v1, 0 :: v_dual_and_b32 v14, 0x3ff, v0
	s_delay_alu instid0(VALU_DEP_2)
	v_lshlrev_b32_e32 v15, 2, v13
	s_wait_kmcnt 0x0
	s_cmp_neq_f32 s27, 0
	v_mad_co_u64_u32 v[4:5], null, s6, v13, 0
	v_mad_co_u64_u32 v[6:7], null, s12, v13, 0
	;; [unrolled: 1-line block ×3, first 2 shown]
	s_cselect_b32 s6, -1, 0
	s_add_co_i32 s1, s23, -1
	v_cmp_gt_i32_e32 vcc_lo, s22, v13
	s_ashr_i32 s3, s1, 31
	v_mad_co_u64_u32 v[10:11], null, s7, v13, v[5:6]
	s_lshr_b32 s3, s3, 27
	v_mad_co_u64_u32 v[11:12], null, s13, v13, v[7:8]
	v_lshlrev_b32_e32 v0, 5, v13
	s_add_co_i32 s1, s1, s3
	v_cmp_gt_i32_e64 s0, s22, v14
	v_mov_b32_e32 v5, v10
	s_and_b32 s3, s1, 0xffffffe0
	s_ashr_i32 s1, s1, 5
	s_sub_co_i32 s3, s23, s3
	s_cmp_ge_i32 ttmp9, s1
	v_lshlrev_b64_e32 v[4:5], 2, v[4:5]
	v_dual_mov_b32 v7, v11 :: v_dual_lshlrev_b32 v2, 2, v14
	s_cselect_b32 s1, s3, 32
	s_lshl_b32 s22, ttmp9, 5
	s_and_b32 s7, vcc_lo, s0
	s_wait_alu 0xfffe
	s_ashr_i32 s23, s22, 31
	v_add_co_u32 v4, vcc_lo, s4, v4
	v_mad_co_u64_u32 v[9:10], null, s19, v13, v[9:10]
	s_wait_alu 0xfffe
	s_mul_u64 s[12:13], s[12:13], s[22:23]
	v_lshlrev_b64_e32 v[6:7], 2, v[6:7]
	v_add_co_ci_u32_e64 v5, null, s5, v5, vcc_lo
	v_cmp_gt_i32_e32 vcc_lo, s1, v13
	s_wait_alu 0xfffe
	s_lshl_b64 s[12:13], s[12:13], 2
	s_mul_u64 s[22:23], s[18:19], s[22:23]
	s_wait_alu 0xfffe
	s_add_nc_u64 s[10:11], s[10:11], s[12:13]
	v_lshlrev_b64_e32 v[8:9], 2, v[8:9]
	s_and_b32 s4, s0, vcc_lo
	v_add_co_u32 v6, vcc_lo, s10, v6
	s_lshl_b64 s[22:23], s[22:23], 2
	s_wait_alu 0xfffd
	v_add_co_ci_u32_e64 v7, null, s11, v7, vcc_lo
	v_cmp_eq_u32_e32 vcc_lo, v13, v14
	v_add_co_u32 v4, s1, v4, v2
	s_cmp_eq_u32 s21, 0x84
	s_wait_alu 0xfffe
	s_add_nc_u64 s[12:13], s[16:17], s[22:23]
	v_add_co_ci_u32_e64 v5, null, 0, v5, s1
	s_cselect_b32 s1, -1, 0
	v_add_lshl_u32 v0, v0, v14, 2
	s_wait_alu 0xfffe
	s_and_b32 s5, vcc_lo, s1
	v_add_co_u32 v10, vcc_lo, s12, v8
	v_lshlrev_b32_e32 v11, 7, v14
	s_wait_alu 0xfffd
	v_add_co_ci_u32_e64 v12, null, s13, v9, vcc_lo
	v_add_co_u32 v6, s0, v6, v2
	v_add_co_u32 v9, vcc_lo, v10, v2
	v_add_nc_u32_e32 v3, 0x1000, v0
	s_wait_alu 0xf1ff
	v_add_co_ci_u32_e64 v7, null, 0, v7, s0
	v_cmp_lt_u32_e64 s0, v14, v13
	v_cmp_gt_u32_e64 s1, v14, v13
	v_lshl_add_u32 v8, v13, 7, 0x1000
	s_wait_alu 0xfffd
	v_add_co_ci_u32_e64 v10, null, 0, v12, vcc_lo
	v_dual_mov_b32 v12, 1.0 :: v_dual_add_nc_u32 v11, v15, v11
	v_add_nc_u32_e32 v13, 0x400, v2
	v_add_nc_u32_e32 v14, 0x800, v2
	;; [unrolled: 1-line block ×3, first 2 shown]
	s_cmp_lg_u32 s20, 0x7a
	s_mov_b32 s3, 0
	s_cselect_b32 s10, -1, 0
	s_branch .LBB29_4
.LBB29_2:                               ;   in Loop: Header=BB29_4 Depth=1
	s_wait_alu 0xfffe
	s_or_b32 exec_lo, exec_lo, s11
.LBB29_3:                               ;   in Loop: Header=BB29_4 Depth=1
	s_add_co_i32 s2, s2, 0x10000
	s_delay_alu instid0(SALU_CYCLE_1)
	s_cmp_lt_u32 s2, s26
	s_cbranch_scc0 .LBB29_19
.LBB29_4:                               ; =>This Inner Loop Header: Depth=1
	s_and_not1_b32 vcc_lo, exec_lo, s6
	s_wait_alu 0xfffe
	s_cbranch_vccnz .LBB29_3
; %bb.5:                                ;   in Loop: Header=BB29_4 Depth=1
	ds_store_b32 v0, v1
	ds_store_b32 v3, v1
	s_wait_dscnt 0x0
	s_barrier_signal -1
	s_barrier_wait -1
	global_inv scope:SCOPE_SE
	s_and_saveexec_b32 s11, s7
	s_cbranch_execnz .LBB29_11
; %bb.6:                                ;   in Loop: Header=BB29_4 Depth=1
	s_wait_alu 0xfffe
	s_or_b32 exec_lo, exec_lo, s11
	s_and_saveexec_b32 s11, s4
	s_cbranch_execnz .LBB29_12
.LBB29_7:                               ;   in Loop: Header=BB29_4 Depth=1
	s_wait_alu 0xfffe
	s_or_b32 exec_lo, exec_lo, s11
	s_and_saveexec_b32 s11, s5
.LBB29_8:                               ;   in Loop: Header=BB29_4 Depth=1
	ds_store_b32 v0, v12
.LBB29_9:                               ;   in Loop: Header=BB29_4 Depth=1
	s_wait_alu 0xfffe
	s_or_b32 exec_lo, exec_lo, s11
	s_delay_alu instid0(SALU_CYCLE_1)
	s_and_b32 vcc_lo, exec_lo, s10
	s_wait_loadcnt_dscnt 0x0
	s_barrier_signal -1
	s_barrier_wait -1
	global_inv scope:SCOPE_SE
	s_wait_alu 0xfffe
	s_cbranch_vccz .LBB29_13
; %bb.10:                               ;   in Loop: Header=BB29_4 Depth=1
	s_and_b32 s11, s0, exec_lo
	s_cbranch_execz .LBB29_14
	s_branch .LBB29_15
.LBB29_11:                              ;   in Loop: Header=BB29_4 Depth=1
	s_mul_u64 s[12:13], s[8:9], s[2:3]
	s_wait_alu 0xfffe
	s_lshl_b64 s[12:13], s[12:13], 2
	s_wait_alu 0xfffe
	v_add_co_u32 v16, vcc_lo, v4, s12
	s_wait_alu 0xfffd
	v_add_co_ci_u32_e64 v17, null, s13, v5, vcc_lo
	global_load_b32 v16, v[16:17], off
	s_wait_loadcnt 0x0
	ds_store_b32 v11, v16
	s_or_b32 exec_lo, exec_lo, s11
	s_and_saveexec_b32 s11, s4
	s_cbranch_execz .LBB29_7
.LBB29_12:                              ;   in Loop: Header=BB29_4 Depth=1
	s_mul_u64 s[12:13], s[14:15], s[2:3]
	s_wait_alu 0xfffe
	s_lshl_b64 s[12:13], s[12:13], 2
	s_wait_alu 0xfffe
	v_add_co_u32 v16, vcc_lo, v6, s12
	s_wait_alu 0xfffd
	v_add_co_ci_u32_e64 v17, null, s13, v7, vcc_lo
	global_load_b32 v16, v[16:17], off
	s_wait_loadcnt 0x0
	ds_store_b32 v3, v16
	s_or_b32 exec_lo, exec_lo, s11
	s_and_saveexec_b32 s11, s5
	s_cbranch_execnz .LBB29_8
	s_branch .LBB29_9
.LBB29_13:                              ;   in Loop: Header=BB29_4 Depth=1
	s_mov_b32 s11, 0
.LBB29_14:                              ;   in Loop: Header=BB29_4 Depth=1
	s_wait_alu 0xfffe
	s_and_not1_b32 s11, s11, exec_lo
	s_and_b32 s12, s1, exec_lo
	s_wait_alu 0xfffe
	s_or_b32 s11, s11, s12
.LBB29_15:                              ;   in Loop: Header=BB29_4 Depth=1
	s_wait_alu 0xfffe
	s_and_saveexec_b32 s12, s11
; %bb.16:                               ;   in Loop: Header=BB29_4 Depth=1
	ds_store_b32 v0, v1
; %bb.17:                               ;   in Loop: Header=BB29_4 Depth=1
	s_wait_alu 0xfffe
	s_or_b32 exec_lo, exec_lo, s12
	s_wait_loadcnt_dscnt 0x0
	s_barrier_signal -1
	s_barrier_wait -1
	global_inv scope:SCOPE_SE
	s_and_saveexec_b32 s11, s4
	s_cbranch_execz .LBB29_2
; %bb.18:                               ;   in Loop: Header=BB29_4 Depth=1
	ds_load_2addr_b32 v[24:25], v2 offset1:32
	ds_load_b128 v[16:19], v8
	ds_load_2addr_b32 v[26:27], v2 offset0:64 offset1:96
	ds_load_b128 v[20:23], v8 offset:16
	ds_load_2addr_b32 v[28:29], v2 offset0:128 offset1:160
	s_mul_u64 s[12:13], s[24:25], s[2:3]
	s_wait_alu 0xfffe
	s_lshl_b64 s[12:13], s[12:13], 2
	s_wait_dscnt 0x3
	v_fma_f32 v30, v24, v16, 0
	s_delay_alu instid0(VALU_DEP_1) | instskip(SKIP_3) | instid1(VALU_DEP_1)
	v_fmac_f32_e32 v30, v25, v17
	ds_load_2addr_b32 v[24:25], v2 offset0:192 offset1:224
	s_wait_dscnt 0x3
	v_fmac_f32_e32 v30, v26, v18
	v_fmac_f32_e32 v30, v27, v19
	ds_load_b128 v[16:19], v8 offset:32
	ds_load_2addr_b32 v[26:27], v13 offset1:32
	s_wait_dscnt 0x3
	v_fmac_f32_e32 v30, v28, v20
	s_delay_alu instid0(VALU_DEP_1) | instskip(SKIP_3) | instid1(VALU_DEP_1)
	v_fmac_f32_e32 v30, v29, v21
	ds_load_2addr_b32 v[28:29], v13 offset0:64 offset1:96
	s_wait_dscnt 0x3
	v_fmac_f32_e32 v30, v24, v22
	v_fmac_f32_e32 v30, v25, v23
	ds_load_b128 v[20:23], v8 offset:48
	ds_load_2addr_b32 v[24:25], v13 offset0:128 offset1:160
	s_wait_dscnt 0x3
	v_fmac_f32_e32 v30, v26, v16
	s_delay_alu instid0(VALU_DEP_1) | instskip(SKIP_3) | instid1(VALU_DEP_1)
	v_fmac_f32_e32 v30, v27, v17
	ds_load_2addr_b32 v[26:27], v13 offset0:192 offset1:224
	s_wait_dscnt 0x3
	v_fmac_f32_e32 v30, v28, v18
	v_fmac_f32_e32 v30, v29, v19
	ds_load_2addr_b32 v[28:29], v14 offset1:32
	ds_load_b128 v[16:19], v8 offset:64
	s_wait_dscnt 0x3
	v_fmac_f32_e32 v30, v24, v20
	s_delay_alu instid0(VALU_DEP_1) | instskip(SKIP_3) | instid1(VALU_DEP_1)
	v_fmac_f32_e32 v30, v25, v21
	ds_load_2addr_b32 v[24:25], v14 offset0:64 offset1:96
	s_wait_dscnt 0x3
	v_fmac_f32_e32 v30, v26, v22
	v_fmac_f32_e32 v30, v27, v23
	ds_load_2addr_b32 v[26:27], v14 offset0:128 offset1:160
	ds_load_b128 v[20:23], v8 offset:80
	s_wait_dscnt 0x3
	v_fmac_f32_e32 v30, v28, v16
	s_delay_alu instid0(VALU_DEP_1) | instskip(SKIP_3) | instid1(VALU_DEP_1)
	v_fmac_f32_e32 v30, v29, v17
	ds_load_2addr_b32 v[28:29], v14 offset0:192 offset1:224
	s_wait_dscnt 0x3
	v_fmac_f32_e32 v30, v24, v18
	v_fmac_f32_e32 v30, v25, v19
	ds_load_2addr_b32 v[24:25], v15 offset1:32
	ds_load_b128 v[16:19], v8 offset:96
	s_wait_dscnt 0x3
	v_fmac_f32_e32 v30, v26, v20
	s_delay_alu instid0(VALU_DEP_1) | instskip(SKIP_3) | instid1(VALU_DEP_1)
	v_fmac_f32_e32 v30, v27, v21
	ds_load_2addr_b32 v[26:27], v15 offset0:64 offset1:96
	s_wait_dscnt 0x3
	v_fmac_f32_e32 v30, v28, v22
	v_fmac_f32_e32 v30, v29, v23
	ds_load_2addr_b32 v[28:29], v15 offset0:128 offset1:160
	ds_load_b128 v[20:23], v8 offset:112
	s_wait_dscnt 0x3
	v_fmac_f32_e32 v30, v24, v16
	s_delay_alu instid0(VALU_DEP_1) | instskip(SKIP_3) | instid1(VALU_DEP_1)
	v_fmac_f32_e32 v30, v25, v17
	ds_load_2addr_b32 v[16:17], v15 offset0:192 offset1:224
	s_wait_dscnt 0x3
	v_fmac_f32_e32 v30, v26, v18
	v_fmac_f32_e32 v30, v27, v19
	s_wait_dscnt 0x1
	s_delay_alu instid0(VALU_DEP_1) | instskip(NEXT) | instid1(VALU_DEP_1)
	v_fmac_f32_e32 v30, v28, v20
	v_fmac_f32_e32 v30, v29, v21
	s_wait_dscnt 0x0
	s_delay_alu instid0(VALU_DEP_1) | instskip(SKIP_2) | instid1(VALU_DEP_2)
	v_fmac_f32_e32 v30, v16, v22
	s_wait_alu 0xfffe
	v_add_co_u32 v16, vcc_lo, v9, s12
	v_fmac_f32_e32 v30, v17, v23
	s_wait_alu 0xfffd
	v_add_co_ci_u32_e64 v17, null, s13, v10, vcc_lo
	s_delay_alu instid0(VALU_DEP_2)
	v_mul_f32_e32 v18, s27, v30
	global_store_b32 v[16:17], v18, off
	s_branch .LBB29_2
.LBB29_19:
	s_endpgm
	.section	.rodata,"a",@progbits
	.p2align	6, 0x0
	.amdhsa_kernel _ZL23rocblas_trmm_lTx_kernelILi32ELb1EffKffEv13rocblas_fill_17rocblas_diagonal_iiT2_lPT3_llS5_llPT4_lli
		.amdhsa_group_segment_fixed_size 8192
		.amdhsa_private_segment_fixed_size 0
		.amdhsa_kernarg_size 108
		.amdhsa_user_sgpr_count 2
		.amdhsa_user_sgpr_dispatch_ptr 0
		.amdhsa_user_sgpr_queue_ptr 0
		.amdhsa_user_sgpr_kernarg_segment_ptr 1
		.amdhsa_user_sgpr_dispatch_id 0
		.amdhsa_user_sgpr_private_segment_size 0
		.amdhsa_wavefront_size32 1
		.amdhsa_uses_dynamic_stack 0
		.amdhsa_enable_private_segment 0
		.amdhsa_system_sgpr_workgroup_id_x 1
		.amdhsa_system_sgpr_workgroup_id_y 0
		.amdhsa_system_sgpr_workgroup_id_z 1
		.amdhsa_system_sgpr_workgroup_info 0
		.amdhsa_system_vgpr_workitem_id 1
		.amdhsa_next_free_vgpr 31
		.amdhsa_next_free_sgpr 28
		.amdhsa_reserve_vcc 1
		.amdhsa_float_round_mode_32 0
		.amdhsa_float_round_mode_16_64 0
		.amdhsa_float_denorm_mode_32 3
		.amdhsa_float_denorm_mode_16_64 3
		.amdhsa_fp16_overflow 0
		.amdhsa_workgroup_processor_mode 1
		.amdhsa_memory_ordered 1
		.amdhsa_forward_progress 1
		.amdhsa_inst_pref_size 12
		.amdhsa_round_robin_scheduling 0
		.amdhsa_exception_fp_ieee_invalid_op 0
		.amdhsa_exception_fp_denorm_src 0
		.amdhsa_exception_fp_ieee_div_zero 0
		.amdhsa_exception_fp_ieee_overflow 0
		.amdhsa_exception_fp_ieee_underflow 0
		.amdhsa_exception_fp_ieee_inexact 0
		.amdhsa_exception_int_div_zero 0
	.end_amdhsa_kernel
	.section	.text._ZL23rocblas_trmm_lTx_kernelILi32ELb1EffKffEv13rocblas_fill_17rocblas_diagonal_iiT2_lPT3_llS5_llPT4_lli,"axG",@progbits,_ZL23rocblas_trmm_lTx_kernelILi32ELb1EffKffEv13rocblas_fill_17rocblas_diagonal_iiT2_lPT3_llS5_llPT4_lli,comdat
.Lfunc_end29:
	.size	_ZL23rocblas_trmm_lTx_kernelILi32ELb1EffKffEv13rocblas_fill_17rocblas_diagonal_iiT2_lPT3_llS5_llPT4_lli, .Lfunc_end29-_ZL23rocblas_trmm_lTx_kernelILi32ELb1EffKffEv13rocblas_fill_17rocblas_diagonal_iiT2_lPT3_llS5_llPT4_lli
                                        ; -- End function
	.set _ZL23rocblas_trmm_lTx_kernelILi32ELb1EffKffEv13rocblas_fill_17rocblas_diagonal_iiT2_lPT3_llS5_llPT4_lli.num_vgpr, 31
	.set _ZL23rocblas_trmm_lTx_kernelILi32ELb1EffKffEv13rocblas_fill_17rocblas_diagonal_iiT2_lPT3_llS5_llPT4_lli.num_agpr, 0
	.set _ZL23rocblas_trmm_lTx_kernelILi32ELb1EffKffEv13rocblas_fill_17rocblas_diagonal_iiT2_lPT3_llS5_llPT4_lli.numbered_sgpr, 28
	.set _ZL23rocblas_trmm_lTx_kernelILi32ELb1EffKffEv13rocblas_fill_17rocblas_diagonal_iiT2_lPT3_llS5_llPT4_lli.num_named_barrier, 0
	.set _ZL23rocblas_trmm_lTx_kernelILi32ELb1EffKffEv13rocblas_fill_17rocblas_diagonal_iiT2_lPT3_llS5_llPT4_lli.private_seg_size, 0
	.set _ZL23rocblas_trmm_lTx_kernelILi32ELb1EffKffEv13rocblas_fill_17rocblas_diagonal_iiT2_lPT3_llS5_llPT4_lli.uses_vcc, 1
	.set _ZL23rocblas_trmm_lTx_kernelILi32ELb1EffKffEv13rocblas_fill_17rocblas_diagonal_iiT2_lPT3_llS5_llPT4_lli.uses_flat_scratch, 0
	.set _ZL23rocblas_trmm_lTx_kernelILi32ELb1EffKffEv13rocblas_fill_17rocblas_diagonal_iiT2_lPT3_llS5_llPT4_lli.has_dyn_sized_stack, 0
	.set _ZL23rocblas_trmm_lTx_kernelILi32ELb1EffKffEv13rocblas_fill_17rocblas_diagonal_iiT2_lPT3_llS5_llPT4_lli.has_recursion, 0
	.set _ZL23rocblas_trmm_lTx_kernelILi32ELb1EffKffEv13rocblas_fill_17rocblas_diagonal_iiT2_lPT3_llS5_llPT4_lli.has_indirect_call, 0
	.section	.AMDGPU.csdata,"",@progbits
; Kernel info:
; codeLenInByte = 1428
; TotalNumSgprs: 30
; NumVgprs: 31
; ScratchSize: 0
; MemoryBound: 0
; FloatMode: 240
; IeeeMode: 1
; LDSByteSize: 8192 bytes/workgroup (compile time only)
; SGPRBlocks: 0
; VGPRBlocks: 3
; NumSGPRsForWavesPerEU: 30
; NumVGPRsForWavesPerEU: 31
; Occupancy: 16
; WaveLimiterHint : 0
; COMPUTE_PGM_RSRC2:SCRATCH_EN: 0
; COMPUTE_PGM_RSRC2:USER_SGPR: 2
; COMPUTE_PGM_RSRC2:TRAP_HANDLER: 0
; COMPUTE_PGM_RSRC2:TGID_X_EN: 1
; COMPUTE_PGM_RSRC2:TGID_Y_EN: 0
; COMPUTE_PGM_RSRC2:TGID_Z_EN: 1
; COMPUTE_PGM_RSRC2:TIDIG_COMP_CNT: 1
	.section	.text._ZL23rocblas_trmm_rNx_kernelILi32EfPKfS0_fEv13rocblas_fill_17rocblas_diagonal_iiT1_lPT2_llS6_llPT3_lli,"axG",@progbits,_ZL23rocblas_trmm_rNx_kernelILi32EfPKfS0_fEv13rocblas_fill_17rocblas_diagonal_iiT1_lPT2_llS6_llPT3_lli,comdat
	.globl	_ZL23rocblas_trmm_rNx_kernelILi32EfPKfS0_fEv13rocblas_fill_17rocblas_diagonal_iiT1_lPT2_llS6_llPT3_lli ; -- Begin function _ZL23rocblas_trmm_rNx_kernelILi32EfPKfS0_fEv13rocblas_fill_17rocblas_diagonal_iiT1_lPT2_llS6_llPT3_lli
	.p2align	8
	.type	_ZL23rocblas_trmm_rNx_kernelILi32EfPKfS0_fEv13rocblas_fill_17rocblas_diagonal_iiT1_lPT2_llS6_llPT3_lli,@function
_ZL23rocblas_trmm_rNx_kernelILi32EfPKfS0_fEv13rocblas_fill_17rocblas_diagonal_iiT1_lPT2_llS6_llPT3_lli: ; @_ZL23rocblas_trmm_rNx_kernelILi32EfPKfS0_fEv13rocblas_fill_17rocblas_diagonal_iiT1_lPT2_llS6_llPT3_lli
; %bb.0:
	s_load_b32 s30, s[0:1], 0x68
	s_lshr_b32 s2, ttmp7, 16
	s_wait_kmcnt 0x0
	s_cmp_ge_u32 s2, s30
	s_cbranch_scc1 .LBB30_19
; %bb.1:
	s_clause 0x3
	s_load_b128 s[20:23], s[0:1], 0x0
	s_load_b512 s[4:19], s[0:1], 0x10
	s_load_b128 s[24:27], s[0:1], 0x50
	s_load_b64 s[28:29], s[0:1], 0x60
	v_bfe_u32 v16, v0, 10, 10
	v_dual_mov_b32 v1, 0 :: v_dual_and_b32 v0, 0x3ff, v0
	s_delay_alu instid0(VALU_DEP_1)
	v_lshlrev_b64_e32 v[9:10], 2, v[0:1]
	s_wait_kmcnt 0x0
	s_add_co_i32 s0, s22, -1
	v_mad_co_u64_u32 v[4:5], null, s10, v16, 0
	v_mad_co_u64_u32 v[6:7], null, s16, v16, 0
	;; [unrolled: 1-line block ×3, first 2 shown]
	s_ashr_i32 s1, s0, 31
	v_cmp_gt_i32_e32 vcc_lo, s23, v16
	s_lshr_b32 s1, s1, 27
	s_delay_alu instid0(SALU_CYCLE_1)
	s_add_co_i32 s1, s0, s1
	v_cmp_gt_i32_e64 s0, s23, v0
	v_mov_b32_e32 v8, v12
	v_mad_co_u64_u32 v[12:13], null, s11, v16, v[5:6]
	s_ashr_i32 s3, s1, 5
	s_and_not1_b32 s1, s1, 31
	v_mad_co_u64_u32 v[13:14], null, s17, v16, v[7:8]
	v_lshlrev_b32_e32 v2, 5, v16
	s_sub_co_i32 s1, s22, s1
	v_mov_b32_e32 v5, v12
	s_cmp_ge_i32 ttmp9, s3
	s_mov_b32 s3, 0
	s_cselect_b32 s1, s1, 32
	s_and_b32 s10, vcc_lo, s0
	v_lshlrev_b64_e32 v[4:5], 2, v[4:5]
	v_cmp_gt_i32_e64 s0, s1, v0
	v_mov_b32_e32 v7, v13
	v_mad_co_u64_u32 v[14:15], null, s27, v16, v[8:9]
	v_add_lshl_u32 v2, v2, v0, 2
	s_lshl_b32 s16, ttmp9, 5
	s_and_b32 s11, vcc_lo, s0
	v_add_co_u32 v4, vcc_lo, s8, v4
	s_wait_alu 0xfffe
	s_ashr_i32 s17, s16, 31
	v_lshlrev_b64_e32 v[6:7], 2, v[6:7]
	v_add_co_ci_u32_e64 v5, null, s9, v5, vcc_lo
	v_dual_mov_b32 v12, v14 :: v_dual_add_nc_u32 v3, 0x1000, v2
	s_wait_alu 0xfffe
	s_lshl_b64 s[16:17], s[16:17], 2
	v_add_co_u32 v4, vcc_lo, v4, v9
	s_wait_alu 0xfffe
	s_add_nc_u64 s[14:15], s[14:15], s[16:17]
	s_wait_alu 0xfffd
	v_add_co_ci_u32_e64 v5, null, v5, v10, vcc_lo
	v_add_co_u32 v6, vcc_lo, s14, v6
	v_lshlrev_b64_e32 v[11:12], 2, v[11:12]
	s_wait_alu 0xfffd
	v_add_co_ci_u32_e64 v7, null, s15, v7, vcc_lo
	v_cmp_eq_u32_e32 vcc_lo, v16, v0
	s_cmp_eq_u32 s21, 0x84
	s_add_nc_u64 s[16:17], s[24:25], s[16:17]
	s_cselect_b32 s1, -1, 0
	v_add_co_u32 v6, s0, v6, v9
	s_wait_alu 0xfffe
	s_and_b32 s8, vcc_lo, s1
	v_add_co_u32 v11, vcc_lo, s16, v11
	v_add_co_ci_u32_e64 v7, null, v7, v10, s0
	v_cmp_lt_u32_e64 s0, v0, v16
	v_cmp_gt_u32_e64 s1, v0, v16
	v_lshl_add_u32 v0, v0, 2, 0x1000
	s_wait_alu 0xfffd
	v_add_co_ci_u32_e64 v12, null, s17, v12, vcc_lo
	v_add_co_u32 v9, vcc_lo, v11, v9
	v_dual_mov_b32 v11, 1.0 :: v_dual_lshlrev_b32 v8, 7, v16
	s_wait_alu 0xfffd
	s_delay_alu instid0(VALU_DEP_3)
	v_add_co_ci_u32_e64 v10, null, v12, v10, vcc_lo
	v_add_nc_u32_e32 v12, 0x400, v0
	v_add_nc_u32_e32 v13, 0x800, v0
	v_add_nc_u32_e32 v14, 0xc00, v0
	s_cmp_lg_u32 s20, 0x79
	s_cselect_b32 s9, -1, 0
	s_branch .LBB30_4
.LBB30_2:                               ;   in Loop: Header=BB30_4 Depth=1
	s_wait_alu 0xfffe
	s_or_b32 exec_lo, exec_lo, s14
.LBB30_3:                               ;   in Loop: Header=BB30_4 Depth=1
	s_add_co_i32 s2, s2, 0x10000
	s_delay_alu instid0(SALU_CYCLE_1)
	s_cmp_lt_u32 s2, s30
	s_cbranch_scc0 .LBB30_19
.LBB30_4:                               ; =>This Inner Loop Header: Depth=1
	s_mul_u64 s[14:15], s[6:7], s[2:3]
	s_wait_alu 0xfffe
	s_lshl_b64 s[14:15], s[14:15], 2
	s_wait_alu 0xfffe
	s_add_nc_u64 s[14:15], s[4:5], s[14:15]
	global_load_b32 v15, v1, s[14:15]
	s_wait_loadcnt 0x0
	v_cmp_eq_f32_e32 vcc_lo, 0, v15
	s_cbranch_vccnz .LBB30_3
; %bb.5:                                ;   in Loop: Header=BB30_4 Depth=1
	ds_store_b32 v2, v1
	ds_store_b32 v3, v1
	s_and_saveexec_b32 s14, s10
	s_cbranch_execnz .LBB30_10
; %bb.6:                                ;   in Loop: Header=BB30_4 Depth=1
	s_wait_alu 0xfffe
	s_or_b32 exec_lo, exec_lo, s14
	s_and_saveexec_b32 s14, s11
	s_cbranch_execnz .LBB30_11
.LBB30_7:                               ;   in Loop: Header=BB30_4 Depth=1
	s_wait_alu 0xfffe
	s_or_b32 exec_lo, exec_lo, s14
	s_and_saveexec_b32 s14, s8
	s_cbranch_execnz .LBB30_12
.LBB30_8:                               ;   in Loop: Header=BB30_4 Depth=1
	s_wait_alu 0xfffe
	s_or_b32 exec_lo, exec_lo, s14
	s_delay_alu instid0(SALU_CYCLE_1)
	s_and_b32 vcc_lo, exec_lo, s9
	s_wait_alu 0xfffe
	s_cbranch_vccz .LBB30_13
.LBB30_9:                               ;   in Loop: Header=BB30_4 Depth=1
	s_and_b32 s14, s0, exec_lo
	s_cbranch_execz .LBB30_14
	s_branch .LBB30_15
.LBB30_10:                              ;   in Loop: Header=BB30_4 Depth=1
	s_mul_u64 s[16:17], s[12:13], s[2:3]
	s_wait_alu 0xfffe
	s_lshl_b64 s[16:17], s[16:17], 2
	s_wait_alu 0xfffe
	v_add_co_u32 v16, vcc_lo, v4, s16
	s_wait_alu 0xfffd
	v_add_co_ci_u32_e64 v17, null, s17, v5, vcc_lo
	global_load_b32 v16, v[16:17], off
	s_wait_loadcnt 0x0
	ds_store_b32 v2, v16
	s_or_b32 exec_lo, exec_lo, s14
	s_and_saveexec_b32 s14, s11
	s_cbranch_execz .LBB30_7
.LBB30_11:                              ;   in Loop: Header=BB30_4 Depth=1
	s_mul_u64 s[16:17], s[18:19], s[2:3]
	s_wait_alu 0xfffe
	s_lshl_b64 s[16:17], s[16:17], 2
	s_wait_alu 0xfffe
	v_add_co_u32 v16, vcc_lo, v6, s16
	s_wait_alu 0xfffd
	v_add_co_ci_u32_e64 v17, null, s17, v7, vcc_lo
	global_load_b32 v16, v[16:17], off
	s_wait_loadcnt 0x0
	ds_store_b32 v3, v16
	s_or_b32 exec_lo, exec_lo, s14
	s_and_saveexec_b32 s14, s8
	s_cbranch_execz .LBB30_8
.LBB30_12:                              ;   in Loop: Header=BB30_4 Depth=1
	ds_store_b32 v2, v11
	s_wait_alu 0xfffe
	s_or_b32 exec_lo, exec_lo, s14
	s_delay_alu instid0(SALU_CYCLE_1)
	s_and_b32 vcc_lo, exec_lo, s9
	s_wait_alu 0xfffe
	s_cbranch_vccnz .LBB30_9
.LBB30_13:                              ;   in Loop: Header=BB30_4 Depth=1
	s_mov_b32 s14, 0
.LBB30_14:                              ;   in Loop: Header=BB30_4 Depth=1
	s_wait_alu 0xfffe
	s_and_not1_b32 s14, s14, exec_lo
	s_and_b32 s15, s1, exec_lo
	s_wait_alu 0xfffe
	s_or_b32 s14, s14, s15
.LBB30_15:                              ;   in Loop: Header=BB30_4 Depth=1
	s_wait_alu 0xfffe
	s_and_saveexec_b32 s15, s14
; %bb.16:                               ;   in Loop: Header=BB30_4 Depth=1
	ds_store_b32 v2, v1
; %bb.17:                               ;   in Loop: Header=BB30_4 Depth=1
	s_wait_alu 0xfffe
	s_or_b32 exec_lo, exec_lo, s15
	s_wait_dscnt 0x0
	s_barrier_signal -1
	s_barrier_wait -1
	global_inv scope:SCOPE_SE
	s_and_saveexec_b32 s14, s11
	s_cbranch_execz .LBB30_2
; %bb.18:                               ;   in Loop: Header=BB30_4 Depth=1
	ds_load_2addr_b32 v[24:25], v0 offset1:32
	ds_load_b128 v[16:19], v8
	ds_load_2addr_b32 v[26:27], v0 offset0:64 offset1:96
	ds_load_b128 v[20:23], v8 offset:16
	ds_load_2addr_b32 v[28:29], v0 offset0:128 offset1:160
	s_mul_u64 s[16:17], s[28:29], s[2:3]
	s_wait_alu 0xfffe
	s_lshl_b64 s[16:17], s[16:17], 2
	s_wait_dscnt 0x3
	v_fma_f32 v30, v24, v16, 0
	s_delay_alu instid0(VALU_DEP_1) | instskip(SKIP_3) | instid1(VALU_DEP_1)
	v_fmac_f32_e32 v30, v25, v17
	ds_load_2addr_b32 v[24:25], v0 offset0:192 offset1:224
	s_wait_dscnt 0x3
	v_fmac_f32_e32 v30, v26, v18
	v_fmac_f32_e32 v30, v27, v19
	ds_load_b128 v[16:19], v8 offset:32
	ds_load_2addr_b32 v[26:27], v12 offset1:32
	s_wait_dscnt 0x3
	v_fmac_f32_e32 v30, v28, v20
	s_delay_alu instid0(VALU_DEP_1) | instskip(SKIP_3) | instid1(VALU_DEP_1)
	v_fmac_f32_e32 v30, v29, v21
	ds_load_2addr_b32 v[28:29], v12 offset0:64 offset1:96
	s_wait_dscnt 0x3
	v_fmac_f32_e32 v30, v24, v22
	v_fmac_f32_e32 v30, v25, v23
	ds_load_b128 v[20:23], v8 offset:48
	ds_load_2addr_b32 v[24:25], v12 offset0:128 offset1:160
	s_wait_dscnt 0x3
	v_fmac_f32_e32 v30, v26, v16
	s_delay_alu instid0(VALU_DEP_1) | instskip(SKIP_3) | instid1(VALU_DEP_1)
	v_fmac_f32_e32 v30, v27, v17
	ds_load_2addr_b32 v[26:27], v12 offset0:192 offset1:224
	s_wait_dscnt 0x3
	v_fmac_f32_e32 v30, v28, v18
	v_fmac_f32_e32 v30, v29, v19
	ds_load_2addr_b32 v[28:29], v13 offset1:32
	ds_load_b128 v[16:19], v8 offset:64
	s_wait_dscnt 0x3
	v_fmac_f32_e32 v30, v24, v20
	s_delay_alu instid0(VALU_DEP_1) | instskip(SKIP_3) | instid1(VALU_DEP_1)
	v_fmac_f32_e32 v30, v25, v21
	ds_load_2addr_b32 v[24:25], v13 offset0:64 offset1:96
	s_wait_dscnt 0x3
	v_fmac_f32_e32 v30, v26, v22
	v_fmac_f32_e32 v30, v27, v23
	ds_load_2addr_b32 v[26:27], v13 offset0:128 offset1:160
	ds_load_b128 v[20:23], v8 offset:80
	s_wait_dscnt 0x3
	v_fmac_f32_e32 v30, v28, v16
	s_delay_alu instid0(VALU_DEP_1) | instskip(SKIP_3) | instid1(VALU_DEP_1)
	v_fmac_f32_e32 v30, v29, v17
	ds_load_2addr_b32 v[28:29], v13 offset0:192 offset1:224
	s_wait_dscnt 0x3
	v_fmac_f32_e32 v30, v24, v18
	v_fmac_f32_e32 v30, v25, v19
	ds_load_2addr_b32 v[24:25], v14 offset1:32
	ds_load_b128 v[16:19], v8 offset:96
	s_wait_dscnt 0x3
	v_fmac_f32_e32 v30, v26, v20
	s_delay_alu instid0(VALU_DEP_1) | instskip(SKIP_3) | instid1(VALU_DEP_1)
	v_fmac_f32_e32 v30, v27, v21
	ds_load_2addr_b32 v[26:27], v14 offset0:64 offset1:96
	s_wait_dscnt 0x3
	v_fmac_f32_e32 v30, v28, v22
	v_fmac_f32_e32 v30, v29, v23
	ds_load_2addr_b32 v[28:29], v14 offset0:128 offset1:160
	ds_load_b128 v[20:23], v8 offset:112
	s_wait_dscnt 0x3
	v_fmac_f32_e32 v30, v24, v16
	s_delay_alu instid0(VALU_DEP_1) | instskip(SKIP_3) | instid1(VALU_DEP_1)
	v_fmac_f32_e32 v30, v25, v17
	ds_load_2addr_b32 v[16:17], v14 offset0:192 offset1:224
	s_wait_dscnt 0x3
	v_fmac_f32_e32 v30, v26, v18
	v_fmac_f32_e32 v30, v27, v19
	s_wait_dscnt 0x1
	s_delay_alu instid0(VALU_DEP_1) | instskip(NEXT) | instid1(VALU_DEP_1)
	v_fmac_f32_e32 v30, v28, v20
	v_fmac_f32_e32 v30, v29, v21
	s_wait_dscnt 0x0
	s_delay_alu instid0(VALU_DEP_1) | instskip(NEXT) | instid1(VALU_DEP_1)
	v_fmac_f32_e32 v30, v16, v22
	v_fmac_f32_e32 v30, v17, v23
	s_delay_alu instid0(VALU_DEP_1)
	v_mul_f32_e32 v17, v15, v30
	s_wait_alu 0xfffe
	v_add_co_u32 v15, vcc_lo, v9, s16
	s_wait_alu 0xfffd
	v_add_co_ci_u32_e64 v16, null, s17, v10, vcc_lo
	global_store_b32 v[15:16], v17, off
	s_branch .LBB30_2
.LBB30_19:
	s_endpgm
	.section	.rodata,"a",@progbits
	.p2align	6, 0x0
	.amdhsa_kernel _ZL23rocblas_trmm_rNx_kernelILi32EfPKfS0_fEv13rocblas_fill_17rocblas_diagonal_iiT1_lPT2_llS6_llPT3_lli
		.amdhsa_group_segment_fixed_size 8192
		.amdhsa_private_segment_fixed_size 0
		.amdhsa_kernarg_size 108
		.amdhsa_user_sgpr_count 2
		.amdhsa_user_sgpr_dispatch_ptr 0
		.amdhsa_user_sgpr_queue_ptr 0
		.amdhsa_user_sgpr_kernarg_segment_ptr 1
		.amdhsa_user_sgpr_dispatch_id 0
		.amdhsa_user_sgpr_private_segment_size 0
		.amdhsa_wavefront_size32 1
		.amdhsa_uses_dynamic_stack 0
		.amdhsa_enable_private_segment 0
		.amdhsa_system_sgpr_workgroup_id_x 1
		.amdhsa_system_sgpr_workgroup_id_y 0
		.amdhsa_system_sgpr_workgroup_id_z 1
		.amdhsa_system_sgpr_workgroup_info 0
		.amdhsa_system_vgpr_workitem_id 1
		.amdhsa_next_free_vgpr 31
		.amdhsa_next_free_sgpr 31
		.amdhsa_reserve_vcc 1
		.amdhsa_float_round_mode_32 0
		.amdhsa_float_round_mode_16_64 0
		.amdhsa_float_denorm_mode_32 3
		.amdhsa_float_denorm_mode_16_64 3
		.amdhsa_fp16_overflow 0
		.amdhsa_workgroup_processor_mode 1
		.amdhsa_memory_ordered 1
		.amdhsa_forward_progress 1
		.amdhsa_inst_pref_size 12
		.amdhsa_round_robin_scheduling 0
		.amdhsa_exception_fp_ieee_invalid_op 0
		.amdhsa_exception_fp_denorm_src 0
		.amdhsa_exception_fp_ieee_div_zero 0
		.amdhsa_exception_fp_ieee_overflow 0
		.amdhsa_exception_fp_ieee_underflow 0
		.amdhsa_exception_fp_ieee_inexact 0
		.amdhsa_exception_int_div_zero 0
	.end_amdhsa_kernel
	.section	.text._ZL23rocblas_trmm_rNx_kernelILi32EfPKfS0_fEv13rocblas_fill_17rocblas_diagonal_iiT1_lPT2_llS6_llPT3_lli,"axG",@progbits,_ZL23rocblas_trmm_rNx_kernelILi32EfPKfS0_fEv13rocblas_fill_17rocblas_diagonal_iiT1_lPT2_llS6_llPT3_lli,comdat
.Lfunc_end30:
	.size	_ZL23rocblas_trmm_rNx_kernelILi32EfPKfS0_fEv13rocblas_fill_17rocblas_diagonal_iiT1_lPT2_llS6_llPT3_lli, .Lfunc_end30-_ZL23rocblas_trmm_rNx_kernelILi32EfPKfS0_fEv13rocblas_fill_17rocblas_diagonal_iiT1_lPT2_llS6_llPT3_lli
                                        ; -- End function
	.set _ZL23rocblas_trmm_rNx_kernelILi32EfPKfS0_fEv13rocblas_fill_17rocblas_diagonal_iiT1_lPT2_llS6_llPT3_lli.num_vgpr, 31
	.set _ZL23rocblas_trmm_rNx_kernelILi32EfPKfS0_fEv13rocblas_fill_17rocblas_diagonal_iiT1_lPT2_llS6_llPT3_lli.num_agpr, 0
	.set _ZL23rocblas_trmm_rNx_kernelILi32EfPKfS0_fEv13rocblas_fill_17rocblas_diagonal_iiT1_lPT2_llS6_llPT3_lli.numbered_sgpr, 31
	.set _ZL23rocblas_trmm_rNx_kernelILi32EfPKfS0_fEv13rocblas_fill_17rocblas_diagonal_iiT1_lPT2_llS6_llPT3_lli.num_named_barrier, 0
	.set _ZL23rocblas_trmm_rNx_kernelILi32EfPKfS0_fEv13rocblas_fill_17rocblas_diagonal_iiT1_lPT2_llS6_llPT3_lli.private_seg_size, 0
	.set _ZL23rocblas_trmm_rNx_kernelILi32EfPKfS0_fEv13rocblas_fill_17rocblas_diagonal_iiT1_lPT2_llS6_llPT3_lli.uses_vcc, 1
	.set _ZL23rocblas_trmm_rNx_kernelILi32EfPKfS0_fEv13rocblas_fill_17rocblas_diagonal_iiT1_lPT2_llS6_llPT3_lli.uses_flat_scratch, 0
	.set _ZL23rocblas_trmm_rNx_kernelILi32EfPKfS0_fEv13rocblas_fill_17rocblas_diagonal_iiT1_lPT2_llS6_llPT3_lli.has_dyn_sized_stack, 0
	.set _ZL23rocblas_trmm_rNx_kernelILi32EfPKfS0_fEv13rocblas_fill_17rocblas_diagonal_iiT1_lPT2_llS6_llPT3_lli.has_recursion, 0
	.set _ZL23rocblas_trmm_rNx_kernelILi32EfPKfS0_fEv13rocblas_fill_17rocblas_diagonal_iiT1_lPT2_llS6_llPT3_lli.has_indirect_call, 0
	.section	.AMDGPU.csdata,"",@progbits
; Kernel info:
; codeLenInByte = 1416
; TotalNumSgprs: 33
; NumVgprs: 31
; ScratchSize: 0
; MemoryBound: 0
; FloatMode: 240
; IeeeMode: 1
; LDSByteSize: 8192 bytes/workgroup (compile time only)
; SGPRBlocks: 0
; VGPRBlocks: 3
; NumSGPRsForWavesPerEU: 33
; NumVGPRsForWavesPerEU: 31
; Occupancy: 16
; WaveLimiterHint : 0
; COMPUTE_PGM_RSRC2:SCRATCH_EN: 0
; COMPUTE_PGM_RSRC2:USER_SGPR: 2
; COMPUTE_PGM_RSRC2:TRAP_HANDLER: 0
; COMPUTE_PGM_RSRC2:TGID_X_EN: 1
; COMPUTE_PGM_RSRC2:TGID_Y_EN: 0
; COMPUTE_PGM_RSRC2:TGID_Z_EN: 1
; COMPUTE_PGM_RSRC2:TIDIG_COMP_CNT: 1
	.section	.text._ZL23rocblas_trmm_rNx_kernelILi32EffKffEv13rocblas_fill_17rocblas_diagonal_iiT1_lPT2_llS5_llPT3_lli,"axG",@progbits,_ZL23rocblas_trmm_rNx_kernelILi32EffKffEv13rocblas_fill_17rocblas_diagonal_iiT1_lPT2_llS5_llPT3_lli,comdat
	.globl	_ZL23rocblas_trmm_rNx_kernelILi32EffKffEv13rocblas_fill_17rocblas_diagonal_iiT1_lPT2_llS5_llPT3_lli ; -- Begin function _ZL23rocblas_trmm_rNx_kernelILi32EffKffEv13rocblas_fill_17rocblas_diagonal_iiT1_lPT2_llS5_llPT3_lli
	.p2align	8
	.type	_ZL23rocblas_trmm_rNx_kernelILi32EffKffEv13rocblas_fill_17rocblas_diagonal_iiT1_lPT2_llS5_llPT3_lli,@function
_ZL23rocblas_trmm_rNx_kernelILi32EffKffEv13rocblas_fill_17rocblas_diagonal_iiT1_lPT2_llS5_llPT3_lli: ; @_ZL23rocblas_trmm_rNx_kernelILi32EffKffEv13rocblas_fill_17rocblas_diagonal_iiT1_lPT2_llS5_llPT3_lli
; %bb.0:
	s_load_b32 s26, s[0:1], 0x68
	s_lshr_b32 s2, ttmp7, 16
	s_wait_kmcnt 0x0
	s_cmp_ge_u32 s2, s26
	s_cbranch_scc1 .LBB31_19
; %bb.1:
	s_clause 0x3
	s_load_b32 s27, s[0:1], 0x10
	s_load_b512 s[4:19], s[0:1], 0x20
	s_load_b128 s[20:23], s[0:1], 0x0
	s_load_b64 s[24:25], s[0:1], 0x60
	v_bfe_u32 v16, v0, 10, 10
	v_dual_mov_b32 v1, 0 :: v_dual_and_b32 v0, 0x3ff, v0
	s_delay_alu instid0(VALU_DEP_1)
	v_lshlrev_b64_e32 v[9:10], 2, v[0:1]
	s_wait_kmcnt 0x0
	s_cmp_neq_f32 s27, 0
	v_mad_co_u64_u32 v[11:12], null, s18, v16, 0
	v_mad_co_u64_u32 v[4:5], null, s6, v16, 0
	;; [unrolled: 1-line block ×3, first 2 shown]
	s_cselect_b32 s6, -1, 0
	s_add_co_i32 s1, s22, -1
	v_mov_b32_e32 v8, v12
	s_ashr_i32 s3, s1, 31
	v_cmp_gt_i32_e32 vcc_lo, s23, v16
	s_lshr_b32 s3, s3, 27
	v_mad_co_u64_u32 v[12:13], null, s7, v16, v[5:6]
	v_mad_co_u64_u32 v[13:14], null, s13, v16, v[7:8]
	s_add_co_i32 s1, s1, s3
	v_lshlrev_b32_e32 v2, 5, v16
	s_ashr_i32 s3, s1, 5
	s_and_not1_b32 s1, s1, 31
	v_mov_b32_e32 v5, v12
	s_sub_co_i32 s1, s22, s1
	v_mov_b32_e32 v7, v13
	v_cmp_gt_i32_e64 s0, s23, v0
	s_cmp_ge_i32 ttmp9, s3
	v_mad_co_u64_u32 v[14:15], null, s19, v16, v[8:9]
	s_cselect_b32 s1, s1, 32
	s_lshl_b32 s12, ttmp9, 5
	v_add_lshl_u32 v2, v2, v0, 2
	s_wait_alu 0xfffe
	s_ashr_i32 s13, s12, 31
	v_lshlrev_b64_e32 v[4:5], 2, v[4:5]
	v_lshlrev_b64_e32 v[6:7], 2, v[6:7]
	s_and_b32 s7, vcc_lo, s0
	v_cmp_gt_i32_e64 s0, s1, v0
	s_wait_alu 0xfffe
	s_lshl_b64 s[12:13], s[12:13], 2
	v_dual_mov_b32 v12, v14 :: v_dual_add_nc_u32 v3, 0x1000, v2
	s_wait_alu 0xfffe
	s_add_nc_u64 s[10:11], s[10:11], s[12:13]
	v_add_co_u32 v4, s1, s4, v4
	s_and_b32 s4, vcc_lo, s0
	v_add_co_u32 v6, vcc_lo, s10, v6
	s_delay_alu instid0(VALU_DEP_1)
	v_add_co_ci_u32_e64 v7, null, s11, v7, vcc_lo
	v_lshlrev_b64_e32 v[11:12], 2, v[11:12]
	v_cmp_eq_u32_e32 vcc_lo, v16, v0
	s_cmp_eq_u32 s21, 0x84
	v_add_co_u32 v6, s0, v6, v9
	v_add_co_ci_u32_e64 v5, null, s5, v5, s1
	s_add_nc_u64 s[12:13], s[16:17], s[12:13]
	v_add_co_ci_u32_e64 v7, null, v7, v10, s0
	s_cselect_b32 s0, -1, 0
	v_add_co_u32 v4, s1, v4, v9
	s_wait_alu 0xfffe
	s_and_b32 s5, vcc_lo, s0
	v_add_co_u32 v11, vcc_lo, s12, v11
	v_add_co_ci_u32_e64 v5, null, v5, v10, s1
	v_cmp_lt_u32_e64 s0, v0, v16
	v_cmp_gt_u32_e64 s1, v0, v16
	v_lshl_add_u32 v0, v0, 2, 0x1000
	s_wait_alu 0xfffd
	v_add_co_ci_u32_e64 v12, null, s13, v12, vcc_lo
	v_add_co_u32 v9, vcc_lo, v11, v9
	v_dual_mov_b32 v11, 1.0 :: v_dual_lshlrev_b32 v8, 7, v16
	s_wait_alu 0xfffd
	s_delay_alu instid0(VALU_DEP_3)
	v_add_co_ci_u32_e64 v10, null, v12, v10, vcc_lo
	v_add_nc_u32_e32 v12, 0x400, v0
	v_add_nc_u32_e32 v13, 0x800, v0
	v_add_nc_u32_e32 v14, 0xc00, v0
	s_cmp_lg_u32 s20, 0x79
	s_mov_b32 s3, 0
	s_cselect_b32 s10, -1, 0
	s_branch .LBB31_4
.LBB31_2:                               ;   in Loop: Header=BB31_4 Depth=1
	s_wait_alu 0xfffe
	s_or_b32 exec_lo, exec_lo, s11
.LBB31_3:                               ;   in Loop: Header=BB31_4 Depth=1
	s_add_co_i32 s2, s2, 0x10000
	s_delay_alu instid0(SALU_CYCLE_1)
	s_cmp_lt_u32 s2, s26
	s_cbranch_scc0 .LBB31_19
.LBB31_4:                               ; =>This Inner Loop Header: Depth=1
	s_and_not1_b32 vcc_lo, exec_lo, s6
	s_wait_alu 0xfffe
	s_cbranch_vccnz .LBB31_3
; %bb.5:                                ;   in Loop: Header=BB31_4 Depth=1
	ds_store_b32 v2, v1
	ds_store_b32 v3, v1
	s_and_saveexec_b32 s11, s7
	s_cbranch_execnz .LBB31_10
; %bb.6:                                ;   in Loop: Header=BB31_4 Depth=1
	s_wait_alu 0xfffe
	s_or_b32 exec_lo, exec_lo, s11
	s_and_saveexec_b32 s11, s4
	s_cbranch_execnz .LBB31_11
.LBB31_7:                               ;   in Loop: Header=BB31_4 Depth=1
	s_wait_alu 0xfffe
	s_or_b32 exec_lo, exec_lo, s11
	s_and_saveexec_b32 s11, s5
	s_cbranch_execnz .LBB31_12
.LBB31_8:                               ;   in Loop: Header=BB31_4 Depth=1
	s_wait_alu 0xfffe
	s_or_b32 exec_lo, exec_lo, s11
	s_delay_alu instid0(SALU_CYCLE_1)
	s_and_b32 vcc_lo, exec_lo, s10
	s_wait_alu 0xfffe
	s_cbranch_vccz .LBB31_13
.LBB31_9:                               ;   in Loop: Header=BB31_4 Depth=1
	s_and_b32 s11, s0, exec_lo
	s_cbranch_execz .LBB31_14
	s_branch .LBB31_15
.LBB31_10:                              ;   in Loop: Header=BB31_4 Depth=1
	s_mul_u64 s[12:13], s[8:9], s[2:3]
	s_wait_alu 0xfffe
	s_lshl_b64 s[12:13], s[12:13], 2
	s_wait_alu 0xfffe
	v_add_co_u32 v15, vcc_lo, v4, s12
	s_wait_alu 0xfffd
	v_add_co_ci_u32_e64 v16, null, s13, v5, vcc_lo
	global_load_b32 v15, v[15:16], off
	s_wait_loadcnt 0x0
	ds_store_b32 v2, v15
	s_or_b32 exec_lo, exec_lo, s11
	s_and_saveexec_b32 s11, s4
	s_cbranch_execz .LBB31_7
.LBB31_11:                              ;   in Loop: Header=BB31_4 Depth=1
	s_mul_u64 s[12:13], s[14:15], s[2:3]
	s_wait_alu 0xfffe
	s_lshl_b64 s[12:13], s[12:13], 2
	s_wait_alu 0xfffe
	v_add_co_u32 v15, vcc_lo, v6, s12
	s_wait_alu 0xfffd
	v_add_co_ci_u32_e64 v16, null, s13, v7, vcc_lo
	global_load_b32 v15, v[15:16], off
	s_wait_loadcnt 0x0
	ds_store_b32 v3, v15
	s_or_b32 exec_lo, exec_lo, s11
	s_and_saveexec_b32 s11, s5
	s_cbranch_execz .LBB31_8
.LBB31_12:                              ;   in Loop: Header=BB31_4 Depth=1
	ds_store_b32 v2, v11
	s_wait_alu 0xfffe
	s_or_b32 exec_lo, exec_lo, s11
	s_delay_alu instid0(SALU_CYCLE_1)
	s_and_b32 vcc_lo, exec_lo, s10
	s_wait_alu 0xfffe
	s_cbranch_vccnz .LBB31_9
.LBB31_13:                              ;   in Loop: Header=BB31_4 Depth=1
	s_mov_b32 s11, 0
.LBB31_14:                              ;   in Loop: Header=BB31_4 Depth=1
	s_wait_alu 0xfffe
	s_and_not1_b32 s11, s11, exec_lo
	s_and_b32 s12, s1, exec_lo
	s_wait_alu 0xfffe
	s_or_b32 s11, s11, s12
.LBB31_15:                              ;   in Loop: Header=BB31_4 Depth=1
	s_wait_alu 0xfffe
	s_and_saveexec_b32 s12, s11
; %bb.16:                               ;   in Loop: Header=BB31_4 Depth=1
	ds_store_b32 v2, v1
; %bb.17:                               ;   in Loop: Header=BB31_4 Depth=1
	s_wait_alu 0xfffe
	s_or_b32 exec_lo, exec_lo, s12
	s_wait_dscnt 0x0
	s_barrier_signal -1
	s_barrier_wait -1
	global_inv scope:SCOPE_SE
	s_and_saveexec_b32 s11, s4
	s_cbranch_execz .LBB31_2
; %bb.18:                               ;   in Loop: Header=BB31_4 Depth=1
	ds_load_2addr_b32 v[23:24], v0 offset1:32
	ds_load_b128 v[15:18], v8
	ds_load_2addr_b32 v[25:26], v0 offset0:64 offset1:96
	ds_load_b128 v[19:22], v8 offset:16
	ds_load_2addr_b32 v[27:28], v0 offset0:128 offset1:160
	s_mul_u64 s[12:13], s[24:25], s[2:3]
	s_wait_alu 0xfffe
	s_lshl_b64 s[12:13], s[12:13], 2
	s_wait_dscnt 0x3
	v_fma_f32 v29, v23, v15, 0
	s_delay_alu instid0(VALU_DEP_1) | instskip(SKIP_3) | instid1(VALU_DEP_1)
	v_fmac_f32_e32 v29, v24, v16
	ds_load_2addr_b32 v[23:24], v0 offset0:192 offset1:224
	s_wait_dscnt 0x3
	v_fmac_f32_e32 v29, v25, v17
	v_fmac_f32_e32 v29, v26, v18
	ds_load_b128 v[15:18], v8 offset:32
	ds_load_2addr_b32 v[25:26], v12 offset1:32
	s_wait_dscnt 0x3
	v_fmac_f32_e32 v29, v27, v19
	s_delay_alu instid0(VALU_DEP_1) | instskip(SKIP_3) | instid1(VALU_DEP_1)
	v_fmac_f32_e32 v29, v28, v20
	ds_load_2addr_b32 v[27:28], v12 offset0:64 offset1:96
	s_wait_dscnt 0x3
	v_fmac_f32_e32 v29, v23, v21
	v_fmac_f32_e32 v29, v24, v22
	ds_load_b128 v[19:22], v8 offset:48
	ds_load_2addr_b32 v[23:24], v12 offset0:128 offset1:160
	s_wait_dscnt 0x3
	v_fmac_f32_e32 v29, v25, v15
	s_delay_alu instid0(VALU_DEP_1) | instskip(SKIP_3) | instid1(VALU_DEP_1)
	v_fmac_f32_e32 v29, v26, v16
	ds_load_2addr_b32 v[25:26], v12 offset0:192 offset1:224
	s_wait_dscnt 0x3
	v_fmac_f32_e32 v29, v27, v17
	v_fmac_f32_e32 v29, v28, v18
	ds_load_2addr_b32 v[27:28], v13 offset1:32
	ds_load_b128 v[15:18], v8 offset:64
	s_wait_dscnt 0x3
	v_fmac_f32_e32 v29, v23, v19
	s_delay_alu instid0(VALU_DEP_1) | instskip(SKIP_3) | instid1(VALU_DEP_1)
	v_fmac_f32_e32 v29, v24, v20
	ds_load_2addr_b32 v[23:24], v13 offset0:64 offset1:96
	s_wait_dscnt 0x3
	v_fmac_f32_e32 v29, v25, v21
	v_fmac_f32_e32 v29, v26, v22
	ds_load_2addr_b32 v[25:26], v13 offset0:128 offset1:160
	ds_load_b128 v[19:22], v8 offset:80
	s_wait_dscnt 0x3
	v_fmac_f32_e32 v29, v27, v15
	s_delay_alu instid0(VALU_DEP_1) | instskip(SKIP_3) | instid1(VALU_DEP_1)
	v_fmac_f32_e32 v29, v28, v16
	ds_load_2addr_b32 v[27:28], v13 offset0:192 offset1:224
	s_wait_dscnt 0x3
	v_fmac_f32_e32 v29, v23, v17
	v_fmac_f32_e32 v29, v24, v18
	ds_load_2addr_b32 v[23:24], v14 offset1:32
	ds_load_b128 v[15:18], v8 offset:96
	s_wait_dscnt 0x3
	v_fmac_f32_e32 v29, v25, v19
	s_delay_alu instid0(VALU_DEP_1) | instskip(SKIP_3) | instid1(VALU_DEP_1)
	v_fmac_f32_e32 v29, v26, v20
	ds_load_2addr_b32 v[25:26], v14 offset0:64 offset1:96
	s_wait_dscnt 0x3
	v_fmac_f32_e32 v29, v27, v21
	v_fmac_f32_e32 v29, v28, v22
	ds_load_2addr_b32 v[27:28], v14 offset0:128 offset1:160
	ds_load_b128 v[19:22], v8 offset:112
	s_wait_dscnt 0x3
	v_fmac_f32_e32 v29, v23, v15
	s_delay_alu instid0(VALU_DEP_1) | instskip(SKIP_3) | instid1(VALU_DEP_1)
	v_fmac_f32_e32 v29, v24, v16
	ds_load_2addr_b32 v[15:16], v14 offset0:192 offset1:224
	s_wait_dscnt 0x3
	v_fmac_f32_e32 v29, v25, v17
	v_fmac_f32_e32 v29, v26, v18
	s_wait_dscnt 0x1
	s_delay_alu instid0(VALU_DEP_1) | instskip(NEXT) | instid1(VALU_DEP_1)
	v_fmac_f32_e32 v29, v27, v19
	v_fmac_f32_e32 v29, v28, v20
	s_wait_dscnt 0x0
	s_delay_alu instid0(VALU_DEP_1) | instskip(SKIP_2) | instid1(VALU_DEP_2)
	v_fmac_f32_e32 v29, v15, v21
	s_wait_alu 0xfffe
	v_add_co_u32 v15, vcc_lo, v9, s12
	v_fmac_f32_e32 v29, v16, v22
	s_wait_alu 0xfffd
	v_add_co_ci_u32_e64 v16, null, s13, v10, vcc_lo
	s_delay_alu instid0(VALU_DEP_2)
	v_mul_f32_e32 v17, s27, v29
	global_store_b32 v[15:16], v17, off
	s_branch .LBB31_2
.LBB31_19:
	s_endpgm
	.section	.rodata,"a",@progbits
	.p2align	6, 0x0
	.amdhsa_kernel _ZL23rocblas_trmm_rNx_kernelILi32EffKffEv13rocblas_fill_17rocblas_diagonal_iiT1_lPT2_llS5_llPT3_lli
		.amdhsa_group_segment_fixed_size 8192
		.amdhsa_private_segment_fixed_size 0
		.amdhsa_kernarg_size 108
		.amdhsa_user_sgpr_count 2
		.amdhsa_user_sgpr_dispatch_ptr 0
		.amdhsa_user_sgpr_queue_ptr 0
		.amdhsa_user_sgpr_kernarg_segment_ptr 1
		.amdhsa_user_sgpr_dispatch_id 0
		.amdhsa_user_sgpr_private_segment_size 0
		.amdhsa_wavefront_size32 1
		.amdhsa_uses_dynamic_stack 0
		.amdhsa_enable_private_segment 0
		.amdhsa_system_sgpr_workgroup_id_x 1
		.amdhsa_system_sgpr_workgroup_id_y 0
		.amdhsa_system_sgpr_workgroup_id_z 1
		.amdhsa_system_sgpr_workgroup_info 0
		.amdhsa_system_vgpr_workitem_id 1
		.amdhsa_next_free_vgpr 30
		.amdhsa_next_free_sgpr 28
		.amdhsa_reserve_vcc 1
		.amdhsa_float_round_mode_32 0
		.amdhsa_float_round_mode_16_64 0
		.amdhsa_float_denorm_mode_32 3
		.amdhsa_float_denorm_mode_16_64 3
		.amdhsa_fp16_overflow 0
		.amdhsa_workgroup_processor_mode 1
		.amdhsa_memory_ordered 1
		.amdhsa_forward_progress 1
		.amdhsa_inst_pref_size 11
		.amdhsa_round_robin_scheduling 0
		.amdhsa_exception_fp_ieee_invalid_op 0
		.amdhsa_exception_fp_denorm_src 0
		.amdhsa_exception_fp_ieee_div_zero 0
		.amdhsa_exception_fp_ieee_overflow 0
		.amdhsa_exception_fp_ieee_underflow 0
		.amdhsa_exception_fp_ieee_inexact 0
		.amdhsa_exception_int_div_zero 0
	.end_amdhsa_kernel
	.section	.text._ZL23rocblas_trmm_rNx_kernelILi32EffKffEv13rocblas_fill_17rocblas_diagonal_iiT1_lPT2_llS5_llPT3_lli,"axG",@progbits,_ZL23rocblas_trmm_rNx_kernelILi32EffKffEv13rocblas_fill_17rocblas_diagonal_iiT1_lPT2_llS5_llPT3_lli,comdat
.Lfunc_end31:
	.size	_ZL23rocblas_trmm_rNx_kernelILi32EffKffEv13rocblas_fill_17rocblas_diagonal_iiT1_lPT2_llS5_llPT3_lli, .Lfunc_end31-_ZL23rocblas_trmm_rNx_kernelILi32EffKffEv13rocblas_fill_17rocblas_diagonal_iiT1_lPT2_llS5_llPT3_lli
                                        ; -- End function
	.set _ZL23rocblas_trmm_rNx_kernelILi32EffKffEv13rocblas_fill_17rocblas_diagonal_iiT1_lPT2_llS5_llPT3_lli.num_vgpr, 30
	.set _ZL23rocblas_trmm_rNx_kernelILi32EffKffEv13rocblas_fill_17rocblas_diagonal_iiT1_lPT2_llS5_llPT3_lli.num_agpr, 0
	.set _ZL23rocblas_trmm_rNx_kernelILi32EffKffEv13rocblas_fill_17rocblas_diagonal_iiT1_lPT2_llS5_llPT3_lli.numbered_sgpr, 28
	.set _ZL23rocblas_trmm_rNx_kernelILi32EffKffEv13rocblas_fill_17rocblas_diagonal_iiT1_lPT2_llS5_llPT3_lli.num_named_barrier, 0
	.set _ZL23rocblas_trmm_rNx_kernelILi32EffKffEv13rocblas_fill_17rocblas_diagonal_iiT1_lPT2_llS5_llPT3_lli.private_seg_size, 0
	.set _ZL23rocblas_trmm_rNx_kernelILi32EffKffEv13rocblas_fill_17rocblas_diagonal_iiT1_lPT2_llS5_llPT3_lli.uses_vcc, 1
	.set _ZL23rocblas_trmm_rNx_kernelILi32EffKffEv13rocblas_fill_17rocblas_diagonal_iiT1_lPT2_llS5_llPT3_lli.uses_flat_scratch, 0
	.set _ZL23rocblas_trmm_rNx_kernelILi32EffKffEv13rocblas_fill_17rocblas_diagonal_iiT1_lPT2_llS5_llPT3_lli.has_dyn_sized_stack, 0
	.set _ZL23rocblas_trmm_rNx_kernelILi32EffKffEv13rocblas_fill_17rocblas_diagonal_iiT1_lPT2_llS5_llPT3_lli.has_recursion, 0
	.set _ZL23rocblas_trmm_rNx_kernelILi32EffKffEv13rocblas_fill_17rocblas_diagonal_iiT1_lPT2_llS5_llPT3_lli.has_indirect_call, 0
	.section	.AMDGPU.csdata,"",@progbits
; Kernel info:
; codeLenInByte = 1384
; TotalNumSgprs: 30
; NumVgprs: 30
; ScratchSize: 0
; MemoryBound: 0
; FloatMode: 240
; IeeeMode: 1
; LDSByteSize: 8192 bytes/workgroup (compile time only)
; SGPRBlocks: 0
; VGPRBlocks: 3
; NumSGPRsForWavesPerEU: 30
; NumVGPRsForWavesPerEU: 30
; Occupancy: 16
; WaveLimiterHint : 0
; COMPUTE_PGM_RSRC2:SCRATCH_EN: 0
; COMPUTE_PGM_RSRC2:USER_SGPR: 2
; COMPUTE_PGM_RSRC2:TRAP_HANDLER: 0
; COMPUTE_PGM_RSRC2:TGID_X_EN: 1
; COMPUTE_PGM_RSRC2:TGID_Y_EN: 0
; COMPUTE_PGM_RSRC2:TGID_Z_EN: 1
; COMPUTE_PGM_RSRC2:TIDIG_COMP_CNT: 1
	.section	.text._ZL23rocblas_trmm_rTx_kernelILi32ELb0EfPKfS0_fEv13rocblas_fill_17rocblas_diagonal_iiT2_lPT3_llS6_llPT4_lli,"axG",@progbits,_ZL23rocblas_trmm_rTx_kernelILi32ELb0EfPKfS0_fEv13rocblas_fill_17rocblas_diagonal_iiT2_lPT3_llS6_llPT4_lli,comdat
	.globl	_ZL23rocblas_trmm_rTx_kernelILi32ELb0EfPKfS0_fEv13rocblas_fill_17rocblas_diagonal_iiT2_lPT3_llS6_llPT4_lli ; -- Begin function _ZL23rocblas_trmm_rTx_kernelILi32ELb0EfPKfS0_fEv13rocblas_fill_17rocblas_diagonal_iiT2_lPT3_llS6_llPT4_lli
	.p2align	8
	.type	_ZL23rocblas_trmm_rTx_kernelILi32ELb0EfPKfS0_fEv13rocblas_fill_17rocblas_diagonal_iiT2_lPT3_llS6_llPT4_lli,@function
_ZL23rocblas_trmm_rTx_kernelILi32ELb0EfPKfS0_fEv13rocblas_fill_17rocblas_diagonal_iiT2_lPT3_llS6_llPT4_lli: ; @_ZL23rocblas_trmm_rTx_kernelILi32ELb0EfPKfS0_fEv13rocblas_fill_17rocblas_diagonal_iiT2_lPT3_llS6_llPT4_lli
; %bb.0:
	s_load_b32 s30, s[0:1], 0x68
	s_lshr_b32 s2, ttmp7, 16
	s_wait_kmcnt 0x0
	s_cmp_ge_u32 s2, s30
	s_cbranch_scc1 .LBB32_19
; %bb.1:
	s_clause 0x3
	s_load_b128 s[20:23], s[0:1], 0x0
	s_load_b512 s[4:19], s[0:1], 0x10
	s_load_b128 s[24:27], s[0:1], 0x50
	s_load_b64 s[28:29], s[0:1], 0x60
	v_bfe_u32 v16, v0, 10, 10
	v_dual_mov_b32 v1, 0 :: v_dual_and_b32 v0, 0x3ff, v0
	s_delay_alu instid0(VALU_DEP_1)
	v_lshlrev_b64_e32 v[9:10], 2, v[0:1]
	s_wait_kmcnt 0x0
	s_add_co_i32 s0, s22, -1
	v_mad_co_u64_u32 v[4:5], null, s10, v16, 0
	v_mad_co_u64_u32 v[6:7], null, s16, v16, 0
	;; [unrolled: 1-line block ×3, first 2 shown]
	s_ashr_i32 s1, s0, 31
	v_cmp_gt_i32_e32 vcc_lo, s23, v16
	s_lshr_b32 s1, s1, 27
	s_delay_alu instid0(SALU_CYCLE_1)
	s_add_co_i32 s1, s0, s1
	v_cmp_gt_i32_e64 s0, s23, v0
	v_mov_b32_e32 v8, v12
	v_mad_co_u64_u32 v[12:13], null, s11, v16, v[5:6]
	s_ashr_i32 s3, s1, 5
	s_and_not1_b32 s1, s1, 31
	v_mad_co_u64_u32 v[13:14], null, s17, v16, v[7:8]
	v_lshlrev_b32_e32 v2, 5, v16
	s_sub_co_i32 s1, s22, s1
	v_mov_b32_e32 v5, v12
	s_cmp_ge_i32 ttmp9, s3
	s_mov_b32 s3, 0
	s_cselect_b32 s1, s1, 32
	s_and_b32 s10, vcc_lo, s0
	v_lshlrev_b64_e32 v[4:5], 2, v[4:5]
	v_cmp_gt_i32_e64 s0, s1, v0
	v_mov_b32_e32 v7, v13
	v_mad_co_u64_u32 v[14:15], null, s27, v16, v[8:9]
	v_add_lshl_u32 v2, v2, v0, 2
	s_lshl_b32 s16, ttmp9, 5
	s_and_b32 s11, vcc_lo, s0
	v_add_co_u32 v4, vcc_lo, s8, v4
	s_wait_alu 0xfffe
	s_ashr_i32 s17, s16, 31
	v_lshlrev_b64_e32 v[6:7], 2, v[6:7]
	v_add_co_ci_u32_e64 v5, null, s9, v5, vcc_lo
	v_dual_mov_b32 v12, v14 :: v_dual_add_nc_u32 v3, 0x1000, v2
	s_wait_alu 0xfffe
	s_lshl_b64 s[16:17], s[16:17], 2
	v_add_co_u32 v4, vcc_lo, v4, v9
	s_wait_alu 0xfffe
	s_add_nc_u64 s[14:15], s[14:15], s[16:17]
	s_wait_alu 0xfffd
	v_add_co_ci_u32_e64 v5, null, v5, v10, vcc_lo
	v_add_co_u32 v6, vcc_lo, s14, v6
	v_lshlrev_b64_e32 v[11:12], 2, v[11:12]
	s_wait_alu 0xfffd
	v_add_co_ci_u32_e64 v7, null, s15, v7, vcc_lo
	v_cmp_eq_u32_e32 vcc_lo, v16, v0
	s_cmp_eq_u32 s21, 0x84
	s_add_nc_u64 s[16:17], s[24:25], s[16:17]
	s_cselect_b32 s1, -1, 0
	v_add_co_u32 v6, s0, v6, v9
	s_wait_alu 0xfffe
	s_and_b32 s8, vcc_lo, s1
	v_add_co_u32 v11, vcc_lo, s16, v11
	v_add_co_ci_u32_e64 v7, null, v7, v10, s0
	v_cmp_lt_u32_e64 s0, v0, v16
	v_cmp_gt_u32_e64 s1, v0, v16
	v_lshl_add_u32 v0, v0, 2, 0x1000
	s_wait_alu 0xfffd
	v_add_co_ci_u32_e64 v12, null, s17, v12, vcc_lo
	v_lshlrev_b32_e32 v8, 2, v16
	v_add_co_u32 v9, vcc_lo, v11, v9
	s_wait_alu 0xfffd
	s_delay_alu instid0(VALU_DEP_3)
	v_add_co_ci_u32_e64 v10, null, v12, v10, vcc_lo
	v_dual_mov_b32 v11, 1.0 :: v_dual_add_nc_u32 v12, 0x400, v0
	v_add_nc_u32_e32 v13, 0x400, v8
	v_add_nc_u32_e32 v14, 0x800, v0
	v_add_nc_u32_e32 v15, 0x800, v8
	v_add_nc_u32_e32 v16, 0xc00, v0
	v_add_nc_u32_e32 v17, 0xc00, v8
	s_cmp_lg_u32 s20, 0x79
	s_cselect_b32 s9, -1, 0
	s_branch .LBB32_4
.LBB32_2:                               ;   in Loop: Header=BB32_4 Depth=1
	s_wait_alu 0xfffe
	s_or_b32 exec_lo, exec_lo, s14
.LBB32_3:                               ;   in Loop: Header=BB32_4 Depth=1
	s_add_co_i32 s2, s2, 0x10000
	s_delay_alu instid0(SALU_CYCLE_1)
	s_cmp_lt_u32 s2, s30
	s_cbranch_scc0 .LBB32_19
.LBB32_4:                               ; =>This Inner Loop Header: Depth=1
	s_mul_u64 s[14:15], s[6:7], s[2:3]
	s_wait_alu 0xfffe
	s_lshl_b64 s[14:15], s[14:15], 2
	s_wait_alu 0xfffe
	s_add_nc_u64 s[14:15], s[4:5], s[14:15]
	global_load_b32 v18, v1, s[14:15]
	s_wait_loadcnt 0x0
	v_cmp_eq_f32_e32 vcc_lo, 0, v18
	s_cbranch_vccnz .LBB32_3
; %bb.5:                                ;   in Loop: Header=BB32_4 Depth=1
	ds_store_b32 v2, v1
	ds_store_b32 v3, v1
	s_and_saveexec_b32 s14, s10
	s_cbranch_execnz .LBB32_10
; %bb.6:                                ;   in Loop: Header=BB32_4 Depth=1
	s_wait_alu 0xfffe
	s_or_b32 exec_lo, exec_lo, s14
	s_and_saveexec_b32 s14, s11
	s_cbranch_execnz .LBB32_11
.LBB32_7:                               ;   in Loop: Header=BB32_4 Depth=1
	s_wait_alu 0xfffe
	s_or_b32 exec_lo, exec_lo, s14
	s_and_saveexec_b32 s14, s8
	s_cbranch_execnz .LBB32_12
.LBB32_8:                               ;   in Loop: Header=BB32_4 Depth=1
	s_wait_alu 0xfffe
	s_or_b32 exec_lo, exec_lo, s14
	s_delay_alu instid0(SALU_CYCLE_1)
	s_and_b32 vcc_lo, exec_lo, s9
	s_wait_alu 0xfffe
	s_cbranch_vccz .LBB32_13
.LBB32_9:                               ;   in Loop: Header=BB32_4 Depth=1
	s_and_b32 s14, s0, exec_lo
	s_cbranch_execz .LBB32_14
	s_branch .LBB32_15
.LBB32_10:                              ;   in Loop: Header=BB32_4 Depth=1
	s_mul_u64 s[16:17], s[12:13], s[2:3]
	s_wait_alu 0xfffe
	s_lshl_b64 s[16:17], s[16:17], 2
	s_wait_alu 0xfffe
	v_add_co_u32 v19, vcc_lo, v4, s16
	s_wait_alu 0xfffd
	v_add_co_ci_u32_e64 v20, null, s17, v5, vcc_lo
	global_load_b32 v19, v[19:20], off
	s_wait_loadcnt 0x0
	ds_store_b32 v2, v19
	s_or_b32 exec_lo, exec_lo, s14
	s_and_saveexec_b32 s14, s11
	s_cbranch_execz .LBB32_7
.LBB32_11:                              ;   in Loop: Header=BB32_4 Depth=1
	s_mul_u64 s[16:17], s[18:19], s[2:3]
	s_wait_alu 0xfffe
	s_lshl_b64 s[16:17], s[16:17], 2
	s_wait_alu 0xfffe
	v_add_co_u32 v19, vcc_lo, v6, s16
	s_wait_alu 0xfffd
	v_add_co_ci_u32_e64 v20, null, s17, v7, vcc_lo
	global_load_b32 v19, v[19:20], off
	s_wait_loadcnt 0x0
	ds_store_b32 v3, v19
	s_or_b32 exec_lo, exec_lo, s14
	s_and_saveexec_b32 s14, s8
	s_cbranch_execz .LBB32_8
.LBB32_12:                              ;   in Loop: Header=BB32_4 Depth=1
	ds_store_b32 v2, v11
	s_wait_alu 0xfffe
	s_or_b32 exec_lo, exec_lo, s14
	s_delay_alu instid0(SALU_CYCLE_1)
	s_and_b32 vcc_lo, exec_lo, s9
	s_wait_alu 0xfffe
	s_cbranch_vccnz .LBB32_9
.LBB32_13:                              ;   in Loop: Header=BB32_4 Depth=1
	s_mov_b32 s14, 0
.LBB32_14:                              ;   in Loop: Header=BB32_4 Depth=1
	s_wait_alu 0xfffe
	s_and_not1_b32 s14, s14, exec_lo
	s_and_b32 s15, s1, exec_lo
	s_wait_alu 0xfffe
	s_or_b32 s14, s14, s15
.LBB32_15:                              ;   in Loop: Header=BB32_4 Depth=1
	s_wait_alu 0xfffe
	s_and_saveexec_b32 s15, s14
; %bb.16:                               ;   in Loop: Header=BB32_4 Depth=1
	ds_store_b32 v2, v1
; %bb.17:                               ;   in Loop: Header=BB32_4 Depth=1
	s_wait_alu 0xfffe
	s_or_b32 exec_lo, exec_lo, s15
	s_wait_dscnt 0x0
	s_barrier_signal -1
	s_barrier_wait -1
	global_inv scope:SCOPE_SE
	s_and_saveexec_b32 s14, s11
	s_cbranch_execz .LBB32_2
; %bb.18:                               ;   in Loop: Header=BB32_4 Depth=1
	ds_load_2addr_b32 v[19:20], v0 offset1:32
	ds_load_2addr_b32 v[21:22], v8 offset1:32
	ds_load_2addr_b32 v[23:24], v0 offset0:64 offset1:96
	ds_load_2addr_b32 v[25:26], v8 offset0:64 offset1:96
	ds_load_2addr_b32 v[27:28], v0 offset0:128 offset1:160
	ds_load_2addr_b32 v[29:30], v8 offset0:128 offset1:160
	s_mul_u64 s[16:17], s[28:29], s[2:3]
	s_wait_alu 0xfffe
	s_lshl_b64 s[16:17], s[16:17], 2
	s_wait_dscnt 0x4
	v_fma_f32 v31, v19, v21, 0
	s_delay_alu instid0(VALU_DEP_1) | instskip(SKIP_4) | instid1(VALU_DEP_1)
	v_fmac_f32_e32 v31, v20, v22
	ds_load_2addr_b32 v[19:20], v0 offset0:192 offset1:224
	ds_load_2addr_b32 v[21:22], v8 offset0:192 offset1:224
	s_wait_dscnt 0x4
	v_fmac_f32_e32 v31, v23, v25
	v_fmac_f32_e32 v31, v24, v26
	ds_load_2addr_b32 v[23:24], v12 offset1:32
	ds_load_2addr_b32 v[25:26], v13 offset1:32
	s_wait_dscnt 0x4
	v_fmac_f32_e32 v31, v27, v29
	s_delay_alu instid0(VALU_DEP_1) | instskip(SKIP_4) | instid1(VALU_DEP_1)
	v_fmac_f32_e32 v31, v28, v30
	ds_load_2addr_b32 v[27:28], v12 offset0:64 offset1:96
	ds_load_2addr_b32 v[29:30], v13 offset0:64 offset1:96
	s_wait_dscnt 0x4
	v_fmac_f32_e32 v31, v19, v21
	v_fmac_f32_e32 v31, v20, v22
	ds_load_2addr_b32 v[19:20], v12 offset0:128 offset1:160
	ds_load_2addr_b32 v[21:22], v13 offset0:128 offset1:160
	s_wait_dscnt 0x4
	v_fmac_f32_e32 v31, v23, v25
	s_delay_alu instid0(VALU_DEP_1) | instskip(SKIP_4) | instid1(VALU_DEP_1)
	v_fmac_f32_e32 v31, v24, v26
	ds_load_2addr_b32 v[23:24], v12 offset0:192 offset1:224
	ds_load_2addr_b32 v[25:26], v13 offset0:192 offset1:224
	s_wait_dscnt 0x4
	v_fmac_f32_e32 v31, v27, v29
	v_fmac_f32_e32 v31, v28, v30
	ds_load_2addr_b32 v[27:28], v14 offset1:32
	ds_load_2addr_b32 v[29:30], v15 offset1:32
	s_wait_dscnt 0x4
	v_fmac_f32_e32 v31, v19, v21
	s_delay_alu instid0(VALU_DEP_1) | instskip(SKIP_4) | instid1(VALU_DEP_1)
	v_fmac_f32_e32 v31, v20, v22
	ds_load_2addr_b32 v[19:20], v14 offset0:64 offset1:96
	ds_load_2addr_b32 v[21:22], v15 offset0:64 offset1:96
	s_wait_dscnt 0x4
	v_fmac_f32_e32 v31, v23, v25
	v_fmac_f32_e32 v31, v24, v26
	ds_load_2addr_b32 v[23:24], v14 offset0:128 offset1:160
	ds_load_2addr_b32 v[25:26], v15 offset0:128 offset1:160
	s_wait_dscnt 0x4
	v_fmac_f32_e32 v31, v27, v29
	;; [unrolled: 22-line block ×3, first 2 shown]
	s_delay_alu instid0(VALU_DEP_1) | instskip(SKIP_4) | instid1(VALU_DEP_1)
	v_fmac_f32_e32 v31, v20, v22
	ds_load_2addr_b32 v[19:20], v16 offset0:192 offset1:224
	ds_load_2addr_b32 v[21:22], v17 offset0:192 offset1:224
	s_wait_dscnt 0x4
	v_fmac_f32_e32 v31, v23, v25
	v_fmac_f32_e32 v31, v24, v26
	s_wait_dscnt 0x2
	s_delay_alu instid0(VALU_DEP_1) | instskip(NEXT) | instid1(VALU_DEP_1)
	v_fmac_f32_e32 v31, v27, v29
	v_fmac_f32_e32 v31, v28, v30
	s_wait_dscnt 0x0
	s_delay_alu instid0(VALU_DEP_1) | instskip(NEXT) | instid1(VALU_DEP_1)
	v_fmac_f32_e32 v31, v19, v21
	v_fmac_f32_e32 v31, v20, v22
	s_delay_alu instid0(VALU_DEP_1)
	v_mul_f32_e32 v20, v18, v31
	s_wait_alu 0xfffe
	v_add_co_u32 v18, vcc_lo, v9, s16
	s_wait_alu 0xfffd
	v_add_co_ci_u32_e64 v19, null, s17, v10, vcc_lo
	global_store_b32 v[18:19], v20, off
	s_branch .LBB32_2
.LBB32_19:
	s_endpgm
	.section	.rodata,"a",@progbits
	.p2align	6, 0x0
	.amdhsa_kernel _ZL23rocblas_trmm_rTx_kernelILi32ELb0EfPKfS0_fEv13rocblas_fill_17rocblas_diagonal_iiT2_lPT3_llS6_llPT4_lli
		.amdhsa_group_segment_fixed_size 8192
		.amdhsa_private_segment_fixed_size 0
		.amdhsa_kernarg_size 108
		.amdhsa_user_sgpr_count 2
		.amdhsa_user_sgpr_dispatch_ptr 0
		.amdhsa_user_sgpr_queue_ptr 0
		.amdhsa_user_sgpr_kernarg_segment_ptr 1
		.amdhsa_user_sgpr_dispatch_id 0
		.amdhsa_user_sgpr_private_segment_size 0
		.amdhsa_wavefront_size32 1
		.amdhsa_uses_dynamic_stack 0
		.amdhsa_enable_private_segment 0
		.amdhsa_system_sgpr_workgroup_id_x 1
		.amdhsa_system_sgpr_workgroup_id_y 0
		.amdhsa_system_sgpr_workgroup_id_z 1
		.amdhsa_system_sgpr_workgroup_info 0
		.amdhsa_system_vgpr_workitem_id 1
		.amdhsa_next_free_vgpr 32
		.amdhsa_next_free_sgpr 31
		.amdhsa_reserve_vcc 1
		.amdhsa_float_round_mode_32 0
		.amdhsa_float_round_mode_16_64 0
		.amdhsa_float_denorm_mode_32 3
		.amdhsa_float_denorm_mode_16_64 3
		.amdhsa_fp16_overflow 0
		.amdhsa_workgroup_processor_mode 1
		.amdhsa_memory_ordered 1
		.amdhsa_forward_progress 1
		.amdhsa_inst_pref_size 12
		.amdhsa_round_robin_scheduling 0
		.amdhsa_exception_fp_ieee_invalid_op 0
		.amdhsa_exception_fp_denorm_src 0
		.amdhsa_exception_fp_ieee_div_zero 0
		.amdhsa_exception_fp_ieee_overflow 0
		.amdhsa_exception_fp_ieee_underflow 0
		.amdhsa_exception_fp_ieee_inexact 0
		.amdhsa_exception_int_div_zero 0
	.end_amdhsa_kernel
	.section	.text._ZL23rocblas_trmm_rTx_kernelILi32ELb0EfPKfS0_fEv13rocblas_fill_17rocblas_diagonal_iiT2_lPT3_llS6_llPT4_lli,"axG",@progbits,_ZL23rocblas_trmm_rTx_kernelILi32ELb0EfPKfS0_fEv13rocblas_fill_17rocblas_diagonal_iiT2_lPT3_llS6_llPT4_lli,comdat
.Lfunc_end32:
	.size	_ZL23rocblas_trmm_rTx_kernelILi32ELb0EfPKfS0_fEv13rocblas_fill_17rocblas_diagonal_iiT2_lPT3_llS6_llPT4_lli, .Lfunc_end32-_ZL23rocblas_trmm_rTx_kernelILi32ELb0EfPKfS0_fEv13rocblas_fill_17rocblas_diagonal_iiT2_lPT3_llS6_llPT4_lli
                                        ; -- End function
	.set _ZL23rocblas_trmm_rTx_kernelILi32ELb0EfPKfS0_fEv13rocblas_fill_17rocblas_diagonal_iiT2_lPT3_llS6_llPT4_lli.num_vgpr, 32
	.set _ZL23rocblas_trmm_rTx_kernelILi32ELb0EfPKfS0_fEv13rocblas_fill_17rocblas_diagonal_iiT2_lPT3_llS6_llPT4_lli.num_agpr, 0
	.set _ZL23rocblas_trmm_rTx_kernelILi32ELb0EfPKfS0_fEv13rocblas_fill_17rocblas_diagonal_iiT2_lPT3_llS6_llPT4_lli.numbered_sgpr, 31
	.set _ZL23rocblas_trmm_rTx_kernelILi32ELb0EfPKfS0_fEv13rocblas_fill_17rocblas_diagonal_iiT2_lPT3_llS6_llPT4_lli.num_named_barrier, 0
	.set _ZL23rocblas_trmm_rTx_kernelILi32ELb0EfPKfS0_fEv13rocblas_fill_17rocblas_diagonal_iiT2_lPT3_llS6_llPT4_lli.private_seg_size, 0
	.set _ZL23rocblas_trmm_rTx_kernelILi32ELb0EfPKfS0_fEv13rocblas_fill_17rocblas_diagonal_iiT2_lPT3_llS6_llPT4_lli.uses_vcc, 1
	.set _ZL23rocblas_trmm_rTx_kernelILi32ELb0EfPKfS0_fEv13rocblas_fill_17rocblas_diagonal_iiT2_lPT3_llS6_llPT4_lli.uses_flat_scratch, 0
	.set _ZL23rocblas_trmm_rTx_kernelILi32ELb0EfPKfS0_fEv13rocblas_fill_17rocblas_diagonal_iiT2_lPT3_llS6_llPT4_lli.has_dyn_sized_stack, 0
	.set _ZL23rocblas_trmm_rTx_kernelILi32ELb0EfPKfS0_fEv13rocblas_fill_17rocblas_diagonal_iiT2_lPT3_llS6_llPT4_lli.has_recursion, 0
	.set _ZL23rocblas_trmm_rTx_kernelILi32ELb0EfPKfS0_fEv13rocblas_fill_17rocblas_diagonal_iiT2_lPT3_llS6_llPT4_lli.has_indirect_call, 0
	.section	.AMDGPU.csdata,"",@progbits
; Kernel info:
; codeLenInByte = 1504
; TotalNumSgprs: 33
; NumVgprs: 32
; ScratchSize: 0
; MemoryBound: 0
; FloatMode: 240
; IeeeMode: 1
; LDSByteSize: 8192 bytes/workgroup (compile time only)
; SGPRBlocks: 0
; VGPRBlocks: 3
; NumSGPRsForWavesPerEU: 33
; NumVGPRsForWavesPerEU: 32
; Occupancy: 16
; WaveLimiterHint : 0
; COMPUTE_PGM_RSRC2:SCRATCH_EN: 0
; COMPUTE_PGM_RSRC2:USER_SGPR: 2
; COMPUTE_PGM_RSRC2:TRAP_HANDLER: 0
; COMPUTE_PGM_RSRC2:TGID_X_EN: 1
; COMPUTE_PGM_RSRC2:TGID_Y_EN: 0
; COMPUTE_PGM_RSRC2:TGID_Z_EN: 1
; COMPUTE_PGM_RSRC2:TIDIG_COMP_CNT: 1
	.section	.text._ZL23rocblas_trmm_rTx_kernelILi32ELb0EffKffEv13rocblas_fill_17rocblas_diagonal_iiT2_lPT3_llS5_llPT4_lli,"axG",@progbits,_ZL23rocblas_trmm_rTx_kernelILi32ELb0EffKffEv13rocblas_fill_17rocblas_diagonal_iiT2_lPT3_llS5_llPT4_lli,comdat
	.globl	_ZL23rocblas_trmm_rTx_kernelILi32ELb0EffKffEv13rocblas_fill_17rocblas_diagonal_iiT2_lPT3_llS5_llPT4_lli ; -- Begin function _ZL23rocblas_trmm_rTx_kernelILi32ELb0EffKffEv13rocblas_fill_17rocblas_diagonal_iiT2_lPT3_llS5_llPT4_lli
	.p2align	8
	.type	_ZL23rocblas_trmm_rTx_kernelILi32ELb0EffKffEv13rocblas_fill_17rocblas_diagonal_iiT2_lPT3_llS5_llPT4_lli,@function
_ZL23rocblas_trmm_rTx_kernelILi32ELb0EffKffEv13rocblas_fill_17rocblas_diagonal_iiT2_lPT3_llS5_llPT4_lli: ; @_ZL23rocblas_trmm_rTx_kernelILi32ELb0EffKffEv13rocblas_fill_17rocblas_diagonal_iiT2_lPT3_llS5_llPT4_lli
; %bb.0:
	s_load_b32 s26, s[0:1], 0x68
	s_lshr_b32 s2, ttmp7, 16
	s_wait_kmcnt 0x0
	s_cmp_ge_u32 s2, s26
	s_cbranch_scc1 .LBB33_19
; %bb.1:
	s_clause 0x3
	s_load_b32 s27, s[0:1], 0x10
	s_load_b512 s[4:19], s[0:1], 0x20
	s_load_b128 s[20:23], s[0:1], 0x0
	s_load_b64 s[24:25], s[0:1], 0x60
	v_bfe_u32 v16, v0, 10, 10
	v_dual_mov_b32 v1, 0 :: v_dual_and_b32 v0, 0x3ff, v0
	s_delay_alu instid0(VALU_DEP_1)
	v_lshlrev_b64_e32 v[9:10], 2, v[0:1]
	s_wait_kmcnt 0x0
	s_cmp_neq_f32 s27, 0
	v_mad_co_u64_u32 v[11:12], null, s18, v16, 0
	v_mad_co_u64_u32 v[4:5], null, s6, v16, 0
	;; [unrolled: 1-line block ×3, first 2 shown]
	s_cselect_b32 s6, -1, 0
	s_add_co_i32 s1, s22, -1
	v_mov_b32_e32 v8, v12
	s_ashr_i32 s3, s1, 31
	v_cmp_gt_i32_e32 vcc_lo, s23, v16
	s_lshr_b32 s3, s3, 27
	v_mad_co_u64_u32 v[12:13], null, s7, v16, v[5:6]
	v_mad_co_u64_u32 v[13:14], null, s13, v16, v[7:8]
	s_add_co_i32 s1, s1, s3
	v_lshlrev_b32_e32 v2, 5, v16
	s_ashr_i32 s3, s1, 5
	s_and_not1_b32 s1, s1, 31
	v_mov_b32_e32 v5, v12
	s_sub_co_i32 s1, s22, s1
	v_mov_b32_e32 v7, v13
	v_cmp_gt_i32_e64 s0, s23, v0
	s_cmp_ge_i32 ttmp9, s3
	v_mad_co_u64_u32 v[14:15], null, s19, v16, v[8:9]
	s_cselect_b32 s1, s1, 32
	s_lshl_b32 s12, ttmp9, 5
	v_add_lshl_u32 v2, v2, v0, 2
	s_wait_alu 0xfffe
	s_ashr_i32 s13, s12, 31
	v_lshlrev_b64_e32 v[4:5], 2, v[4:5]
	v_lshlrev_b64_e32 v[6:7], 2, v[6:7]
	s_and_b32 s7, vcc_lo, s0
	v_cmp_gt_i32_e64 s0, s1, v0
	s_wait_alu 0xfffe
	s_lshl_b64 s[12:13], s[12:13], 2
	v_dual_mov_b32 v12, v14 :: v_dual_add_nc_u32 v3, 0x1000, v2
	s_wait_alu 0xfffe
	s_add_nc_u64 s[10:11], s[10:11], s[12:13]
	v_add_co_u32 v4, s1, s4, v4
	s_and_b32 s4, vcc_lo, s0
	v_add_co_u32 v6, vcc_lo, s10, v6
	s_delay_alu instid0(VALU_DEP_1)
	v_add_co_ci_u32_e64 v7, null, s11, v7, vcc_lo
	v_lshlrev_b64_e32 v[11:12], 2, v[11:12]
	v_cmp_eq_u32_e32 vcc_lo, v16, v0
	s_cmp_eq_u32 s21, 0x84
	v_add_co_u32 v6, s0, v6, v9
	v_add_co_ci_u32_e64 v5, null, s5, v5, s1
	s_add_nc_u64 s[12:13], s[16:17], s[12:13]
	v_add_co_ci_u32_e64 v7, null, v7, v10, s0
	s_cselect_b32 s0, -1, 0
	v_add_co_u32 v4, s1, v4, v9
	s_wait_alu 0xfffe
	s_and_b32 s5, vcc_lo, s0
	v_add_co_u32 v11, vcc_lo, s12, v11
	v_add_co_ci_u32_e64 v5, null, v5, v10, s1
	v_cmp_lt_u32_e64 s0, v0, v16
	v_cmp_gt_u32_e64 s1, v0, v16
	v_lshl_add_u32 v0, v0, 2, 0x1000
	s_wait_alu 0xfffd
	v_add_co_ci_u32_e64 v12, null, s13, v12, vcc_lo
	v_lshlrev_b32_e32 v8, 2, v16
	v_add_co_u32 v9, vcc_lo, v11, v9
	s_wait_alu 0xfffd
	s_delay_alu instid0(VALU_DEP_3)
	v_add_co_ci_u32_e64 v10, null, v12, v10, vcc_lo
	v_dual_mov_b32 v11, 1.0 :: v_dual_add_nc_u32 v12, 0x400, v0
	v_add_nc_u32_e32 v13, 0x400, v8
	v_add_nc_u32_e32 v14, 0x800, v0
	;; [unrolled: 1-line block ×5, first 2 shown]
	s_cmp_lg_u32 s20, 0x79
	s_mov_b32 s3, 0
	s_cselect_b32 s10, -1, 0
	s_branch .LBB33_4
.LBB33_2:                               ;   in Loop: Header=BB33_4 Depth=1
	s_wait_alu 0xfffe
	s_or_b32 exec_lo, exec_lo, s11
.LBB33_3:                               ;   in Loop: Header=BB33_4 Depth=1
	s_add_co_i32 s2, s2, 0x10000
	s_delay_alu instid0(SALU_CYCLE_1)
	s_cmp_lt_u32 s2, s26
	s_cbranch_scc0 .LBB33_19
.LBB33_4:                               ; =>This Inner Loop Header: Depth=1
	s_and_not1_b32 vcc_lo, exec_lo, s6
	s_wait_alu 0xfffe
	s_cbranch_vccnz .LBB33_3
; %bb.5:                                ;   in Loop: Header=BB33_4 Depth=1
	ds_store_b32 v2, v1
	ds_store_b32 v3, v1
	s_and_saveexec_b32 s11, s7
	s_cbranch_execnz .LBB33_10
; %bb.6:                                ;   in Loop: Header=BB33_4 Depth=1
	s_wait_alu 0xfffe
	s_or_b32 exec_lo, exec_lo, s11
	s_and_saveexec_b32 s11, s4
	s_cbranch_execnz .LBB33_11
.LBB33_7:                               ;   in Loop: Header=BB33_4 Depth=1
	s_wait_alu 0xfffe
	s_or_b32 exec_lo, exec_lo, s11
	s_and_saveexec_b32 s11, s5
	s_cbranch_execnz .LBB33_12
.LBB33_8:                               ;   in Loop: Header=BB33_4 Depth=1
	s_wait_alu 0xfffe
	s_or_b32 exec_lo, exec_lo, s11
	s_delay_alu instid0(SALU_CYCLE_1)
	s_and_b32 vcc_lo, exec_lo, s10
	s_wait_alu 0xfffe
	s_cbranch_vccz .LBB33_13
.LBB33_9:                               ;   in Loop: Header=BB33_4 Depth=1
	s_and_b32 s11, s0, exec_lo
	s_cbranch_execz .LBB33_14
	s_branch .LBB33_15
.LBB33_10:                              ;   in Loop: Header=BB33_4 Depth=1
	s_mul_u64 s[12:13], s[8:9], s[2:3]
	s_wait_alu 0xfffe
	s_lshl_b64 s[12:13], s[12:13], 2
	s_wait_alu 0xfffe
	v_add_co_u32 v18, vcc_lo, v4, s12
	s_wait_alu 0xfffd
	v_add_co_ci_u32_e64 v19, null, s13, v5, vcc_lo
	global_load_b32 v18, v[18:19], off
	s_wait_loadcnt 0x0
	ds_store_b32 v2, v18
	s_or_b32 exec_lo, exec_lo, s11
	s_and_saveexec_b32 s11, s4
	s_cbranch_execz .LBB33_7
.LBB33_11:                              ;   in Loop: Header=BB33_4 Depth=1
	s_mul_u64 s[12:13], s[14:15], s[2:3]
	s_wait_alu 0xfffe
	s_lshl_b64 s[12:13], s[12:13], 2
	s_wait_alu 0xfffe
	v_add_co_u32 v18, vcc_lo, v6, s12
	s_wait_alu 0xfffd
	v_add_co_ci_u32_e64 v19, null, s13, v7, vcc_lo
	global_load_b32 v18, v[18:19], off
	s_wait_loadcnt 0x0
	ds_store_b32 v3, v18
	s_or_b32 exec_lo, exec_lo, s11
	s_and_saveexec_b32 s11, s5
	s_cbranch_execz .LBB33_8
.LBB33_12:                              ;   in Loop: Header=BB33_4 Depth=1
	ds_store_b32 v2, v11
	s_wait_alu 0xfffe
	s_or_b32 exec_lo, exec_lo, s11
	s_delay_alu instid0(SALU_CYCLE_1)
	s_and_b32 vcc_lo, exec_lo, s10
	s_wait_alu 0xfffe
	s_cbranch_vccnz .LBB33_9
.LBB33_13:                              ;   in Loop: Header=BB33_4 Depth=1
	s_mov_b32 s11, 0
.LBB33_14:                              ;   in Loop: Header=BB33_4 Depth=1
	s_wait_alu 0xfffe
	s_and_not1_b32 s11, s11, exec_lo
	s_and_b32 s12, s1, exec_lo
	s_wait_alu 0xfffe
	s_or_b32 s11, s11, s12
.LBB33_15:                              ;   in Loop: Header=BB33_4 Depth=1
	s_wait_alu 0xfffe
	s_and_saveexec_b32 s12, s11
; %bb.16:                               ;   in Loop: Header=BB33_4 Depth=1
	ds_store_b32 v2, v1
; %bb.17:                               ;   in Loop: Header=BB33_4 Depth=1
	s_wait_alu 0xfffe
	s_or_b32 exec_lo, exec_lo, s12
	s_wait_dscnt 0x0
	s_barrier_signal -1
	s_barrier_wait -1
	global_inv scope:SCOPE_SE
	s_and_saveexec_b32 s11, s4
	s_cbranch_execz .LBB33_2
; %bb.18:                               ;   in Loop: Header=BB33_4 Depth=1
	ds_load_2addr_b32 v[18:19], v0 offset1:32
	ds_load_2addr_b32 v[20:21], v8 offset1:32
	ds_load_2addr_b32 v[22:23], v0 offset0:64 offset1:96
	ds_load_2addr_b32 v[24:25], v8 offset0:64 offset1:96
	;; [unrolled: 1-line block ×4, first 2 shown]
	s_mul_u64 s[12:13], s[24:25], s[2:3]
	s_wait_alu 0xfffe
	s_lshl_b64 s[12:13], s[12:13], 2
	s_wait_dscnt 0x4
	v_fma_f32 v30, v18, v20, 0
	s_delay_alu instid0(VALU_DEP_1) | instskip(SKIP_4) | instid1(VALU_DEP_1)
	v_fmac_f32_e32 v30, v19, v21
	ds_load_2addr_b32 v[18:19], v0 offset0:192 offset1:224
	ds_load_2addr_b32 v[20:21], v8 offset0:192 offset1:224
	s_wait_dscnt 0x4
	v_fmac_f32_e32 v30, v22, v24
	v_fmac_f32_e32 v30, v23, v25
	ds_load_2addr_b32 v[22:23], v12 offset1:32
	ds_load_2addr_b32 v[24:25], v13 offset1:32
	s_wait_dscnt 0x4
	v_fmac_f32_e32 v30, v26, v28
	s_delay_alu instid0(VALU_DEP_1) | instskip(SKIP_4) | instid1(VALU_DEP_1)
	v_fmac_f32_e32 v30, v27, v29
	ds_load_2addr_b32 v[26:27], v12 offset0:64 offset1:96
	ds_load_2addr_b32 v[28:29], v13 offset0:64 offset1:96
	s_wait_dscnt 0x4
	v_fmac_f32_e32 v30, v18, v20
	v_fmac_f32_e32 v30, v19, v21
	ds_load_2addr_b32 v[18:19], v12 offset0:128 offset1:160
	ds_load_2addr_b32 v[20:21], v13 offset0:128 offset1:160
	s_wait_dscnt 0x4
	v_fmac_f32_e32 v30, v22, v24
	s_delay_alu instid0(VALU_DEP_1) | instskip(SKIP_4) | instid1(VALU_DEP_1)
	v_fmac_f32_e32 v30, v23, v25
	ds_load_2addr_b32 v[22:23], v12 offset0:192 offset1:224
	ds_load_2addr_b32 v[24:25], v13 offset0:192 offset1:224
	s_wait_dscnt 0x4
	v_fmac_f32_e32 v30, v26, v28
	v_fmac_f32_e32 v30, v27, v29
	ds_load_2addr_b32 v[26:27], v14 offset1:32
	ds_load_2addr_b32 v[28:29], v15 offset1:32
	s_wait_dscnt 0x4
	v_fmac_f32_e32 v30, v18, v20
	s_delay_alu instid0(VALU_DEP_1) | instskip(SKIP_4) | instid1(VALU_DEP_1)
	v_fmac_f32_e32 v30, v19, v21
	ds_load_2addr_b32 v[18:19], v14 offset0:64 offset1:96
	ds_load_2addr_b32 v[20:21], v15 offset0:64 offset1:96
	s_wait_dscnt 0x4
	v_fmac_f32_e32 v30, v22, v24
	v_fmac_f32_e32 v30, v23, v25
	ds_load_2addr_b32 v[22:23], v14 offset0:128 offset1:160
	ds_load_2addr_b32 v[24:25], v15 offset0:128 offset1:160
	s_wait_dscnt 0x4
	v_fmac_f32_e32 v30, v26, v28
	;; [unrolled: 22-line block ×3, first 2 shown]
	s_delay_alu instid0(VALU_DEP_1) | instskip(SKIP_4) | instid1(VALU_DEP_1)
	v_fmac_f32_e32 v30, v19, v21
	ds_load_2addr_b32 v[18:19], v16 offset0:192 offset1:224
	ds_load_2addr_b32 v[20:21], v17 offset0:192 offset1:224
	s_wait_dscnt 0x4
	v_fmac_f32_e32 v30, v22, v24
	v_fmac_f32_e32 v30, v23, v25
	s_wait_dscnt 0x2
	s_delay_alu instid0(VALU_DEP_1) | instskip(NEXT) | instid1(VALU_DEP_1)
	v_fmac_f32_e32 v30, v26, v28
	v_fmac_f32_e32 v30, v27, v29
	s_wait_dscnt 0x0
	s_delay_alu instid0(VALU_DEP_1) | instskip(SKIP_2) | instid1(VALU_DEP_2)
	v_fmac_f32_e32 v30, v18, v20
	s_wait_alu 0xfffe
	v_add_co_u32 v18, vcc_lo, v9, s12
	v_fmac_f32_e32 v30, v19, v21
	s_wait_alu 0xfffd
	v_add_co_ci_u32_e64 v19, null, s13, v10, vcc_lo
	s_delay_alu instid0(VALU_DEP_2)
	v_mul_f32_e32 v20, s27, v30
	global_store_b32 v[18:19], v20, off
	s_branch .LBB33_2
.LBB33_19:
	s_endpgm
	.section	.rodata,"a",@progbits
	.p2align	6, 0x0
	.amdhsa_kernel _ZL23rocblas_trmm_rTx_kernelILi32ELb0EffKffEv13rocblas_fill_17rocblas_diagonal_iiT2_lPT3_llS5_llPT4_lli
		.amdhsa_group_segment_fixed_size 8192
		.amdhsa_private_segment_fixed_size 0
		.amdhsa_kernarg_size 108
		.amdhsa_user_sgpr_count 2
		.amdhsa_user_sgpr_dispatch_ptr 0
		.amdhsa_user_sgpr_queue_ptr 0
		.amdhsa_user_sgpr_kernarg_segment_ptr 1
		.amdhsa_user_sgpr_dispatch_id 0
		.amdhsa_user_sgpr_private_segment_size 0
		.amdhsa_wavefront_size32 1
		.amdhsa_uses_dynamic_stack 0
		.amdhsa_enable_private_segment 0
		.amdhsa_system_sgpr_workgroup_id_x 1
		.amdhsa_system_sgpr_workgroup_id_y 0
		.amdhsa_system_sgpr_workgroup_id_z 1
		.amdhsa_system_sgpr_workgroup_info 0
		.amdhsa_system_vgpr_workitem_id 1
		.amdhsa_next_free_vgpr 31
		.amdhsa_next_free_sgpr 28
		.amdhsa_reserve_vcc 1
		.amdhsa_float_round_mode_32 0
		.amdhsa_float_round_mode_16_64 0
		.amdhsa_float_denorm_mode_32 3
		.amdhsa_float_denorm_mode_16_64 3
		.amdhsa_fp16_overflow 0
		.amdhsa_workgroup_processor_mode 1
		.amdhsa_memory_ordered 1
		.amdhsa_forward_progress 1
		.amdhsa_inst_pref_size 12
		.amdhsa_round_robin_scheduling 0
		.amdhsa_exception_fp_ieee_invalid_op 0
		.amdhsa_exception_fp_denorm_src 0
		.amdhsa_exception_fp_ieee_div_zero 0
		.amdhsa_exception_fp_ieee_overflow 0
		.amdhsa_exception_fp_ieee_underflow 0
		.amdhsa_exception_fp_ieee_inexact 0
		.amdhsa_exception_int_div_zero 0
	.end_amdhsa_kernel
	.section	.text._ZL23rocblas_trmm_rTx_kernelILi32ELb0EffKffEv13rocblas_fill_17rocblas_diagonal_iiT2_lPT3_llS5_llPT4_lli,"axG",@progbits,_ZL23rocblas_trmm_rTx_kernelILi32ELb0EffKffEv13rocblas_fill_17rocblas_diagonal_iiT2_lPT3_llS5_llPT4_lli,comdat
.Lfunc_end33:
	.size	_ZL23rocblas_trmm_rTx_kernelILi32ELb0EffKffEv13rocblas_fill_17rocblas_diagonal_iiT2_lPT3_llS5_llPT4_lli, .Lfunc_end33-_ZL23rocblas_trmm_rTx_kernelILi32ELb0EffKffEv13rocblas_fill_17rocblas_diagonal_iiT2_lPT3_llS5_llPT4_lli
                                        ; -- End function
	.set _ZL23rocblas_trmm_rTx_kernelILi32ELb0EffKffEv13rocblas_fill_17rocblas_diagonal_iiT2_lPT3_llS5_llPT4_lli.num_vgpr, 31
	.set _ZL23rocblas_trmm_rTx_kernelILi32ELb0EffKffEv13rocblas_fill_17rocblas_diagonal_iiT2_lPT3_llS5_llPT4_lli.num_agpr, 0
	.set _ZL23rocblas_trmm_rTx_kernelILi32ELb0EffKffEv13rocblas_fill_17rocblas_diagonal_iiT2_lPT3_llS5_llPT4_lli.numbered_sgpr, 28
	.set _ZL23rocblas_trmm_rTx_kernelILi32ELb0EffKffEv13rocblas_fill_17rocblas_diagonal_iiT2_lPT3_llS5_llPT4_lli.num_named_barrier, 0
	.set _ZL23rocblas_trmm_rTx_kernelILi32ELb0EffKffEv13rocblas_fill_17rocblas_diagonal_iiT2_lPT3_llS5_llPT4_lli.private_seg_size, 0
	.set _ZL23rocblas_trmm_rTx_kernelILi32ELb0EffKffEv13rocblas_fill_17rocblas_diagonal_iiT2_lPT3_llS5_llPT4_lli.uses_vcc, 1
	.set _ZL23rocblas_trmm_rTx_kernelILi32ELb0EffKffEv13rocblas_fill_17rocblas_diagonal_iiT2_lPT3_llS5_llPT4_lli.uses_flat_scratch, 0
	.set _ZL23rocblas_trmm_rTx_kernelILi32ELb0EffKffEv13rocblas_fill_17rocblas_diagonal_iiT2_lPT3_llS5_llPT4_lli.has_dyn_sized_stack, 0
	.set _ZL23rocblas_trmm_rTx_kernelILi32ELb0EffKffEv13rocblas_fill_17rocblas_diagonal_iiT2_lPT3_llS5_llPT4_lli.has_recursion, 0
	.set _ZL23rocblas_trmm_rTx_kernelILi32ELb0EffKffEv13rocblas_fill_17rocblas_diagonal_iiT2_lPT3_llS5_llPT4_lli.has_indirect_call, 0
	.section	.AMDGPU.csdata,"",@progbits
; Kernel info:
; codeLenInByte = 1472
; TotalNumSgprs: 30
; NumVgprs: 31
; ScratchSize: 0
; MemoryBound: 0
; FloatMode: 240
; IeeeMode: 1
; LDSByteSize: 8192 bytes/workgroup (compile time only)
; SGPRBlocks: 0
; VGPRBlocks: 3
; NumSGPRsForWavesPerEU: 30
; NumVGPRsForWavesPerEU: 31
; Occupancy: 16
; WaveLimiterHint : 0
; COMPUTE_PGM_RSRC2:SCRATCH_EN: 0
; COMPUTE_PGM_RSRC2:USER_SGPR: 2
; COMPUTE_PGM_RSRC2:TRAP_HANDLER: 0
; COMPUTE_PGM_RSRC2:TGID_X_EN: 1
; COMPUTE_PGM_RSRC2:TGID_Y_EN: 0
; COMPUTE_PGM_RSRC2:TGID_Z_EN: 1
; COMPUTE_PGM_RSRC2:TIDIG_COMP_CNT: 1
	.section	.text._ZL23rocblas_trmm_rTx_kernelILi32ELb1EfPKfS0_fEv13rocblas_fill_17rocblas_diagonal_iiT2_lPT3_llS6_llPT4_lli,"axG",@progbits,_ZL23rocblas_trmm_rTx_kernelILi32ELb1EfPKfS0_fEv13rocblas_fill_17rocblas_diagonal_iiT2_lPT3_llS6_llPT4_lli,comdat
	.globl	_ZL23rocblas_trmm_rTx_kernelILi32ELb1EfPKfS0_fEv13rocblas_fill_17rocblas_diagonal_iiT2_lPT3_llS6_llPT4_lli ; -- Begin function _ZL23rocblas_trmm_rTx_kernelILi32ELb1EfPKfS0_fEv13rocblas_fill_17rocblas_diagonal_iiT2_lPT3_llS6_llPT4_lli
	.p2align	8
	.type	_ZL23rocblas_trmm_rTx_kernelILi32ELb1EfPKfS0_fEv13rocblas_fill_17rocblas_diagonal_iiT2_lPT3_llS6_llPT4_lli,@function
_ZL23rocblas_trmm_rTx_kernelILi32ELb1EfPKfS0_fEv13rocblas_fill_17rocblas_diagonal_iiT2_lPT3_llS6_llPT4_lli: ; @_ZL23rocblas_trmm_rTx_kernelILi32ELb1EfPKfS0_fEv13rocblas_fill_17rocblas_diagonal_iiT2_lPT3_llS6_llPT4_lli
; %bb.0:
	s_load_b32 s30, s[0:1], 0x68
	s_lshr_b32 s2, ttmp7, 16
	s_wait_kmcnt 0x0
	s_cmp_ge_u32 s2, s30
	s_cbranch_scc1 .LBB34_19
; %bb.1:
	s_clause 0x3
	s_load_b128 s[20:23], s[0:1], 0x0
	s_load_b512 s[4:19], s[0:1], 0x10
	s_load_b128 s[24:27], s[0:1], 0x50
	s_load_b64 s[28:29], s[0:1], 0x60
	v_bfe_u32 v16, v0, 10, 10
	v_dual_mov_b32 v1, 0 :: v_dual_and_b32 v0, 0x3ff, v0
	s_delay_alu instid0(VALU_DEP_1)
	v_lshlrev_b64_e32 v[9:10], 2, v[0:1]
	s_wait_kmcnt 0x0
	s_add_co_i32 s0, s22, -1
	v_mad_co_u64_u32 v[4:5], null, s10, v16, 0
	v_mad_co_u64_u32 v[6:7], null, s16, v16, 0
	;; [unrolled: 1-line block ×3, first 2 shown]
	s_ashr_i32 s1, s0, 31
	v_cmp_gt_i32_e32 vcc_lo, s23, v16
	s_lshr_b32 s1, s1, 27
	s_delay_alu instid0(SALU_CYCLE_1)
	s_add_co_i32 s1, s0, s1
	v_cmp_gt_i32_e64 s0, s23, v0
	v_mov_b32_e32 v8, v12
	v_mad_co_u64_u32 v[12:13], null, s11, v16, v[5:6]
	s_ashr_i32 s3, s1, 5
	s_and_not1_b32 s1, s1, 31
	v_mad_co_u64_u32 v[13:14], null, s17, v16, v[7:8]
	v_lshlrev_b32_e32 v2, 5, v16
	s_sub_co_i32 s1, s22, s1
	v_mov_b32_e32 v5, v12
	s_cmp_ge_i32 ttmp9, s3
	s_mov_b32 s3, 0
	s_cselect_b32 s1, s1, 32
	s_and_b32 s10, vcc_lo, s0
	v_lshlrev_b64_e32 v[4:5], 2, v[4:5]
	v_cmp_gt_i32_e64 s0, s1, v0
	v_mov_b32_e32 v7, v13
	v_mad_co_u64_u32 v[14:15], null, s27, v16, v[8:9]
	v_add_lshl_u32 v2, v2, v0, 2
	s_lshl_b32 s16, ttmp9, 5
	s_and_b32 s11, vcc_lo, s0
	v_add_co_u32 v4, vcc_lo, s8, v4
	s_wait_alu 0xfffe
	s_ashr_i32 s17, s16, 31
	v_lshlrev_b64_e32 v[6:7], 2, v[6:7]
	v_add_co_ci_u32_e64 v5, null, s9, v5, vcc_lo
	v_dual_mov_b32 v12, v14 :: v_dual_add_nc_u32 v3, 0x1000, v2
	s_wait_alu 0xfffe
	s_lshl_b64 s[16:17], s[16:17], 2
	v_add_co_u32 v4, vcc_lo, v4, v9
	s_wait_alu 0xfffe
	s_add_nc_u64 s[14:15], s[14:15], s[16:17]
	s_wait_alu 0xfffd
	v_add_co_ci_u32_e64 v5, null, v5, v10, vcc_lo
	v_add_co_u32 v6, vcc_lo, s14, v6
	v_lshlrev_b64_e32 v[11:12], 2, v[11:12]
	s_wait_alu 0xfffd
	v_add_co_ci_u32_e64 v7, null, s15, v7, vcc_lo
	v_cmp_eq_u32_e32 vcc_lo, v16, v0
	s_cmp_eq_u32 s21, 0x84
	s_add_nc_u64 s[16:17], s[24:25], s[16:17]
	s_cselect_b32 s1, -1, 0
	v_add_co_u32 v6, s0, v6, v9
	s_wait_alu 0xfffe
	s_and_b32 s8, vcc_lo, s1
	v_add_co_u32 v11, vcc_lo, s16, v11
	v_add_co_ci_u32_e64 v7, null, v7, v10, s0
	v_cmp_lt_u32_e64 s0, v0, v16
	v_cmp_gt_u32_e64 s1, v0, v16
	v_lshl_add_u32 v0, v0, 2, 0x1000
	s_wait_alu 0xfffd
	v_add_co_ci_u32_e64 v12, null, s17, v12, vcc_lo
	v_lshlrev_b32_e32 v8, 2, v16
	v_add_co_u32 v9, vcc_lo, v11, v9
	s_wait_alu 0xfffd
	s_delay_alu instid0(VALU_DEP_3)
	v_add_co_ci_u32_e64 v10, null, v12, v10, vcc_lo
	v_dual_mov_b32 v11, 1.0 :: v_dual_add_nc_u32 v12, 0x400, v0
	v_add_nc_u32_e32 v13, 0x400, v8
	v_add_nc_u32_e32 v14, 0x800, v0
	;; [unrolled: 1-line block ×5, first 2 shown]
	s_cmp_lg_u32 s20, 0x79
	s_cselect_b32 s9, -1, 0
	s_branch .LBB34_4
.LBB34_2:                               ;   in Loop: Header=BB34_4 Depth=1
	s_wait_alu 0xfffe
	s_or_b32 exec_lo, exec_lo, s14
.LBB34_3:                               ;   in Loop: Header=BB34_4 Depth=1
	s_add_co_i32 s2, s2, 0x10000
	s_delay_alu instid0(SALU_CYCLE_1)
	s_cmp_lt_u32 s2, s30
	s_cbranch_scc0 .LBB34_19
.LBB34_4:                               ; =>This Inner Loop Header: Depth=1
	s_mul_u64 s[14:15], s[6:7], s[2:3]
	s_wait_alu 0xfffe
	s_lshl_b64 s[14:15], s[14:15], 2
	s_wait_alu 0xfffe
	s_add_nc_u64 s[14:15], s[4:5], s[14:15]
	global_load_b32 v18, v1, s[14:15]
	s_wait_loadcnt 0x0
	v_cmp_eq_f32_e32 vcc_lo, 0, v18
	s_cbranch_vccnz .LBB34_3
; %bb.5:                                ;   in Loop: Header=BB34_4 Depth=1
	ds_store_b32 v2, v1
	ds_store_b32 v3, v1
	s_and_saveexec_b32 s14, s10
	s_cbranch_execnz .LBB34_10
; %bb.6:                                ;   in Loop: Header=BB34_4 Depth=1
	s_wait_alu 0xfffe
	s_or_b32 exec_lo, exec_lo, s14
	s_and_saveexec_b32 s14, s11
	s_cbranch_execnz .LBB34_11
.LBB34_7:                               ;   in Loop: Header=BB34_4 Depth=1
	s_wait_alu 0xfffe
	s_or_b32 exec_lo, exec_lo, s14
	s_and_saveexec_b32 s14, s8
	s_cbranch_execnz .LBB34_12
.LBB34_8:                               ;   in Loop: Header=BB34_4 Depth=1
	s_wait_alu 0xfffe
	s_or_b32 exec_lo, exec_lo, s14
	s_delay_alu instid0(SALU_CYCLE_1)
	s_and_b32 vcc_lo, exec_lo, s9
	s_wait_alu 0xfffe
	s_cbranch_vccz .LBB34_13
.LBB34_9:                               ;   in Loop: Header=BB34_4 Depth=1
	s_and_b32 s14, s0, exec_lo
	s_cbranch_execz .LBB34_14
	s_branch .LBB34_15
.LBB34_10:                              ;   in Loop: Header=BB34_4 Depth=1
	s_mul_u64 s[16:17], s[12:13], s[2:3]
	s_wait_alu 0xfffe
	s_lshl_b64 s[16:17], s[16:17], 2
	s_wait_alu 0xfffe
	v_add_co_u32 v19, vcc_lo, v4, s16
	s_wait_alu 0xfffd
	v_add_co_ci_u32_e64 v20, null, s17, v5, vcc_lo
	global_load_b32 v19, v[19:20], off
	s_wait_loadcnt 0x0
	ds_store_b32 v2, v19
	s_or_b32 exec_lo, exec_lo, s14
	s_and_saveexec_b32 s14, s11
	s_cbranch_execz .LBB34_7
.LBB34_11:                              ;   in Loop: Header=BB34_4 Depth=1
	s_mul_u64 s[16:17], s[18:19], s[2:3]
	s_wait_alu 0xfffe
	s_lshl_b64 s[16:17], s[16:17], 2
	s_wait_alu 0xfffe
	v_add_co_u32 v19, vcc_lo, v6, s16
	s_wait_alu 0xfffd
	v_add_co_ci_u32_e64 v20, null, s17, v7, vcc_lo
	global_load_b32 v19, v[19:20], off
	s_wait_loadcnt 0x0
	ds_store_b32 v3, v19
	s_or_b32 exec_lo, exec_lo, s14
	s_and_saveexec_b32 s14, s8
	s_cbranch_execz .LBB34_8
.LBB34_12:                              ;   in Loop: Header=BB34_4 Depth=1
	ds_store_b32 v2, v11
	s_wait_alu 0xfffe
	s_or_b32 exec_lo, exec_lo, s14
	s_delay_alu instid0(SALU_CYCLE_1)
	s_and_b32 vcc_lo, exec_lo, s9
	s_wait_alu 0xfffe
	s_cbranch_vccnz .LBB34_9
.LBB34_13:                              ;   in Loop: Header=BB34_4 Depth=1
	s_mov_b32 s14, 0
.LBB34_14:                              ;   in Loop: Header=BB34_4 Depth=1
	s_wait_alu 0xfffe
	s_and_not1_b32 s14, s14, exec_lo
	s_and_b32 s15, s1, exec_lo
	s_wait_alu 0xfffe
	s_or_b32 s14, s14, s15
.LBB34_15:                              ;   in Loop: Header=BB34_4 Depth=1
	s_wait_alu 0xfffe
	s_and_saveexec_b32 s15, s14
; %bb.16:                               ;   in Loop: Header=BB34_4 Depth=1
	ds_store_b32 v2, v1
; %bb.17:                               ;   in Loop: Header=BB34_4 Depth=1
	s_wait_alu 0xfffe
	s_or_b32 exec_lo, exec_lo, s15
	s_wait_dscnt 0x0
	s_barrier_signal -1
	s_barrier_wait -1
	global_inv scope:SCOPE_SE
	s_and_saveexec_b32 s14, s11
	s_cbranch_execz .LBB34_2
; %bb.18:                               ;   in Loop: Header=BB34_4 Depth=1
	ds_load_2addr_b32 v[19:20], v0 offset1:32
	ds_load_2addr_b32 v[21:22], v8 offset1:32
	ds_load_2addr_b32 v[23:24], v0 offset0:64 offset1:96
	ds_load_2addr_b32 v[25:26], v8 offset0:64 offset1:96
	;; [unrolled: 1-line block ×4, first 2 shown]
	s_mul_u64 s[16:17], s[28:29], s[2:3]
	s_wait_alu 0xfffe
	s_lshl_b64 s[16:17], s[16:17], 2
	s_wait_dscnt 0x4
	v_fma_f32 v31, v19, v21, 0
	s_delay_alu instid0(VALU_DEP_1) | instskip(SKIP_4) | instid1(VALU_DEP_1)
	v_fmac_f32_e32 v31, v20, v22
	ds_load_2addr_b32 v[19:20], v0 offset0:192 offset1:224
	ds_load_2addr_b32 v[21:22], v8 offset0:192 offset1:224
	s_wait_dscnt 0x4
	v_fmac_f32_e32 v31, v23, v25
	v_fmac_f32_e32 v31, v24, v26
	ds_load_2addr_b32 v[23:24], v12 offset1:32
	ds_load_2addr_b32 v[25:26], v13 offset1:32
	s_wait_dscnt 0x4
	v_fmac_f32_e32 v31, v27, v29
	s_delay_alu instid0(VALU_DEP_1) | instskip(SKIP_4) | instid1(VALU_DEP_1)
	v_fmac_f32_e32 v31, v28, v30
	ds_load_2addr_b32 v[27:28], v12 offset0:64 offset1:96
	ds_load_2addr_b32 v[29:30], v13 offset0:64 offset1:96
	s_wait_dscnt 0x4
	v_fmac_f32_e32 v31, v19, v21
	v_fmac_f32_e32 v31, v20, v22
	ds_load_2addr_b32 v[19:20], v12 offset0:128 offset1:160
	ds_load_2addr_b32 v[21:22], v13 offset0:128 offset1:160
	s_wait_dscnt 0x4
	v_fmac_f32_e32 v31, v23, v25
	s_delay_alu instid0(VALU_DEP_1) | instskip(SKIP_4) | instid1(VALU_DEP_1)
	v_fmac_f32_e32 v31, v24, v26
	ds_load_2addr_b32 v[23:24], v12 offset0:192 offset1:224
	ds_load_2addr_b32 v[25:26], v13 offset0:192 offset1:224
	s_wait_dscnt 0x4
	v_fmac_f32_e32 v31, v27, v29
	v_fmac_f32_e32 v31, v28, v30
	ds_load_2addr_b32 v[27:28], v14 offset1:32
	ds_load_2addr_b32 v[29:30], v15 offset1:32
	s_wait_dscnt 0x4
	v_fmac_f32_e32 v31, v19, v21
	s_delay_alu instid0(VALU_DEP_1) | instskip(SKIP_4) | instid1(VALU_DEP_1)
	v_fmac_f32_e32 v31, v20, v22
	ds_load_2addr_b32 v[19:20], v14 offset0:64 offset1:96
	ds_load_2addr_b32 v[21:22], v15 offset0:64 offset1:96
	s_wait_dscnt 0x4
	v_fmac_f32_e32 v31, v23, v25
	v_fmac_f32_e32 v31, v24, v26
	ds_load_2addr_b32 v[23:24], v14 offset0:128 offset1:160
	ds_load_2addr_b32 v[25:26], v15 offset0:128 offset1:160
	s_wait_dscnt 0x4
	v_fmac_f32_e32 v31, v27, v29
	;; [unrolled: 22-line block ×3, first 2 shown]
	s_delay_alu instid0(VALU_DEP_1) | instskip(SKIP_4) | instid1(VALU_DEP_1)
	v_fmac_f32_e32 v31, v20, v22
	ds_load_2addr_b32 v[19:20], v16 offset0:192 offset1:224
	ds_load_2addr_b32 v[21:22], v17 offset0:192 offset1:224
	s_wait_dscnt 0x4
	v_fmac_f32_e32 v31, v23, v25
	v_fmac_f32_e32 v31, v24, v26
	s_wait_dscnt 0x2
	s_delay_alu instid0(VALU_DEP_1) | instskip(NEXT) | instid1(VALU_DEP_1)
	v_fmac_f32_e32 v31, v27, v29
	v_fmac_f32_e32 v31, v28, v30
	s_wait_dscnt 0x0
	s_delay_alu instid0(VALU_DEP_1) | instskip(NEXT) | instid1(VALU_DEP_1)
	v_fmac_f32_e32 v31, v19, v21
	v_fmac_f32_e32 v31, v20, v22
	s_delay_alu instid0(VALU_DEP_1)
	v_mul_f32_e32 v20, v18, v31
	s_wait_alu 0xfffe
	v_add_co_u32 v18, vcc_lo, v9, s16
	s_wait_alu 0xfffd
	v_add_co_ci_u32_e64 v19, null, s17, v10, vcc_lo
	global_store_b32 v[18:19], v20, off
	s_branch .LBB34_2
.LBB34_19:
	s_endpgm
	.section	.rodata,"a",@progbits
	.p2align	6, 0x0
	.amdhsa_kernel _ZL23rocblas_trmm_rTx_kernelILi32ELb1EfPKfS0_fEv13rocblas_fill_17rocblas_diagonal_iiT2_lPT3_llS6_llPT4_lli
		.amdhsa_group_segment_fixed_size 8192
		.amdhsa_private_segment_fixed_size 0
		.amdhsa_kernarg_size 108
		.amdhsa_user_sgpr_count 2
		.amdhsa_user_sgpr_dispatch_ptr 0
		.amdhsa_user_sgpr_queue_ptr 0
		.amdhsa_user_sgpr_kernarg_segment_ptr 1
		.amdhsa_user_sgpr_dispatch_id 0
		.amdhsa_user_sgpr_private_segment_size 0
		.amdhsa_wavefront_size32 1
		.amdhsa_uses_dynamic_stack 0
		.amdhsa_enable_private_segment 0
		.amdhsa_system_sgpr_workgroup_id_x 1
		.amdhsa_system_sgpr_workgroup_id_y 0
		.amdhsa_system_sgpr_workgroup_id_z 1
		.amdhsa_system_sgpr_workgroup_info 0
		.amdhsa_system_vgpr_workitem_id 1
		.amdhsa_next_free_vgpr 32
		.amdhsa_next_free_sgpr 31
		.amdhsa_reserve_vcc 1
		.amdhsa_float_round_mode_32 0
		.amdhsa_float_round_mode_16_64 0
		.amdhsa_float_denorm_mode_32 3
		.amdhsa_float_denorm_mode_16_64 3
		.amdhsa_fp16_overflow 0
		.amdhsa_workgroup_processor_mode 1
		.amdhsa_memory_ordered 1
		.amdhsa_forward_progress 1
		.amdhsa_inst_pref_size 12
		.amdhsa_round_robin_scheduling 0
		.amdhsa_exception_fp_ieee_invalid_op 0
		.amdhsa_exception_fp_denorm_src 0
		.amdhsa_exception_fp_ieee_div_zero 0
		.amdhsa_exception_fp_ieee_overflow 0
		.amdhsa_exception_fp_ieee_underflow 0
		.amdhsa_exception_fp_ieee_inexact 0
		.amdhsa_exception_int_div_zero 0
	.end_amdhsa_kernel
	.section	.text._ZL23rocblas_trmm_rTx_kernelILi32ELb1EfPKfS0_fEv13rocblas_fill_17rocblas_diagonal_iiT2_lPT3_llS6_llPT4_lli,"axG",@progbits,_ZL23rocblas_trmm_rTx_kernelILi32ELb1EfPKfS0_fEv13rocblas_fill_17rocblas_diagonal_iiT2_lPT3_llS6_llPT4_lli,comdat
.Lfunc_end34:
	.size	_ZL23rocblas_trmm_rTx_kernelILi32ELb1EfPKfS0_fEv13rocblas_fill_17rocblas_diagonal_iiT2_lPT3_llS6_llPT4_lli, .Lfunc_end34-_ZL23rocblas_trmm_rTx_kernelILi32ELb1EfPKfS0_fEv13rocblas_fill_17rocblas_diagonal_iiT2_lPT3_llS6_llPT4_lli
                                        ; -- End function
	.set _ZL23rocblas_trmm_rTx_kernelILi32ELb1EfPKfS0_fEv13rocblas_fill_17rocblas_diagonal_iiT2_lPT3_llS6_llPT4_lli.num_vgpr, 32
	.set _ZL23rocblas_trmm_rTx_kernelILi32ELb1EfPKfS0_fEv13rocblas_fill_17rocblas_diagonal_iiT2_lPT3_llS6_llPT4_lli.num_agpr, 0
	.set _ZL23rocblas_trmm_rTx_kernelILi32ELb1EfPKfS0_fEv13rocblas_fill_17rocblas_diagonal_iiT2_lPT3_llS6_llPT4_lli.numbered_sgpr, 31
	.set _ZL23rocblas_trmm_rTx_kernelILi32ELb1EfPKfS0_fEv13rocblas_fill_17rocblas_diagonal_iiT2_lPT3_llS6_llPT4_lli.num_named_barrier, 0
	.set _ZL23rocblas_trmm_rTx_kernelILi32ELb1EfPKfS0_fEv13rocblas_fill_17rocblas_diagonal_iiT2_lPT3_llS6_llPT4_lli.private_seg_size, 0
	.set _ZL23rocblas_trmm_rTx_kernelILi32ELb1EfPKfS0_fEv13rocblas_fill_17rocblas_diagonal_iiT2_lPT3_llS6_llPT4_lli.uses_vcc, 1
	.set _ZL23rocblas_trmm_rTx_kernelILi32ELb1EfPKfS0_fEv13rocblas_fill_17rocblas_diagonal_iiT2_lPT3_llS6_llPT4_lli.uses_flat_scratch, 0
	.set _ZL23rocblas_trmm_rTx_kernelILi32ELb1EfPKfS0_fEv13rocblas_fill_17rocblas_diagonal_iiT2_lPT3_llS6_llPT4_lli.has_dyn_sized_stack, 0
	.set _ZL23rocblas_trmm_rTx_kernelILi32ELb1EfPKfS0_fEv13rocblas_fill_17rocblas_diagonal_iiT2_lPT3_llS6_llPT4_lli.has_recursion, 0
	.set _ZL23rocblas_trmm_rTx_kernelILi32ELb1EfPKfS0_fEv13rocblas_fill_17rocblas_diagonal_iiT2_lPT3_llS6_llPT4_lli.has_indirect_call, 0
	.section	.AMDGPU.csdata,"",@progbits
; Kernel info:
; codeLenInByte = 1504
; TotalNumSgprs: 33
; NumVgprs: 32
; ScratchSize: 0
; MemoryBound: 0
; FloatMode: 240
; IeeeMode: 1
; LDSByteSize: 8192 bytes/workgroup (compile time only)
; SGPRBlocks: 0
; VGPRBlocks: 3
; NumSGPRsForWavesPerEU: 33
; NumVGPRsForWavesPerEU: 32
; Occupancy: 16
; WaveLimiterHint : 0
; COMPUTE_PGM_RSRC2:SCRATCH_EN: 0
; COMPUTE_PGM_RSRC2:USER_SGPR: 2
; COMPUTE_PGM_RSRC2:TRAP_HANDLER: 0
; COMPUTE_PGM_RSRC2:TGID_X_EN: 1
; COMPUTE_PGM_RSRC2:TGID_Y_EN: 0
; COMPUTE_PGM_RSRC2:TGID_Z_EN: 1
; COMPUTE_PGM_RSRC2:TIDIG_COMP_CNT: 1
	.section	.text._ZL23rocblas_trmm_rTx_kernelILi32ELb1EffKffEv13rocblas_fill_17rocblas_diagonal_iiT2_lPT3_llS5_llPT4_lli,"axG",@progbits,_ZL23rocblas_trmm_rTx_kernelILi32ELb1EffKffEv13rocblas_fill_17rocblas_diagonal_iiT2_lPT3_llS5_llPT4_lli,comdat
	.globl	_ZL23rocblas_trmm_rTx_kernelILi32ELb1EffKffEv13rocblas_fill_17rocblas_diagonal_iiT2_lPT3_llS5_llPT4_lli ; -- Begin function _ZL23rocblas_trmm_rTx_kernelILi32ELb1EffKffEv13rocblas_fill_17rocblas_diagonal_iiT2_lPT3_llS5_llPT4_lli
	.p2align	8
	.type	_ZL23rocblas_trmm_rTx_kernelILi32ELb1EffKffEv13rocblas_fill_17rocblas_diagonal_iiT2_lPT3_llS5_llPT4_lli,@function
_ZL23rocblas_trmm_rTx_kernelILi32ELb1EffKffEv13rocblas_fill_17rocblas_diagonal_iiT2_lPT3_llS5_llPT4_lli: ; @_ZL23rocblas_trmm_rTx_kernelILi32ELb1EffKffEv13rocblas_fill_17rocblas_diagonal_iiT2_lPT3_llS5_llPT4_lli
; %bb.0:
	s_load_b32 s26, s[0:1], 0x68
	s_lshr_b32 s2, ttmp7, 16
	s_wait_kmcnt 0x0
	s_cmp_ge_u32 s2, s26
	s_cbranch_scc1 .LBB35_19
; %bb.1:
	s_clause 0x3
	s_load_b32 s27, s[0:1], 0x10
	s_load_b512 s[4:19], s[0:1], 0x20
	s_load_b128 s[20:23], s[0:1], 0x0
	s_load_b64 s[24:25], s[0:1], 0x60
	v_bfe_u32 v16, v0, 10, 10
	v_dual_mov_b32 v1, 0 :: v_dual_and_b32 v0, 0x3ff, v0
	s_delay_alu instid0(VALU_DEP_1)
	v_lshlrev_b64_e32 v[9:10], 2, v[0:1]
	s_wait_kmcnt 0x0
	s_cmp_neq_f32 s27, 0
	v_mad_co_u64_u32 v[11:12], null, s18, v16, 0
	v_mad_co_u64_u32 v[4:5], null, s6, v16, 0
	;; [unrolled: 1-line block ×3, first 2 shown]
	s_cselect_b32 s6, -1, 0
	s_add_co_i32 s1, s22, -1
	v_mov_b32_e32 v8, v12
	s_ashr_i32 s3, s1, 31
	v_cmp_gt_i32_e32 vcc_lo, s23, v16
	s_lshr_b32 s3, s3, 27
	v_mad_co_u64_u32 v[12:13], null, s7, v16, v[5:6]
	v_mad_co_u64_u32 v[13:14], null, s13, v16, v[7:8]
	s_add_co_i32 s1, s1, s3
	v_lshlrev_b32_e32 v2, 5, v16
	s_ashr_i32 s3, s1, 5
	s_and_not1_b32 s1, s1, 31
	v_mov_b32_e32 v5, v12
	s_sub_co_i32 s1, s22, s1
	v_mov_b32_e32 v7, v13
	v_cmp_gt_i32_e64 s0, s23, v0
	s_cmp_ge_i32 ttmp9, s3
	v_mad_co_u64_u32 v[14:15], null, s19, v16, v[8:9]
	s_cselect_b32 s1, s1, 32
	s_lshl_b32 s12, ttmp9, 5
	v_add_lshl_u32 v2, v2, v0, 2
	s_wait_alu 0xfffe
	s_ashr_i32 s13, s12, 31
	v_lshlrev_b64_e32 v[4:5], 2, v[4:5]
	v_lshlrev_b64_e32 v[6:7], 2, v[6:7]
	s_and_b32 s7, vcc_lo, s0
	v_cmp_gt_i32_e64 s0, s1, v0
	s_wait_alu 0xfffe
	s_lshl_b64 s[12:13], s[12:13], 2
	v_dual_mov_b32 v12, v14 :: v_dual_add_nc_u32 v3, 0x1000, v2
	s_wait_alu 0xfffe
	s_add_nc_u64 s[10:11], s[10:11], s[12:13]
	v_add_co_u32 v4, s1, s4, v4
	s_and_b32 s4, vcc_lo, s0
	v_add_co_u32 v6, vcc_lo, s10, v6
	s_delay_alu instid0(VALU_DEP_1)
	v_add_co_ci_u32_e64 v7, null, s11, v7, vcc_lo
	v_lshlrev_b64_e32 v[11:12], 2, v[11:12]
	v_cmp_eq_u32_e32 vcc_lo, v16, v0
	s_cmp_eq_u32 s21, 0x84
	v_add_co_u32 v6, s0, v6, v9
	v_add_co_ci_u32_e64 v5, null, s5, v5, s1
	s_add_nc_u64 s[12:13], s[16:17], s[12:13]
	v_add_co_ci_u32_e64 v7, null, v7, v10, s0
	s_cselect_b32 s0, -1, 0
	v_add_co_u32 v4, s1, v4, v9
	s_wait_alu 0xfffe
	s_and_b32 s5, vcc_lo, s0
	v_add_co_u32 v11, vcc_lo, s12, v11
	v_add_co_ci_u32_e64 v5, null, v5, v10, s1
	v_cmp_lt_u32_e64 s0, v0, v16
	v_cmp_gt_u32_e64 s1, v0, v16
	v_lshl_add_u32 v0, v0, 2, 0x1000
	s_wait_alu 0xfffd
	v_add_co_ci_u32_e64 v12, null, s13, v12, vcc_lo
	v_lshlrev_b32_e32 v8, 2, v16
	v_add_co_u32 v9, vcc_lo, v11, v9
	s_wait_alu 0xfffd
	s_delay_alu instid0(VALU_DEP_3)
	v_add_co_ci_u32_e64 v10, null, v12, v10, vcc_lo
	v_dual_mov_b32 v11, 1.0 :: v_dual_add_nc_u32 v12, 0x400, v0
	v_add_nc_u32_e32 v13, 0x400, v8
	v_add_nc_u32_e32 v14, 0x800, v0
	;; [unrolled: 1-line block ×5, first 2 shown]
	s_cmp_lg_u32 s20, 0x79
	s_mov_b32 s3, 0
	s_cselect_b32 s10, -1, 0
	s_branch .LBB35_4
.LBB35_2:                               ;   in Loop: Header=BB35_4 Depth=1
	s_wait_alu 0xfffe
	s_or_b32 exec_lo, exec_lo, s11
.LBB35_3:                               ;   in Loop: Header=BB35_4 Depth=1
	s_add_co_i32 s2, s2, 0x10000
	s_delay_alu instid0(SALU_CYCLE_1)
	s_cmp_lt_u32 s2, s26
	s_cbranch_scc0 .LBB35_19
.LBB35_4:                               ; =>This Inner Loop Header: Depth=1
	s_and_not1_b32 vcc_lo, exec_lo, s6
	s_wait_alu 0xfffe
	s_cbranch_vccnz .LBB35_3
; %bb.5:                                ;   in Loop: Header=BB35_4 Depth=1
	ds_store_b32 v2, v1
	ds_store_b32 v3, v1
	s_and_saveexec_b32 s11, s7
	s_cbranch_execnz .LBB35_10
; %bb.6:                                ;   in Loop: Header=BB35_4 Depth=1
	s_wait_alu 0xfffe
	s_or_b32 exec_lo, exec_lo, s11
	s_and_saveexec_b32 s11, s4
	s_cbranch_execnz .LBB35_11
.LBB35_7:                               ;   in Loop: Header=BB35_4 Depth=1
	s_wait_alu 0xfffe
	s_or_b32 exec_lo, exec_lo, s11
	s_and_saveexec_b32 s11, s5
	s_cbranch_execnz .LBB35_12
.LBB35_8:                               ;   in Loop: Header=BB35_4 Depth=1
	s_wait_alu 0xfffe
	s_or_b32 exec_lo, exec_lo, s11
	s_delay_alu instid0(SALU_CYCLE_1)
	s_and_b32 vcc_lo, exec_lo, s10
	s_wait_alu 0xfffe
	s_cbranch_vccz .LBB35_13
.LBB35_9:                               ;   in Loop: Header=BB35_4 Depth=1
	s_and_b32 s11, s0, exec_lo
	s_cbranch_execz .LBB35_14
	s_branch .LBB35_15
.LBB35_10:                              ;   in Loop: Header=BB35_4 Depth=1
	s_mul_u64 s[12:13], s[8:9], s[2:3]
	s_wait_alu 0xfffe
	s_lshl_b64 s[12:13], s[12:13], 2
	s_wait_alu 0xfffe
	v_add_co_u32 v18, vcc_lo, v4, s12
	s_wait_alu 0xfffd
	v_add_co_ci_u32_e64 v19, null, s13, v5, vcc_lo
	global_load_b32 v18, v[18:19], off
	s_wait_loadcnt 0x0
	ds_store_b32 v2, v18
	s_or_b32 exec_lo, exec_lo, s11
	s_and_saveexec_b32 s11, s4
	s_cbranch_execz .LBB35_7
.LBB35_11:                              ;   in Loop: Header=BB35_4 Depth=1
	s_mul_u64 s[12:13], s[14:15], s[2:3]
	s_wait_alu 0xfffe
	s_lshl_b64 s[12:13], s[12:13], 2
	s_wait_alu 0xfffe
	v_add_co_u32 v18, vcc_lo, v6, s12
	s_wait_alu 0xfffd
	v_add_co_ci_u32_e64 v19, null, s13, v7, vcc_lo
	global_load_b32 v18, v[18:19], off
	s_wait_loadcnt 0x0
	ds_store_b32 v3, v18
	s_or_b32 exec_lo, exec_lo, s11
	s_and_saveexec_b32 s11, s5
	s_cbranch_execz .LBB35_8
.LBB35_12:                              ;   in Loop: Header=BB35_4 Depth=1
	ds_store_b32 v2, v11
	s_wait_alu 0xfffe
	s_or_b32 exec_lo, exec_lo, s11
	s_delay_alu instid0(SALU_CYCLE_1)
	s_and_b32 vcc_lo, exec_lo, s10
	s_wait_alu 0xfffe
	s_cbranch_vccnz .LBB35_9
.LBB35_13:                              ;   in Loop: Header=BB35_4 Depth=1
	s_mov_b32 s11, 0
.LBB35_14:                              ;   in Loop: Header=BB35_4 Depth=1
	s_wait_alu 0xfffe
	s_and_not1_b32 s11, s11, exec_lo
	s_and_b32 s12, s1, exec_lo
	s_wait_alu 0xfffe
	s_or_b32 s11, s11, s12
.LBB35_15:                              ;   in Loop: Header=BB35_4 Depth=1
	s_wait_alu 0xfffe
	s_and_saveexec_b32 s12, s11
; %bb.16:                               ;   in Loop: Header=BB35_4 Depth=1
	ds_store_b32 v2, v1
; %bb.17:                               ;   in Loop: Header=BB35_4 Depth=1
	s_wait_alu 0xfffe
	s_or_b32 exec_lo, exec_lo, s12
	s_wait_dscnt 0x0
	s_barrier_signal -1
	s_barrier_wait -1
	global_inv scope:SCOPE_SE
	s_and_saveexec_b32 s11, s4
	s_cbranch_execz .LBB35_2
; %bb.18:                               ;   in Loop: Header=BB35_4 Depth=1
	ds_load_2addr_b32 v[18:19], v0 offset1:32
	ds_load_2addr_b32 v[20:21], v8 offset1:32
	ds_load_2addr_b32 v[22:23], v0 offset0:64 offset1:96
	ds_load_2addr_b32 v[24:25], v8 offset0:64 offset1:96
	;; [unrolled: 1-line block ×4, first 2 shown]
	s_mul_u64 s[12:13], s[24:25], s[2:3]
	s_wait_alu 0xfffe
	s_lshl_b64 s[12:13], s[12:13], 2
	s_wait_dscnt 0x4
	v_fma_f32 v30, v18, v20, 0
	s_delay_alu instid0(VALU_DEP_1) | instskip(SKIP_4) | instid1(VALU_DEP_1)
	v_fmac_f32_e32 v30, v19, v21
	ds_load_2addr_b32 v[18:19], v0 offset0:192 offset1:224
	ds_load_2addr_b32 v[20:21], v8 offset0:192 offset1:224
	s_wait_dscnt 0x4
	v_fmac_f32_e32 v30, v22, v24
	v_fmac_f32_e32 v30, v23, v25
	ds_load_2addr_b32 v[22:23], v12 offset1:32
	ds_load_2addr_b32 v[24:25], v13 offset1:32
	s_wait_dscnt 0x4
	v_fmac_f32_e32 v30, v26, v28
	s_delay_alu instid0(VALU_DEP_1) | instskip(SKIP_4) | instid1(VALU_DEP_1)
	v_fmac_f32_e32 v30, v27, v29
	ds_load_2addr_b32 v[26:27], v12 offset0:64 offset1:96
	ds_load_2addr_b32 v[28:29], v13 offset0:64 offset1:96
	s_wait_dscnt 0x4
	v_fmac_f32_e32 v30, v18, v20
	v_fmac_f32_e32 v30, v19, v21
	ds_load_2addr_b32 v[18:19], v12 offset0:128 offset1:160
	ds_load_2addr_b32 v[20:21], v13 offset0:128 offset1:160
	s_wait_dscnt 0x4
	v_fmac_f32_e32 v30, v22, v24
	s_delay_alu instid0(VALU_DEP_1) | instskip(SKIP_4) | instid1(VALU_DEP_1)
	v_fmac_f32_e32 v30, v23, v25
	ds_load_2addr_b32 v[22:23], v12 offset0:192 offset1:224
	ds_load_2addr_b32 v[24:25], v13 offset0:192 offset1:224
	s_wait_dscnt 0x4
	v_fmac_f32_e32 v30, v26, v28
	v_fmac_f32_e32 v30, v27, v29
	ds_load_2addr_b32 v[26:27], v14 offset1:32
	ds_load_2addr_b32 v[28:29], v15 offset1:32
	s_wait_dscnt 0x4
	v_fmac_f32_e32 v30, v18, v20
	s_delay_alu instid0(VALU_DEP_1) | instskip(SKIP_4) | instid1(VALU_DEP_1)
	v_fmac_f32_e32 v30, v19, v21
	ds_load_2addr_b32 v[18:19], v14 offset0:64 offset1:96
	ds_load_2addr_b32 v[20:21], v15 offset0:64 offset1:96
	s_wait_dscnt 0x4
	v_fmac_f32_e32 v30, v22, v24
	v_fmac_f32_e32 v30, v23, v25
	ds_load_2addr_b32 v[22:23], v14 offset0:128 offset1:160
	ds_load_2addr_b32 v[24:25], v15 offset0:128 offset1:160
	s_wait_dscnt 0x4
	v_fmac_f32_e32 v30, v26, v28
	;; [unrolled: 22-line block ×3, first 2 shown]
	s_delay_alu instid0(VALU_DEP_1) | instskip(SKIP_4) | instid1(VALU_DEP_1)
	v_fmac_f32_e32 v30, v19, v21
	ds_load_2addr_b32 v[18:19], v16 offset0:192 offset1:224
	ds_load_2addr_b32 v[20:21], v17 offset0:192 offset1:224
	s_wait_dscnt 0x4
	v_fmac_f32_e32 v30, v22, v24
	v_fmac_f32_e32 v30, v23, v25
	s_wait_dscnt 0x2
	s_delay_alu instid0(VALU_DEP_1) | instskip(NEXT) | instid1(VALU_DEP_1)
	v_fmac_f32_e32 v30, v26, v28
	v_fmac_f32_e32 v30, v27, v29
	s_wait_dscnt 0x0
	s_delay_alu instid0(VALU_DEP_1) | instskip(SKIP_2) | instid1(VALU_DEP_2)
	v_fmac_f32_e32 v30, v18, v20
	s_wait_alu 0xfffe
	v_add_co_u32 v18, vcc_lo, v9, s12
	v_fmac_f32_e32 v30, v19, v21
	s_wait_alu 0xfffd
	v_add_co_ci_u32_e64 v19, null, s13, v10, vcc_lo
	s_delay_alu instid0(VALU_DEP_2)
	v_mul_f32_e32 v20, s27, v30
	global_store_b32 v[18:19], v20, off
	s_branch .LBB35_2
.LBB35_19:
	s_endpgm
	.section	.rodata,"a",@progbits
	.p2align	6, 0x0
	.amdhsa_kernel _ZL23rocblas_trmm_rTx_kernelILi32ELb1EffKffEv13rocblas_fill_17rocblas_diagonal_iiT2_lPT3_llS5_llPT4_lli
		.amdhsa_group_segment_fixed_size 8192
		.amdhsa_private_segment_fixed_size 0
		.amdhsa_kernarg_size 108
		.amdhsa_user_sgpr_count 2
		.amdhsa_user_sgpr_dispatch_ptr 0
		.amdhsa_user_sgpr_queue_ptr 0
		.amdhsa_user_sgpr_kernarg_segment_ptr 1
		.amdhsa_user_sgpr_dispatch_id 0
		.amdhsa_user_sgpr_private_segment_size 0
		.amdhsa_wavefront_size32 1
		.amdhsa_uses_dynamic_stack 0
		.amdhsa_enable_private_segment 0
		.amdhsa_system_sgpr_workgroup_id_x 1
		.amdhsa_system_sgpr_workgroup_id_y 0
		.amdhsa_system_sgpr_workgroup_id_z 1
		.amdhsa_system_sgpr_workgroup_info 0
		.amdhsa_system_vgpr_workitem_id 1
		.amdhsa_next_free_vgpr 31
		.amdhsa_next_free_sgpr 28
		.amdhsa_reserve_vcc 1
		.amdhsa_float_round_mode_32 0
		.amdhsa_float_round_mode_16_64 0
		.amdhsa_float_denorm_mode_32 3
		.amdhsa_float_denorm_mode_16_64 3
		.amdhsa_fp16_overflow 0
		.amdhsa_workgroup_processor_mode 1
		.amdhsa_memory_ordered 1
		.amdhsa_forward_progress 1
		.amdhsa_inst_pref_size 12
		.amdhsa_round_robin_scheduling 0
		.amdhsa_exception_fp_ieee_invalid_op 0
		.amdhsa_exception_fp_denorm_src 0
		.amdhsa_exception_fp_ieee_div_zero 0
		.amdhsa_exception_fp_ieee_overflow 0
		.amdhsa_exception_fp_ieee_underflow 0
		.amdhsa_exception_fp_ieee_inexact 0
		.amdhsa_exception_int_div_zero 0
	.end_amdhsa_kernel
	.section	.text._ZL23rocblas_trmm_rTx_kernelILi32ELb1EffKffEv13rocblas_fill_17rocblas_diagonal_iiT2_lPT3_llS5_llPT4_lli,"axG",@progbits,_ZL23rocblas_trmm_rTx_kernelILi32ELb1EffKffEv13rocblas_fill_17rocblas_diagonal_iiT2_lPT3_llS5_llPT4_lli,comdat
.Lfunc_end35:
	.size	_ZL23rocblas_trmm_rTx_kernelILi32ELb1EffKffEv13rocblas_fill_17rocblas_diagonal_iiT2_lPT3_llS5_llPT4_lli, .Lfunc_end35-_ZL23rocblas_trmm_rTx_kernelILi32ELb1EffKffEv13rocblas_fill_17rocblas_diagonal_iiT2_lPT3_llS5_llPT4_lli
                                        ; -- End function
	.set _ZL23rocblas_trmm_rTx_kernelILi32ELb1EffKffEv13rocblas_fill_17rocblas_diagonal_iiT2_lPT3_llS5_llPT4_lli.num_vgpr, 31
	.set _ZL23rocblas_trmm_rTx_kernelILi32ELb1EffKffEv13rocblas_fill_17rocblas_diagonal_iiT2_lPT3_llS5_llPT4_lli.num_agpr, 0
	.set _ZL23rocblas_trmm_rTx_kernelILi32ELb1EffKffEv13rocblas_fill_17rocblas_diagonal_iiT2_lPT3_llS5_llPT4_lli.numbered_sgpr, 28
	.set _ZL23rocblas_trmm_rTx_kernelILi32ELb1EffKffEv13rocblas_fill_17rocblas_diagonal_iiT2_lPT3_llS5_llPT4_lli.num_named_barrier, 0
	.set _ZL23rocblas_trmm_rTx_kernelILi32ELb1EffKffEv13rocblas_fill_17rocblas_diagonal_iiT2_lPT3_llS5_llPT4_lli.private_seg_size, 0
	.set _ZL23rocblas_trmm_rTx_kernelILi32ELb1EffKffEv13rocblas_fill_17rocblas_diagonal_iiT2_lPT3_llS5_llPT4_lli.uses_vcc, 1
	.set _ZL23rocblas_trmm_rTx_kernelILi32ELb1EffKffEv13rocblas_fill_17rocblas_diagonal_iiT2_lPT3_llS5_llPT4_lli.uses_flat_scratch, 0
	.set _ZL23rocblas_trmm_rTx_kernelILi32ELb1EffKffEv13rocblas_fill_17rocblas_diagonal_iiT2_lPT3_llS5_llPT4_lli.has_dyn_sized_stack, 0
	.set _ZL23rocblas_trmm_rTx_kernelILi32ELb1EffKffEv13rocblas_fill_17rocblas_diagonal_iiT2_lPT3_llS5_llPT4_lli.has_recursion, 0
	.set _ZL23rocblas_trmm_rTx_kernelILi32ELb1EffKffEv13rocblas_fill_17rocblas_diagonal_iiT2_lPT3_llS5_llPT4_lli.has_indirect_call, 0
	.section	.AMDGPU.csdata,"",@progbits
; Kernel info:
; codeLenInByte = 1472
; TotalNumSgprs: 30
; NumVgprs: 31
; ScratchSize: 0
; MemoryBound: 0
; FloatMode: 240
; IeeeMode: 1
; LDSByteSize: 8192 bytes/workgroup (compile time only)
; SGPRBlocks: 0
; VGPRBlocks: 3
; NumSGPRsForWavesPerEU: 30
; NumVGPRsForWavesPerEU: 31
; Occupancy: 16
; WaveLimiterHint : 0
; COMPUTE_PGM_RSRC2:SCRATCH_EN: 0
; COMPUTE_PGM_RSRC2:USER_SGPR: 2
; COMPUTE_PGM_RSRC2:TRAP_HANDLER: 0
; COMPUTE_PGM_RSRC2:TGID_X_EN: 1
; COMPUTE_PGM_RSRC2:TGID_Y_EN: 0
; COMPUTE_PGM_RSRC2:TGID_Z_EN: 1
; COMPUTE_PGM_RSRC2:TIDIG_COMP_CNT: 1
	.section	.text._ZL30rocblas_trmm_outofplace_kernelIdLi32ELi2ELb1ELb0ELb0ELb0EPKdS0_dEv17rocblas_diagonal_iiT6_lPT7_lllS5_lllPT8_llli,"axG",@progbits,_ZL30rocblas_trmm_outofplace_kernelIdLi32ELi2ELb1ELb0ELb0ELb0EPKdS0_dEv17rocblas_diagonal_iiT6_lPT7_lllS5_lllPT8_llli,comdat
	.globl	_ZL30rocblas_trmm_outofplace_kernelIdLi32ELi2ELb1ELb0ELb0ELb0EPKdS0_dEv17rocblas_diagonal_iiT6_lPT7_lllS5_lllPT8_llli ; -- Begin function _ZL30rocblas_trmm_outofplace_kernelIdLi32ELi2ELb1ELb0ELb0ELb0EPKdS0_dEv17rocblas_diagonal_iiT6_lPT7_lllS5_lllPT8_llli
	.p2align	8
	.type	_ZL30rocblas_trmm_outofplace_kernelIdLi32ELi2ELb1ELb0ELb0ELb0EPKdS0_dEv17rocblas_diagonal_iiT6_lPT7_lllS5_lllPT8_llli,@function
_ZL30rocblas_trmm_outofplace_kernelIdLi32ELi2ELb1ELb0ELb0ELb0EPKdS0_dEv17rocblas_diagonal_iiT6_lPT7_lllS5_lllPT8_llli: ; @_ZL30rocblas_trmm_outofplace_kernelIdLi32ELi2ELb1ELb0ELb0ELb0EPKdS0_dEv17rocblas_diagonal_iiT6_lPT7_lllS5_lllPT8_llli
; %bb.0:
	s_load_b32 s11, s[0:1], 0x80
	s_lshr_b32 s34, ttmp7, 16
	s_wait_kmcnt 0x0
	s_cmp_ge_u32 s34, s11
	s_cbranch_scc1 .LBB36_55
; %bb.1:
	s_clause 0x3
	s_load_b96 s[8:10], s[0:1], 0x0
	s_load_b256 s[36:43], s[0:1], 0x50
	s_load_b512 s[12:27], s[0:1], 0x10
	s_load_b128 s[28:31], s[0:1], 0x70
	s_add_nc_u64 s[44:45], s[0:1], 0x88
	v_bfe_u32 v54, v0, 10, 10
	s_and_b32 s33, ttmp7, 0xffff
	v_dual_mov_b32 v0, 0 :: v_dual_and_b32 v55, 0x3ff, v0
	v_mov_b32_e32 v61, 0x3ff00000
	s_delay_alu instid0(VALU_DEP_3) | instskip(SKIP_3) | instid1(VALU_DEP_3)
	v_lshlrev_b32_e32 v1, 8, v54
	v_lshl_add_u32 v18, v54, 3, 0x80
	v_lshl_add_u32 v60, s33, 5, v54
	s_mov_b32 s35, 0
	v_add_nc_u32_e32 v57, 0x2000, v1
	s_wait_kmcnt 0x0
	s_add_co_i32 s2, s10, -1
	s_mov_b32 s51, s10
	s_ashr_i32 s0, s2, 31
	v_mad_co_u64_u32 v[16:17], null, s20, v54, 0
	s_lshr_b32 s0, s0, 27
	v_lshlrev_b32_e32 v56, 3, v55
	s_add_co_i32 s2, s2, s0
	s_lshl_b64 s[0:1], s[42:43], 3
	s_ashr_i32 s50, s2, 5
	s_mov_b32 s42, s9
	s_cmp_le_i32 s33, s50
	s_add_nc_u64 s[40:41], s[40:41], s[0:1]
	s_cselect_b32 s52, -1, 0
	s_lshl_b32 s53, ttmp9, 5
	s_cmp_gt_i32 ttmp9, -1
	v_add_nc_u32_e32 v2, s53, v55
	s_cselect_b32 s54, -1, 0
	s_cmp_eq_u32 s8, 0x84
	s_cselect_b32 s55, -1, 0
	s_lshl_b64 s[4:5], s[18:19], 3
	s_lshl_b64 s[6:7], s[26:27], 3
	s_add_nc_u64 s[4:5], s[16:17], s[4:5]
	s_add_nc_u64 s[6:7], s[24:25], s[6:7]
	v_mad_co_u64_u32 v[10:11], null, s20, v18, s[4:5]
	v_dual_mov_b32 v1, v17 :: v_dual_add_nc_u32 v58, v56, v1
	s_ashr_i32 s43, s9, 31
	v_add_nc_u32_e32 v59, v57, v56
	v_add_nc_u32_e32 v62, 0x800, v56
	;; [unrolled: 1-line block ×3, first 2 shown]
	v_mad_co_u64_u32 v[14:15], null, s21, v54, v[1:2]
	v_mov_b32_e32 v1, v11
	v_add_co_u32 v11, s6, s6, v56
	s_wait_alu 0xf1ff
	v_add_co_ci_u32_e64 v15, null, s7, 0, s6
	s_delay_alu instid0(VALU_DEP_4) | instskip(SKIP_3) | instid1(VALU_DEP_3)
	v_dual_mov_b32 v17, v14 :: v_dual_add_nc_u32 v64, 0x1800, v56
	v_ashrrev_i32_e32 v3, 31, v2
	v_add_co_u32 v4, vcc_lo, v2, 16
	v_mad_co_u64_u32 v[18:19], null, s21, v18, v[1:2]
	v_add_co_ci_u32_e64 v5, null, 0, v3, vcc_lo
	v_sub_co_u32 v6, vcc_lo, v2, v54
	s_wait_alu 0xfffd
	v_subrev_co_ci_u32_e64 v7, null, 0, v3, vcc_lo
	v_add_nc_u32_e32 v20, 16, v2
	s_delay_alu instid0(VALU_DEP_3) | instskip(SKIP_1) | instid1(VALU_DEP_3)
	v_add_co_u32 v8, vcc_lo, v6, 16
	s_wait_alu 0xfffd
	v_add_co_ci_u32_e64 v9, null, 0, v7, vcc_lo
	v_add_co_u32 v12, vcc_lo, v6, -16
	v_lshlrev_b64_e32 v[22:23], 3, v[16:17]
	s_wait_alu 0xfffd
	v_add_co_ci_u32_e64 v13, null, -1, v7, vcc_lo
	v_add_co_u32 v14, vcc_lo, 0x80, v11
	v_mov_b32_e32 v11, v18
	v_ashrrev_i32_e32 v21, 31, v20
	s_wait_alu 0xfffd
	v_add_co_ci_u32_e64 v15, null, 0, v15, vcc_lo
	v_add_co_u32 v18, vcc_lo, s4, v22
	v_cmp_gt_i32_e64 s2, s9, v20
	v_cmp_le_i64_e64 s3, s[42:43], v[4:5]
	v_lshlrev_b64_e32 v[16:17], 3, v[2:3]
	v_lshlrev_b64_e32 v[20:21], 3, v[20:21]
	v_cmp_le_i32_e64 s0, s9, v2
	v_cmp_gt_i32_e64 s1, s9, v2
	s_wait_alu 0xfffd
	v_add_co_ci_u32_e64 v19, null, s5, v23, vcc_lo
	s_ashr_i32 s56, s10, 31
	s_lshl_b64 s[46:47], s[20:21], 8
	s_add_nc_u64 s[48:49], s[42:43], -16
	s_lshl_b64 s[16:17], s[38:39], 3
	s_lshl_b64 s[18:19], s[36:37], 3
	;; [unrolled: 1-line block ×3, first 2 shown]
	s_branch .LBB36_4
.LBB36_2:                               ;   in Loop: Header=BB36_4 Depth=1
	s_add_co_i32 s34, s34, 0x10000
	s_wait_alu 0xfffe
	s_cmp_ge_u32 s34, s11
	s_cselect_b32 s4, -1, 0
.LBB36_3:                               ;   in Loop: Header=BB36_4 Depth=1
	s_wait_alu 0xfffe
	s_and_b32 vcc_lo, exec_lo, s4
	s_wait_alu 0xfffe
	s_cbranch_vccnz .LBB36_55
.LBB36_4:                               ; =>This Loop Header: Depth=1
                                        ;     Child Loop BB36_8 Depth 2
                                        ;       Child Loop BB36_11 Depth 3
	s_mul_u64 s[4:5], s[14:15], s[34:35]
	s_wait_alu 0xfffe
	s_lshl_b64 s[4:5], s[4:5], 3
	s_wait_alu 0xfffe
	s_add_nc_u64 s[4:5], s[12:13], s[4:5]
	global_load_b64 v[22:23], v0, s[4:5]
	s_mov_b32 s4, -1
	s_wait_loadcnt 0x0
	v_cmp_eq_f64_e32 vcc_lo, 0, v[22:23]
	s_cbranch_vccnz .LBB36_3
; %bb.5:                                ;   in Loop: Header=BB36_4 Depth=1
	s_and_not1_b32 vcc_lo, exec_lo, s52
	s_wait_alu 0xfffe
	s_cbranch_vccnz .LBB36_2
; %bb.6:                                ;   in Loop: Header=BB36_4 Depth=1
	v_mad_co_u64_u32 v[24:25], null, s16, s34, v[14:15]
	s_load_b32 s9, s[44:45], 0x4
	v_mad_co_u64_u32 v[26:27], null, s20, s34, v[10:11]
	v_mad_co_u64_u32 v[28:29], null, s20, s34, v[18:19]
	s_mul_i32 s6, s21, s34
	v_mov_b32_e32 v1, v25
	s_mul_u64 s[4:5], s[30:31], s[34:35]
	s_mov_b32 s27, s33
	s_wait_alu 0xfffe
	v_add_nc_u32_e32 v27, s6, v27
	s_lshl_b64 s[4:5], s[4:5], 3
	v_mad_co_u64_u32 v[30:31], null, s17, s34, v[1:2]
	v_add_nc_u32_e32 v29, s6, v29
	s_wait_alu 0xfffe
	s_add_nc_u64 s[22:23], s[40:41], s[4:5]
	s_delay_alu instid0(VALU_DEP_2)
	v_dual_mov_b32 v25, v30 :: v_dual_mov_b32 v30, v60
	s_wait_kmcnt 0x0
	s_lshl_b32 s26, s9, 5
	s_branch .LBB36_8
.LBB36_7:                               ;   in Loop: Header=BB36_8 Depth=2
	s_wait_alu 0xfffe
	s_or_b32 exec_lo, exec_lo, s4
	v_add_nc_u32_e32 v30, s26, v30
	s_add_co_i32 s27, s9, s27
	s_wait_alu 0xfffe
	s_cmp_gt_i32 s27, s50
	s_cbranch_scc1 .LBB36_2
.LBB36_8:                               ;   Parent Loop BB36_4 Depth=1
                                        ; =>  This Loop Header: Depth=2
                                        ;       Child Loop BB36_11 Depth 3
	v_lshl_add_u32 v65, s27, 5, v54
	v_mov_b32_e32 v46, 0
	v_dual_mov_b32 v42, 0 :: v_dual_mov_b32 v47, 0
	v_dual_mov_b32 v44, 0 :: v_dual_mov_b32 v43, 0
	;; [unrolled: 1-line block ×3, first 2 shown]
	v_mov_b32_e32 v41, 0
	v_ashrrev_i32_e32 v66, 31, v65
	s_and_not1_b32 vcc_lo, exec_lo, s54
	s_wait_alu 0xfffe
	s_cbranch_vccnz .LBB36_47
; %bb.9:                                ;   in Loop: Header=BB36_8 Depth=2
	v_ashrrev_i32_e32 v31, 31, v30
	v_mad_co_u64_u32 v[32:33], null, s18, v30, v[24:25]
	v_mul_lo_u32 v1, s19, v30
	v_mov_b32_e32 v42, 0
	s_delay_alu instid0(VALU_DEP_4) | instskip(SKIP_3) | instid1(VALU_DEP_4)
	v_lshlrev_b64_e32 v[34:35], 3, v[30:31]
	v_mul_lo_u32 v31, s18, v31
	v_dual_mov_b32 v40, 0 :: v_dual_mov_b32 v37, v29
	v_dual_mov_b32 v43, 0 :: v_dual_mov_b32 v46, 0
	v_add_co_u32 v34, vcc_lo, 0x80, v34
	s_wait_alu 0xfffd
	v_add_co_ci_u32_e64 v35, null, 0, v35, vcc_lo
	v_sub_co_u32 v38, vcc_lo, s51, v65
	s_delay_alu instid0(VALU_DEP_3) | instskip(NEXT) | instid1(VALU_DEP_3)
	v_mul_lo_u32 v45, s37, v34
	v_mul_lo_u32 v44, s36, v35
	v_mad_co_u64_u32 v[34:35], null, s36, v34, v[24:25]
	s_wait_alu 0xfffd
	v_sub_co_ci_u32_e64 v39, null, s56, v66, vcc_lo
	v_dual_mov_b32 v41, 0 :: v_dual_mov_b32 v36, v28
	v_add3_u32 v33, v1, v33, v31
	s_delay_alu instid0(VALU_DEP_3)
	v_cmp_lt_i64_e32 vcc_lo, 0, v[38:39]
	v_cmp_lt_i64_e64 s4, 16, v[38:39]
	v_add3_u32 v35, v45, v35, v44
	v_dual_mov_b32 v44, 0 :: v_dual_mov_b32 v39, v27
	v_mov_b32_e32 v45, 0
	v_dual_mov_b32 v47, 0 :: v_dual_mov_b32 v38, v26
	s_mov_b64 s[24:25], 0
	s_branch .LBB36_11
.LBB36_10:                              ;   in Loop: Header=BB36_11 Depth=3
	s_wait_alu 0xfffe
	s_or_b32 exec_lo, exec_lo, s5
	s_wait_dscnt 0x0
	s_barrier_signal -1
	s_barrier_wait -1
	global_inv scope:SCOPE_SE
	ds_load_b128 v[48:51], v57
	ds_load_2addr_b64 v[67:70], v56 offset1:16
	ds_load_b128 v[71:74], v57 offset:4096
	ds_load_b128 v[75:78], v57 offset:16
	;; [unrolled: 1-line block ×3, first 2 shown]
	v_add_co_u32 v32, s5, 0x100, v32
	s_wait_alu 0xf1ff
	v_add_co_ci_u32_e64 v33, null, 0, v33, s5
	v_add_co_u32 v38, s5, v38, s46
	s_wait_alu 0xf1ff
	v_add_co_ci_u32_e64 v39, null, s47, v39, s5
	;; [unrolled: 3-line block ×3, first 2 shown]
	v_add_co_u32 v36, s5, v36, s46
	s_add_nc_u64 s[24:25], s[24:25], 32
	v_add_co_ci_u32_e64 v37, null, s47, v37, s5
	s_wait_dscnt 0x3
	v_fma_f64 v[46:47], v[67:68], v[48:49], v[46:47]
	v_fma_f64 v[44:45], v[69:70], v[48:49], v[44:45]
	s_wait_dscnt 0x2
	v_fma_f64 v[48:49], v[67:68], v[71:72], v[42:43]
	v_fma_f64 v[52:53], v[69:70], v[71:72], v[40:41]
	ds_load_2addr_b64 v[40:43], v56 offset0:32 offset1:48
	s_wait_alu 0xfffe
	s_sub_co_i32 s5, s24, 32
	s_wait_alu 0xfffe
	s_cmp_ge_i32 s5, s53
	s_wait_dscnt 0x0
	v_fma_f64 v[46:47], v[40:41], v[50:51], v[46:47]
	v_fma_f64 v[44:45], v[42:43], v[50:51], v[44:45]
	v_fma_f64 v[48:49], v[40:41], v[73:74], v[48:49]
	v_fma_f64 v[50:51], v[42:43], v[73:74], v[52:53]
	ds_load_2addr_b64 v[40:43], v56 offset0:64 offset1:80
	s_wait_dscnt 0x0
	v_fma_f64 v[46:47], v[40:41], v[75:76], v[46:47]
	v_fma_f64 v[44:45], v[42:43], v[75:76], v[44:45]
	v_fma_f64 v[48:49], v[40:41], v[79:80], v[48:49]
	v_fma_f64 v[50:51], v[42:43], v[79:80], v[50:51]
	ds_load_2addr_b64 v[40:43], v56 offset0:96 offset1:112
	s_wait_dscnt 0x0
	v_fma_f64 v[52:53], v[40:41], v[77:78], v[46:47]
	v_fma_f64 v[75:76], v[42:43], v[77:78], v[44:45]
	v_fma_f64 v[77:78], v[40:41], v[81:82], v[48:49]
	v_fma_f64 v[79:80], v[42:43], v[81:82], v[50:51]
	ds_load_b128 v[40:43], v57 offset:32
	ds_load_2addr_b64 v[44:47], v56 offset0:128 offset1:144
	ds_load_b128 v[48:51], v57 offset:4128
	ds_load_b128 v[67:70], v57 offset:48
	ds_load_b128 v[71:74], v57 offset:4144
	s_wait_dscnt 0x3
	v_fma_f64 v[52:53], v[44:45], v[40:41], v[52:53]
	v_fma_f64 v[40:41], v[46:47], v[40:41], v[75:76]
	s_wait_dscnt 0x2
	v_fma_f64 v[75:76], v[44:45], v[48:49], v[77:78]
	v_fma_f64 v[48:49], v[46:47], v[48:49], v[79:80]
	ds_load_2addr_b64 v[44:47], v56 offset0:160 offset1:176
	s_wait_dscnt 0x0
	v_fma_f64 v[52:53], v[44:45], v[42:43], v[52:53]
	v_fma_f64 v[77:78], v[46:47], v[42:43], v[40:41]
	v_fma_f64 v[44:45], v[44:45], v[50:51], v[75:76]
	v_fma_f64 v[46:47], v[46:47], v[50:51], v[48:49]
	ds_load_2addr_b64 v[40:43], v56 offset0:192 offset1:208
	s_wait_dscnt 0x0
	v_fma_f64 v[48:49], v[40:41], v[67:68], v[52:53]
	v_fma_f64 v[50:51], v[42:43], v[67:68], v[77:78]
	v_fma_f64 v[44:45], v[40:41], v[71:72], v[44:45]
	v_fma_f64 v[46:47], v[42:43], v[71:72], v[46:47]
	ds_load_2addr_b64 v[40:43], v56 offset0:224 offset1:240
	s_wait_dscnt 0x0
	v_fma_f64 v[52:53], v[40:41], v[69:70], v[48:49]
	v_fma_f64 v[75:76], v[42:43], v[69:70], v[50:51]
	v_fma_f64 v[77:78], v[40:41], v[73:74], v[44:45]
	v_fma_f64 v[79:80], v[42:43], v[73:74], v[46:47]
	ds_load_b128 v[40:43], v57 offset:64
	ds_load_2addr_b64 v[44:47], v62 offset1:16
	ds_load_b128 v[48:51], v57 offset:4160
	ds_load_b128 v[67:70], v57 offset:80
	ds_load_b128 v[71:74], v57 offset:4176
	s_wait_dscnt 0x3
	v_fma_f64 v[52:53], v[44:45], v[40:41], v[52:53]
	v_fma_f64 v[40:41], v[46:47], v[40:41], v[75:76]
	s_wait_dscnt 0x2
	v_fma_f64 v[75:76], v[44:45], v[48:49], v[77:78]
	v_fma_f64 v[48:49], v[46:47], v[48:49], v[79:80]
	ds_load_2addr_b64 v[44:47], v62 offset0:32 offset1:48
	s_wait_dscnt 0x0
	v_fma_f64 v[52:53], v[44:45], v[42:43], v[52:53]
	v_fma_f64 v[77:78], v[46:47], v[42:43], v[40:41]
	v_fma_f64 v[44:45], v[44:45], v[50:51], v[75:76]
	v_fma_f64 v[46:47], v[46:47], v[50:51], v[48:49]
	ds_load_2addr_b64 v[40:43], v62 offset0:64 offset1:80
	s_wait_dscnt 0x0
	v_fma_f64 v[48:49], v[40:41], v[67:68], v[52:53]
	v_fma_f64 v[50:51], v[42:43], v[67:68], v[77:78]
	v_fma_f64 v[44:45], v[40:41], v[71:72], v[44:45]
	v_fma_f64 v[46:47], v[42:43], v[71:72], v[46:47]
	ds_load_2addr_b64 v[40:43], v62 offset0:96 offset1:112
	s_wait_dscnt 0x0
	v_fma_f64 v[52:53], v[40:41], v[69:70], v[48:49]
	v_fma_f64 v[75:76], v[42:43], v[69:70], v[50:51]
	v_fma_f64 v[77:78], v[40:41], v[73:74], v[44:45]
	v_fma_f64 v[79:80], v[42:43], v[73:74], v[46:47]
	ds_load_b128 v[40:43], v57 offset:96
	ds_load_2addr_b64 v[44:47], v62 offset0:128 offset1:144
	ds_load_b128 v[48:51], v57 offset:4192
	ds_load_b128 v[67:70], v57 offset:112
	ds_load_b128 v[71:74], v57 offset:4208
	s_wait_dscnt 0x3
	v_fma_f64 v[52:53], v[44:45], v[40:41], v[52:53]
	v_fma_f64 v[40:41], v[46:47], v[40:41], v[75:76]
	s_wait_dscnt 0x2
	v_fma_f64 v[75:76], v[44:45], v[48:49], v[77:78]
	v_fma_f64 v[48:49], v[46:47], v[48:49], v[79:80]
	ds_load_2addr_b64 v[44:47], v62 offset0:160 offset1:176
	s_wait_dscnt 0x0
	v_fma_f64 v[52:53], v[44:45], v[42:43], v[52:53]
	v_fma_f64 v[77:78], v[46:47], v[42:43], v[40:41]
	v_fma_f64 v[44:45], v[44:45], v[50:51], v[75:76]
	v_fma_f64 v[46:47], v[46:47], v[50:51], v[48:49]
	ds_load_2addr_b64 v[40:43], v62 offset0:192 offset1:208
	s_wait_dscnt 0x0
	v_fma_f64 v[48:49], v[40:41], v[67:68], v[52:53]
	v_fma_f64 v[50:51], v[42:43], v[67:68], v[77:78]
	v_fma_f64 v[44:45], v[40:41], v[71:72], v[44:45]
	v_fma_f64 v[46:47], v[42:43], v[71:72], v[46:47]
	ds_load_2addr_b64 v[40:43], v62 offset0:224 offset1:240
	s_wait_dscnt 0x0
	v_fma_f64 v[52:53], v[40:41], v[69:70], v[48:49]
	v_fma_f64 v[75:76], v[42:43], v[69:70], v[50:51]
	v_fma_f64 v[77:78], v[40:41], v[73:74], v[44:45]
	v_fma_f64 v[79:80], v[42:43], v[73:74], v[46:47]
	ds_load_b128 v[40:43], v57 offset:128
	ds_load_2addr_b64 v[44:47], v63 offset1:16
	ds_load_b128 v[48:51], v57 offset:4224
	ds_load_b128 v[67:70], v57 offset:144
	ds_load_b128 v[71:74], v57 offset:4240
	s_wait_dscnt 0x3
	v_fma_f64 v[52:53], v[44:45], v[40:41], v[52:53]
	v_fma_f64 v[40:41], v[46:47], v[40:41], v[75:76]
	s_wait_dscnt 0x2
	v_fma_f64 v[75:76], v[44:45], v[48:49], v[77:78]
	v_fma_f64 v[48:49], v[46:47], v[48:49], v[79:80]
	ds_load_2addr_b64 v[44:47], v63 offset0:32 offset1:48
	;; [unrolled: 58-line block ×3, first 2 shown]
	s_wait_dscnt 0x0
	v_fma_f64 v[52:53], v[44:45], v[42:43], v[52:53]
	v_fma_f64 v[77:78], v[46:47], v[42:43], v[40:41]
	v_fma_f64 v[44:45], v[44:45], v[50:51], v[75:76]
	v_fma_f64 v[46:47], v[46:47], v[50:51], v[48:49]
	ds_load_2addr_b64 v[40:43], v64 offset0:64 offset1:80
	s_wait_dscnt 0x0
	v_fma_f64 v[48:49], v[40:41], v[67:68], v[52:53]
	v_fma_f64 v[50:51], v[42:43], v[67:68], v[77:78]
	;; [unrolled: 1-line block ×4, first 2 shown]
	ds_load_2addr_b64 v[40:43], v64 offset0:96 offset1:112
	s_wait_dscnt 0x0
	v_fma_f64 v[52:53], v[40:41], v[69:70], v[48:49]
	v_fma_f64 v[75:76], v[42:43], v[69:70], v[50:51]
	;; [unrolled: 1-line block ×4, first 2 shown]
	ds_load_b128 v[40:43], v57 offset:224
	ds_load_2addr_b64 v[44:47], v64 offset0:128 offset1:144
	ds_load_b128 v[48:51], v57 offset:4320
	ds_load_b128 v[67:70], v57 offset:240
	;; [unrolled: 1-line block ×3, first 2 shown]
	s_wait_dscnt 0x3
	v_fma_f64 v[52:53], v[44:45], v[40:41], v[52:53]
	v_fma_f64 v[40:41], v[46:47], v[40:41], v[75:76]
	s_wait_dscnt 0x2
	v_fma_f64 v[75:76], v[44:45], v[48:49], v[77:78]
	v_fma_f64 v[48:49], v[46:47], v[48:49], v[79:80]
	ds_load_2addr_b64 v[44:47], v64 offset0:160 offset1:176
	s_wait_dscnt 0x0
	v_fma_f64 v[52:53], v[44:45], v[42:43], v[52:53]
	v_fma_f64 v[77:78], v[46:47], v[42:43], v[40:41]
	;; [unrolled: 1-line block ×4, first 2 shown]
	ds_load_2addr_b64 v[40:43], v64 offset0:192 offset1:208
	ds_load_2addr_b64 v[48:51], v64 offset0:224 offset1:240
	s_wait_loadcnt_dscnt 0x0
	s_barrier_signal -1
	s_barrier_wait -1
	global_inv scope:SCOPE_SE
	v_fma_f64 v[52:53], v[40:41], v[67:68], v[52:53]
	v_fma_f64 v[67:68], v[42:43], v[67:68], v[77:78]
	;; [unrolled: 1-line block ×4, first 2 shown]
	s_delay_alu instid0(VALU_DEP_4) | instskip(NEXT) | instid1(VALU_DEP_4)
	v_fma_f64 v[46:47], v[48:49], v[69:70], v[52:53]
	v_fma_f64 v[44:45], v[50:51], v[69:70], v[67:68]
	s_delay_alu instid0(VALU_DEP_4) | instskip(NEXT) | instid1(VALU_DEP_4)
	v_fma_f64 v[42:43], v[48:49], v[73:74], v[40:41]
	v_fma_f64 v[40:41], v[50:51], v[73:74], v[71:72]
	s_cbranch_scc1 .LBB36_47
.LBB36_11:                              ;   Parent Loop BB36_4 Depth=1
                                        ;     Parent Loop BB36_8 Depth=2
                                        ; =>    This Inner Loop Header: Depth=3
	s_wait_alu 0xfffe
	v_add_co_u32 v48, s5, v54, s24
	s_wait_alu 0xf1ff
	v_add_co_ci_u32_e64 v49, null, 0, s25, s5
	v_cmp_eq_u64_e64 s7, s[24:25], v[6:7]
                                        ; implicit-def: $vgpr52_vgpr53
	s_delay_alu instid0(VALU_DEP_2)
	v_cmp_le_i64_e64 s6, s[42:43], v[48:49]
	v_cmp_gt_i64_e64 s5, v[48:49], v[2:3]
	s_and_b32 s38, s55, s7
	v_add_co_u32 v50, s7, v36, v16
	s_wait_alu 0xf1ff
	v_add_co_ci_u32_e64 v51, null, v37, v17, s7
	s_or_b32 s8, s6, s5
	s_wait_alu 0xfffe
	s_or_b32 s7, s8, s38
	s_wait_alu 0xfffe
	s_nor_b32 s7, s0, s7
	s_wait_alu 0xfffe
	s_and_saveexec_b32 s8, s7
	s_wait_alu 0xfffe
	s_xor_b32 s7, exec_lo, s8
	s_cbranch_execz .LBB36_13
; %bb.12:                               ;   in Loop: Header=BB36_11 Depth=3
	global_load_b64 v[52:53], v[50:51], off
.LBB36_13:                              ;   in Loop: Header=BB36_11 Depth=3
	s_wait_alu 0xfffe
	s_and_not1_saveexec_b32 s7, s7
	s_cbranch_execz .LBB36_15
; %bb.14:                               ;   in Loop: Header=BB36_11 Depth=3
	v_cndmask_b32_e64 v1, 0, 0x3ff00000, s38
	s_wait_loadcnt 0x0
	s_delay_alu instid0(VALU_DEP_1)
	v_dual_mov_b32 v53, v1 :: v_dual_mov_b32 v52, v0
.LBB36_15:                              ;   in Loop: Header=BB36_11 Depth=3
	s_wait_alu 0xfffe
	s_or_b32 exec_lo, exec_lo, s7
	v_cmp_eq_u64_e64 s7, s[24:25], v[8:9]
	v_cmp_lt_i64_e64 s8, v[4:5], v[48:49]
	s_wait_loadcnt 0x0
	ds_store_b64 v58, v[52:53]
	s_and_b32 s7, s55, s7
	s_or_b32 s6, s6, s8
	s_wait_alu 0xfffe
	s_or_b32 s6, s6, s7
	s_wait_alu 0xfffe
	s_nor_b32 s6, s3, s6
	s_wait_alu 0xfffe
	s_and_saveexec_b32 s8, s6
	s_wait_alu 0xfffe
	s_xor_b32 s6, exec_lo, s8
	s_cbranch_execz .LBB36_17
; %bb.16:                               ;   in Loop: Header=BB36_11 Depth=3
	global_load_b64 v[50:51], v[50:51], off offset:128
	s_wait_loadcnt 0x0
	ds_store_b64 v58, v[50:51] offset:128
.LBB36_17:                              ;   in Loop: Header=BB36_11 Depth=3
	s_wait_alu 0xfffe
	s_and_not1_saveexec_b32 s6, s6
	s_cbranch_execz .LBB36_23
; %bb.18:                               ;   in Loop: Header=BB36_11 Depth=3
	s_xor_b32 s7, s7, -1
	s_wait_alu 0xfffe
	s_and_saveexec_b32 s8, s7
	s_wait_alu 0xfffe
	s_xor_b32 s7, exec_lo, s8
; %bb.19:                               ;   in Loop: Header=BB36_11 Depth=3
	v_mov_b32_e32 v1, v0
	ds_store_b64 v58, v[0:1] offset:128
; %bb.20:                               ;   in Loop: Header=BB36_11 Depth=3
	s_wait_alu 0xfffe
	s_and_not1_saveexec_b32 s7, s7
; %bb.21:                               ;   in Loop: Header=BB36_11 Depth=3
	v_mov_b32_e32 v1, v61
	ds_store_b64 v58, v[0:1] offset:128
; %bb.22:                               ;   in Loop: Header=BB36_11 Depth=3
	s_wait_alu 0xfffe
	s_or_b32 exec_lo, exec_lo, s7
.LBB36_23:                              ;   in Loop: Header=BB36_11 Depth=3
	s_wait_alu 0xfffe
	s_or_b32 exec_lo, exec_lo, s6
	v_add_co_u32 v48, s6, v48, 16
	s_wait_alu 0xf1ff
	v_add_co_ci_u32_e64 v49, null, 0, v49, s6
	v_cmp_eq_u64_e64 s7, s[24:25], v[12:13]
                                        ; implicit-def: $vgpr50_vgpr51
	s_delay_alu instid0(VALU_DEP_2)
	v_cmp_le_i64_e64 s6, s[42:43], v[48:49]
	v_cmp_gt_i64_e64 s8, v[48:49], v[2:3]
	s_and_b32 s39, s55, s7
	v_add_co_u32 v48, s7, v38, v16
	s_wait_alu 0xf1ff
	v_add_co_ci_u32_e64 v49, null, v39, v17, s7
	s_or_b32 s8, s6, s8
	s_wait_alu 0xfffe
	s_or_b32 s7, s8, s39
	s_wait_alu 0xfffe
	s_nor_b32 s7, s0, s7
	s_wait_alu 0xfffe
	s_and_saveexec_b32 s8, s7
	s_wait_alu 0xfffe
	s_xor_b32 s7, exec_lo, s8
	s_cbranch_execz .LBB36_25
; %bb.24:                               ;   in Loop: Header=BB36_11 Depth=3
	global_load_b64 v[50:51], v[48:49], off
.LBB36_25:                              ;   in Loop: Header=BB36_11 Depth=3
	s_wait_alu 0xfffe
	s_and_not1_saveexec_b32 s7, s7
	s_cbranch_execz .LBB36_27
; %bb.26:                               ;   in Loop: Header=BB36_11 Depth=3
	v_cndmask_b32_e64 v1, 0, 0x3ff00000, s39
	s_wait_loadcnt 0x0
	s_delay_alu instid0(VALU_DEP_1)
	v_dual_mov_b32 v51, v1 :: v_dual_mov_b32 v50, v0
.LBB36_27:                              ;   in Loop: Header=BB36_11 Depth=3
	s_wait_alu 0xfffe
	s_or_b32 exec_lo, exec_lo, s7
	s_or_b32 s5, s6, s5
	s_wait_loadcnt 0x0
	ds_store_b64 v58, v[50:51] offset:4096
	s_wait_alu 0xfffe
	s_or_b32 s5, s5, s38
	s_wait_alu 0xfffe
	s_nor_b32 s5, s3, s5
	s_wait_alu 0xfffe
	s_and_saveexec_b32 s6, s5
	s_wait_alu 0xfffe
	s_xor_b32 s5, exec_lo, s6
	s_cbranch_execz .LBB36_29
; %bb.28:                               ;   in Loop: Header=BB36_11 Depth=3
	global_load_b64 v[48:49], v[48:49], off offset:128
	s_wait_loadcnt 0x0
	ds_store_b64 v58, v[48:49] offset:4224
.LBB36_29:                              ;   in Loop: Header=BB36_11 Depth=3
	s_wait_alu 0xfffe
	s_and_not1_saveexec_b32 s5, s5
	s_cbranch_execz .LBB36_35
; %bb.30:                               ;   in Loop: Header=BB36_11 Depth=3
	s_xor_b32 s6, s38, -1
	s_wait_alu 0xfffe
	s_and_saveexec_b32 s7, s6
	s_wait_alu 0xfffe
	s_xor_b32 s6, exec_lo, s7
; %bb.31:                               ;   in Loop: Header=BB36_11 Depth=3
	v_mov_b32_e32 v1, v0
	ds_store_b64 v58, v[0:1] offset:4224
; %bb.32:                               ;   in Loop: Header=BB36_11 Depth=3
	s_wait_alu 0xfffe
	s_and_not1_saveexec_b32 s6, s6
; %bb.33:                               ;   in Loop: Header=BB36_11 Depth=3
	v_mov_b32_e32 v1, v61
	ds_store_b64 v58, v[0:1] offset:4224
; %bb.34:                               ;   in Loop: Header=BB36_11 Depth=3
	s_wait_alu 0xfffe
	s_or_b32 exec_lo, exec_lo, s6
.LBB36_35:                              ;   in Loop: Header=BB36_11 Depth=3
	s_wait_alu 0xfffe
	s_or_b32 exec_lo, exec_lo, s5
	v_add_co_u32 v48, s5, v55, s24
	s_wait_alu 0xf1ff
	v_add_co_ci_u32_e64 v49, null, 0, s25, s5
	v_mov_b32_e32 v50, 0
	v_mov_b32_e32 v51, 0
	s_delay_alu instid0(VALU_DEP_3)
	v_cmp_gt_i64_e64 s5, s[42:43], v[48:49]
	s_and_b32 s7, vcc_lo, s5
	s_wait_alu 0xfffe
	s_and_saveexec_b32 s6, s7
	s_cbranch_execz .LBB36_37
; %bb.36:                               ;   in Loop: Header=BB36_11 Depth=3
	global_load_b64 v[50:51], v[32:33], off offset:-128
.LBB36_37:                              ;   in Loop: Header=BB36_11 Depth=3
	s_wait_alu 0xfffe
	s_or_b32 exec_lo, exec_lo, s6
	v_cmp_gt_i64_e64 s6, s[48:49], v[48:49]
	s_wait_loadcnt 0x0
	ds_store_b64 v59, v[50:51]
	s_and_b32 s7, vcc_lo, s6
	s_wait_alu 0xfffe
	s_xor_b32 s7, s7, -1
	s_wait_alu 0xfffe
	s_and_saveexec_b32 s8, s7
	s_wait_alu 0xfffe
	s_xor_b32 s7, exec_lo, s8
; %bb.38:                               ;   in Loop: Header=BB36_11 Depth=3
	v_mov_b32_e32 v1, v0
	ds_store_b64 v59, v[0:1] offset:128
; %bb.39:                               ;   in Loop: Header=BB36_11 Depth=3
	s_wait_alu 0xfffe
	s_and_not1_saveexec_b32 s7, s7
	s_cbranch_execz .LBB36_41
; %bb.40:                               ;   in Loop: Header=BB36_11 Depth=3
	global_load_b64 v[48:49], v[32:33], off
	s_wait_loadcnt 0x0
	ds_store_b64 v59, v[48:49] offset:128
.LBB36_41:                              ;   in Loop: Header=BB36_11 Depth=3
	s_wait_alu 0xfffe
	s_or_b32 exec_lo, exec_lo, s7
	v_mov_b32_e32 v48, 0
	v_mov_b32_e32 v49, 0
	s_and_b32 s7, s4, s5
	s_wait_alu 0xfffe
	s_and_saveexec_b32 s5, s7
	s_cbranch_execz .LBB36_43
; %bb.42:                               ;   in Loop: Header=BB36_11 Depth=3
	global_load_b64 v[48:49], v[34:35], off offset:-128
.LBB36_43:                              ;   in Loop: Header=BB36_11 Depth=3
	s_wait_alu 0xfffe
	s_or_b32 exec_lo, exec_lo, s5
	s_and_b32 s5, s4, s6
	s_wait_loadcnt 0x0
	ds_store_b64 v59, v[48:49] offset:4096
	s_wait_alu 0xfffe
	s_xor_b32 s5, s5, -1
	s_wait_alu 0xfffe
	s_and_saveexec_b32 s6, s5
	s_wait_alu 0xfffe
	s_xor_b32 s5, exec_lo, s6
; %bb.44:                               ;   in Loop: Header=BB36_11 Depth=3
	v_mov_b32_e32 v1, v0
	ds_store_b64 v59, v[0:1] offset:4224
; %bb.45:                               ;   in Loop: Header=BB36_11 Depth=3
	s_wait_alu 0xfffe
	s_and_not1_saveexec_b32 s5, s5
	s_cbranch_execz .LBB36_10
; %bb.46:                               ;   in Loop: Header=BB36_11 Depth=3
	global_load_b64 v[48:49], v[34:35], off
	s_wait_loadcnt 0x0
	ds_store_b64 v59, v[48:49] offset:4224
	s_branch .LBB36_10
.LBB36_47:                              ;   in Loop: Header=BB36_8 Depth=2
	v_mul_lo_u32 v1, s29, v65
	v_mul_lo_u32 v33, s28, v66
	v_mad_co_u64_u32 v[31:32], null, s28, v65, 0
	v_cmp_gt_i32_e32 vcc_lo, s10, v65
	s_delay_alu instid0(VALU_DEP_2) | instskip(NEXT) | instid1(VALU_DEP_1)
	v_add3_u32 v32, v32, v33, v1
	v_lshlrev_b64_e32 v[31:32], 3, v[31:32]
	s_delay_alu instid0(VALU_DEP_1) | instskip(SKIP_1) | instid1(VALU_DEP_2)
	v_add_co_u32 v1, s4, s22, v31
	s_wait_alu 0xf1ff
	v_add_co_ci_u32_e64 v31, null, s23, v32, s4
	s_and_b32 s4, s1, vcc_lo
	s_wait_alu 0xfffe
	s_and_saveexec_b32 s5, s4
	s_cbranch_execz .LBB36_49
; %bb.48:                               ;   in Loop: Header=BB36_8 Depth=2
	v_add_co_u32 v32, s4, v1, v16
	s_wait_alu 0xf1ff
	v_add_co_ci_u32_e64 v33, null, v31, v17, s4
	global_load_b64 v[34:35], v[32:33], off
	s_wait_loadcnt 0x0
	v_fma_f64 v[34:35], v[22:23], v[46:47], v[34:35]
	global_store_b64 v[32:33], v[34:35], off
.LBB36_49:                              ;   in Loop: Header=BB36_8 Depth=2
	s_wait_alu 0xfffe
	s_or_b32 exec_lo, exec_lo, s5
	s_and_b32 s5, s2, vcc_lo
	s_wait_alu 0xfffe
	s_and_saveexec_b32 s4, s5
	s_cbranch_execz .LBB36_51
; %bb.50:                               ;   in Loop: Header=BB36_8 Depth=2
	v_add_co_u32 v32, vcc_lo, v1, v20
	s_wait_alu 0xfffd
	v_add_co_ci_u32_e64 v33, null, v31, v21, vcc_lo
	global_load_b64 v[34:35], v[32:33], off
	s_wait_loadcnt 0x0
	v_fma_f64 v[34:35], v[22:23], v[44:45], v[34:35]
	global_store_b64 v[32:33], v[34:35], off
.LBB36_51:                              ;   in Loop: Header=BB36_8 Depth=2
	s_wait_alu 0xfffe
	s_or_b32 exec_lo, exec_lo, s4
	v_add_nc_u32_e32 v1, 16, v65
	s_delay_alu instid0(VALU_DEP_1) | instskip(SKIP_3) | instid1(VALU_DEP_4)
	v_ashrrev_i32_e32 v33, 31, v1
	v_mul_lo_u32 v34, s29, v1
	v_mad_co_u64_u32 v[31:32], null, s28, v1, 0
	v_cmp_gt_i32_e32 vcc_lo, s10, v1
	v_mul_lo_u32 v33, s28, v33
	s_delay_alu instid0(VALU_DEP_1) | instskip(NEXT) | instid1(VALU_DEP_1)
	v_add3_u32 v32, v32, v33, v34
	v_lshlrev_b64_e32 v[31:32], 3, v[31:32]
	s_delay_alu instid0(VALU_DEP_1) | instskip(SKIP_1) | instid1(VALU_DEP_2)
	v_add_co_u32 v1, s4, s22, v31
	s_wait_alu 0xf1ff
	v_add_co_ci_u32_e64 v31, null, s23, v32, s4
	s_and_b32 s4, s1, vcc_lo
	s_wait_alu 0xfffe
	s_and_saveexec_b32 s5, s4
	s_cbranch_execz .LBB36_53
; %bb.52:                               ;   in Loop: Header=BB36_8 Depth=2
	v_add_co_u32 v32, s4, v1, v16
	s_wait_alu 0xf1ff
	v_add_co_ci_u32_e64 v33, null, v31, v17, s4
	global_load_b64 v[34:35], v[32:33], off
	s_wait_loadcnt 0x0
	v_fma_f64 v[34:35], v[22:23], v[42:43], v[34:35]
	global_store_b64 v[32:33], v[34:35], off
.LBB36_53:                              ;   in Loop: Header=BB36_8 Depth=2
	s_wait_alu 0xfffe
	s_or_b32 exec_lo, exec_lo, s5
	s_and_b32 s5, s2, vcc_lo
	s_wait_alu 0xfffe
	s_and_saveexec_b32 s4, s5
	s_cbranch_execz .LBB36_7
; %bb.54:                               ;   in Loop: Header=BB36_8 Depth=2
	v_add_co_u32 v32, vcc_lo, v1, v20
	s_wait_alu 0xfffd
	v_add_co_ci_u32_e64 v33, null, v31, v21, vcc_lo
	global_load_b64 v[34:35], v[32:33], off
	s_wait_loadcnt 0x0
	v_fma_f64 v[34:35], v[22:23], v[40:41], v[34:35]
	global_store_b64 v[32:33], v[34:35], off
	s_branch .LBB36_7
.LBB36_55:
	s_endpgm
	.section	.rodata,"a",@progbits
	.p2align	6, 0x0
	.amdhsa_kernel _ZL30rocblas_trmm_outofplace_kernelIdLi32ELi2ELb1ELb0ELb0ELb0EPKdS0_dEv17rocblas_diagonal_iiT6_lPT7_lllS5_lllPT8_llli
		.amdhsa_group_segment_fixed_size 16384
		.amdhsa_private_segment_fixed_size 0
		.amdhsa_kernarg_size 392
		.amdhsa_user_sgpr_count 2
		.amdhsa_user_sgpr_dispatch_ptr 0
		.amdhsa_user_sgpr_queue_ptr 0
		.amdhsa_user_sgpr_kernarg_segment_ptr 1
		.amdhsa_user_sgpr_dispatch_id 0
		.amdhsa_user_sgpr_private_segment_size 0
		.amdhsa_wavefront_size32 1
		.amdhsa_uses_dynamic_stack 0
		.amdhsa_enable_private_segment 0
		.amdhsa_system_sgpr_workgroup_id_x 1
		.amdhsa_system_sgpr_workgroup_id_y 1
		.amdhsa_system_sgpr_workgroup_id_z 1
		.amdhsa_system_sgpr_workgroup_info 0
		.amdhsa_system_vgpr_workitem_id 1
		.amdhsa_next_free_vgpr 83
		.amdhsa_next_free_sgpr 57
		.amdhsa_reserve_vcc 1
		.amdhsa_float_round_mode_32 0
		.amdhsa_float_round_mode_16_64 0
		.amdhsa_float_denorm_mode_32 3
		.amdhsa_float_denorm_mode_16_64 3
		.amdhsa_fp16_overflow 0
		.amdhsa_workgroup_processor_mode 1
		.amdhsa_memory_ordered 1
		.amdhsa_forward_progress 1
		.amdhsa_inst_pref_size 35
		.amdhsa_round_robin_scheduling 0
		.amdhsa_exception_fp_ieee_invalid_op 0
		.amdhsa_exception_fp_denorm_src 0
		.amdhsa_exception_fp_ieee_div_zero 0
		.amdhsa_exception_fp_ieee_overflow 0
		.amdhsa_exception_fp_ieee_underflow 0
		.amdhsa_exception_fp_ieee_inexact 0
		.amdhsa_exception_int_div_zero 0
	.end_amdhsa_kernel
	.section	.text._ZL30rocblas_trmm_outofplace_kernelIdLi32ELi2ELb1ELb0ELb0ELb0EPKdS0_dEv17rocblas_diagonal_iiT6_lPT7_lllS5_lllPT8_llli,"axG",@progbits,_ZL30rocblas_trmm_outofplace_kernelIdLi32ELi2ELb1ELb0ELb0ELb0EPKdS0_dEv17rocblas_diagonal_iiT6_lPT7_lllS5_lllPT8_llli,comdat
.Lfunc_end36:
	.size	_ZL30rocblas_trmm_outofplace_kernelIdLi32ELi2ELb1ELb0ELb0ELb0EPKdS0_dEv17rocblas_diagonal_iiT6_lPT7_lllS5_lllPT8_llli, .Lfunc_end36-_ZL30rocblas_trmm_outofplace_kernelIdLi32ELi2ELb1ELb0ELb0ELb0EPKdS0_dEv17rocblas_diagonal_iiT6_lPT7_lllS5_lllPT8_llli
                                        ; -- End function
	.set _ZL30rocblas_trmm_outofplace_kernelIdLi32ELi2ELb1ELb0ELb0ELb0EPKdS0_dEv17rocblas_diagonal_iiT6_lPT7_lllS5_lllPT8_llli.num_vgpr, 83
	.set _ZL30rocblas_trmm_outofplace_kernelIdLi32ELi2ELb1ELb0ELb0ELb0EPKdS0_dEv17rocblas_diagonal_iiT6_lPT7_lllS5_lllPT8_llli.num_agpr, 0
	.set _ZL30rocblas_trmm_outofplace_kernelIdLi32ELi2ELb1ELb0ELb0ELb0EPKdS0_dEv17rocblas_diagonal_iiT6_lPT7_lllS5_lllPT8_llli.numbered_sgpr, 57
	.set _ZL30rocblas_trmm_outofplace_kernelIdLi32ELi2ELb1ELb0ELb0ELb0EPKdS0_dEv17rocblas_diagonal_iiT6_lPT7_lllS5_lllPT8_llli.num_named_barrier, 0
	.set _ZL30rocblas_trmm_outofplace_kernelIdLi32ELi2ELb1ELb0ELb0ELb0EPKdS0_dEv17rocblas_diagonal_iiT6_lPT7_lllS5_lllPT8_llli.private_seg_size, 0
	.set _ZL30rocblas_trmm_outofplace_kernelIdLi32ELi2ELb1ELb0ELb0ELb0EPKdS0_dEv17rocblas_diagonal_iiT6_lPT7_lllS5_lllPT8_llli.uses_vcc, 1
	.set _ZL30rocblas_trmm_outofplace_kernelIdLi32ELi2ELb1ELb0ELb0ELb0EPKdS0_dEv17rocblas_diagonal_iiT6_lPT7_lllS5_lllPT8_llli.uses_flat_scratch, 0
	.set _ZL30rocblas_trmm_outofplace_kernelIdLi32ELi2ELb1ELb0ELb0ELb0EPKdS0_dEv17rocblas_diagonal_iiT6_lPT7_lllS5_lllPT8_llli.has_dyn_sized_stack, 0
	.set _ZL30rocblas_trmm_outofplace_kernelIdLi32ELi2ELb1ELb0ELb0ELb0EPKdS0_dEv17rocblas_diagonal_iiT6_lPT7_lllS5_lllPT8_llli.has_recursion, 0
	.set _ZL30rocblas_trmm_outofplace_kernelIdLi32ELi2ELb1ELb0ELb0ELb0EPKdS0_dEv17rocblas_diagonal_iiT6_lPT7_lllS5_lllPT8_llli.has_indirect_call, 0
	.section	.AMDGPU.csdata,"",@progbits
; Kernel info:
; codeLenInByte = 4360
; TotalNumSgprs: 59
; NumVgprs: 83
; ScratchSize: 0
; MemoryBound: 0
; FloatMode: 240
; IeeeMode: 1
; LDSByteSize: 16384 bytes/workgroup (compile time only)
; SGPRBlocks: 0
; VGPRBlocks: 10
; NumSGPRsForWavesPerEU: 59
; NumVGPRsForWavesPerEU: 83
; Occupancy: 16
; WaveLimiterHint : 0
; COMPUTE_PGM_RSRC2:SCRATCH_EN: 0
; COMPUTE_PGM_RSRC2:USER_SGPR: 2
; COMPUTE_PGM_RSRC2:TRAP_HANDLER: 0
; COMPUTE_PGM_RSRC2:TGID_X_EN: 1
; COMPUTE_PGM_RSRC2:TGID_Y_EN: 1
; COMPUTE_PGM_RSRC2:TGID_Z_EN: 1
; COMPUTE_PGM_RSRC2:TIDIG_COMP_CNT: 1
	.section	.text._ZL30rocblas_trmm_outofplace_kernelIdLi32ELi2ELb1ELb0ELb0ELb0EdKddEv17rocblas_diagonal_iiT6_lPT7_lllS4_lllPT8_llli,"axG",@progbits,_ZL30rocblas_trmm_outofplace_kernelIdLi32ELi2ELb1ELb0ELb0ELb0EdKddEv17rocblas_diagonal_iiT6_lPT7_lllS4_lllPT8_llli,comdat
	.globl	_ZL30rocblas_trmm_outofplace_kernelIdLi32ELi2ELb1ELb0ELb0ELb0EdKddEv17rocblas_diagonal_iiT6_lPT7_lllS4_lllPT8_llli ; -- Begin function _ZL30rocblas_trmm_outofplace_kernelIdLi32ELi2ELb1ELb0ELb0ELb0EdKddEv17rocblas_diagonal_iiT6_lPT7_lllS4_lllPT8_llli
	.p2align	8
	.type	_ZL30rocblas_trmm_outofplace_kernelIdLi32ELi2ELb1ELb0ELb0ELb0EdKddEv17rocblas_diagonal_iiT6_lPT7_lllS4_lllPT8_llli,@function
_ZL30rocblas_trmm_outofplace_kernelIdLi32ELi2ELb1ELb0ELb0ELb0EdKddEv17rocblas_diagonal_iiT6_lPT7_lllS4_lllPT8_llli: ; @_ZL30rocblas_trmm_outofplace_kernelIdLi32ELi2ELb1ELb0ELb0ELb0EdKddEv17rocblas_diagonal_iiT6_lPT7_lllS4_lllPT8_llli
; %bb.0:
	s_load_b32 s31, s[0:1], 0x80
	s_lshr_b32 s34, ttmp7, 16
	s_wait_kmcnt 0x0
	s_cmp_ge_u32 s34, s31
	s_cbranch_scc1 .LBB37_54
; %bb.1:
	s_load_b64 s[36:37], s[0:1], 0x10
	s_wait_kmcnt 0x0
	v_cmp_eq_f64_e64 s2, s[36:37], 0
	s_and_b32 vcc_lo, exec_lo, s2
	s_cbranch_vccnz .LBB37_54
; %bb.2:
	s_clause 0x1
	s_load_b96 s[28:30], s[0:1], 0x0
	s_load_b512 s[4:19], s[0:1], 0x20
	v_bfe_u32 v52, v0, 10, 10
	s_and_b32 s33, ttmp7, 0xffff
	v_dual_mov_b32 v0, 0 :: v_dual_and_b32 v53, 0x3ff, v0
	s_load_b256 s[20:27], s[0:1], 0x60
	s_delay_alu instid0(VALU_DEP_2)
	v_lshlrev_b32_e32 v1, 8, v52
	v_lshl_add_u32 v18, v52, 3, 0x80
	s_add_nc_u64 s[38:39], s[0:1], 0x88
	v_lshl_add_u32 v58, s33, 5, v52
	v_mov_b32_e32 v59, 0x3ff00000
	v_add_nc_u32_e32 v55, 0x2000, v1
	s_mov_b32 s35, 0
	s_wait_kmcnt 0x0
	s_add_co_i32 s2, s30, -1
	v_mad_co_u64_u32 v[16:17], null, s8, v52, 0
	s_ashr_i32 s3, s2, 31
	v_lshlrev_b32_e32 v54, 3, v53
	s_lshr_b32 s3, s3, 27
	s_mov_b32 s40, s29
	s_add_co_i32 s2, s2, s3
	s_mov_b32 s47, s30
	s_ashr_i32 s44, s2, 5
	s_delay_alu instid0(SALU_CYCLE_1)
	s_cmp_le_i32 s33, s44
	s_cselect_b32 s45, -1, 0
	s_lshl_b32 s46, ttmp9, 5
	s_cmp_gt_i32 ttmp9, -1
	v_add_nc_u32_e32 v2, s46, v53
	s_cselect_b32 s48, -1, 0
	s_cmp_eq_u32 s28, 0x84
	s_cselect_b32 s49, -1, 0
	s_lshl_b64 s[6:7], s[6:7], 3
	s_lshl_b64 s[14:15], s[14:15], 3
	s_add_nc_u64 s[4:5], s[4:5], s[6:7]
	s_add_nc_u64 s[6:7], s[12:13], s[14:15]
	v_mad_co_u64_u32 v[10:11], null, s8, v18, s[4:5]
	v_dual_mov_b32 v1, v17 :: v_dual_add_nc_u32 v56, v54, v1
	s_ashr_i32 s41, s29, 31
	s_lshl_b64 s[0:1], s[22:23], 3
	v_add_nc_u32_e32 v57, v55, v54
	s_add_nc_u64 s[20:21], s[20:21], s[0:1]
	v_mad_co_u64_u32 v[14:15], null, s9, v52, v[1:2]
	s_delay_alu instid0(VALU_DEP_4) | instskip(SKIP_3) | instid1(VALU_DEP_4)
	v_mov_b32_e32 v1, v11
	v_add_co_u32 v11, s6, s6, v54
	s_wait_alu 0xf1ff
	v_add_co_ci_u32_e64 v15, null, s7, 0, s6
	v_dual_mov_b32 v17, v14 :: v_dual_add_nc_u32 v60, 0x800, v54
	v_ashrrev_i32_e32 v3, 31, v2
	v_add_co_u32 v4, vcc_lo, v2, 16
	v_mad_co_u64_u32 v[18:19], null, s9, v18, v[1:2]
	s_delay_alu instid0(VALU_DEP_3) | instskip(SKIP_4) | instid1(VALU_DEP_3)
	v_add_co_ci_u32_e64 v5, null, 0, v3, vcc_lo
	v_sub_co_u32 v6, vcc_lo, v2, v52
	s_wait_alu 0xfffd
	v_subrev_co_ci_u32_e64 v7, null, 0, v3, vcc_lo
	v_add_nc_u32_e32 v20, 16, v2
	v_add_co_u32 v8, vcc_lo, v6, 16
	s_wait_alu 0xfffd
	s_delay_alu instid0(VALU_DEP_3)
	v_add_co_ci_u32_e64 v9, null, 0, v7, vcc_lo
	v_add_co_u32 v12, vcc_lo, v6, -16
	v_lshlrev_b64_e32 v[22:23], 3, v[16:17]
	s_wait_alu 0xfffd
	v_add_co_ci_u32_e64 v13, null, -1, v7, vcc_lo
	v_add_co_u32 v14, vcc_lo, 0x80, v11
	v_mov_b32_e32 v11, v18
	v_ashrrev_i32_e32 v21, 31, v20
	s_wait_alu 0xfffd
	v_add_co_ci_u32_e64 v15, null, 0, v15, vcc_lo
	v_add_co_u32 v18, vcc_lo, s4, v22
	v_cmp_gt_i32_e64 s2, s29, v20
	v_cmp_le_i64_e64 s3, s[40:41], v[4:5]
	v_lshlrev_b64_e32 v[16:17], 3, v[2:3]
	v_lshlrev_b64_e32 v[20:21], 3, v[20:21]
	v_cmp_le_i32_e64 s0, s29, v2
	v_cmp_gt_i32_e64 s1, s29, v2
	s_wait_alu 0xfffd
	v_add_co_ci_u32_e64 v19, null, s5, v23, vcc_lo
	v_add_nc_u32_e32 v61, 0x1000, v54
	v_add_nc_u32_e32 v62, 0x1800, v54
	s_ashr_i32 s50, s30, 31
	s_lshl_b64 s[42:43], s[8:9], 8
	s_add_nc_u64 s[22:23], s[40:41], -16
	s_lshl_b64 s[12:13], s[18:19], 3
	s_lshl_b64 s[14:15], s[16:17], 3
	;; [unrolled: 1-line block ×3, first 2 shown]
	s_branch .LBB37_4
.LBB37_3:                               ;   in Loop: Header=BB37_4 Depth=1
	s_add_co_i32 s34, s34, 0x10000
	s_wait_alu 0xfffe
	s_cmp_ge_u32 s34, s31
	s_cbranch_scc1 .LBB37_54
.LBB37_4:                               ; =>This Loop Header: Depth=1
                                        ;     Child Loop BB37_7 Depth 2
                                        ;       Child Loop BB37_10 Depth 3
	s_and_not1_b32 vcc_lo, exec_lo, s45
	s_wait_alu 0xfffe
	s_cbranch_vccnz .LBB37_3
; %bb.5:                                ;   in Loop: Header=BB37_4 Depth=1
	v_mad_co_u64_u32 v[22:23], null, s12, s34, v[14:15]
	s_load_b32 s9, s[38:39], 0x4
	v_mad_co_u64_u32 v[24:25], null, s10, s34, v[10:11]
	v_mad_co_u64_u32 v[26:27], null, s10, s34, v[18:19]
	s_mul_i32 s6, s11, s34
	v_mov_b32_e32 v1, v23
	s_mul_u64 s[4:5], s[26:27], s[34:35]
	s_mov_b32 s52, s33
	s_wait_alu 0xfffe
	v_add_nc_u32_e32 v25, s6, v25
	s_lshl_b64 s[4:5], s[4:5], 3
	v_mad_co_u64_u32 v[28:29], null, s13, s34, v[1:2]
	v_add_nc_u32_e32 v27, s6, v27
	s_wait_alu 0xfffe
	s_add_nc_u64 s[18:19], s[20:21], s[4:5]
	s_delay_alu instid0(VALU_DEP_2)
	v_dual_mov_b32 v23, v28 :: v_dual_mov_b32 v28, v58
	s_wait_kmcnt 0x0
	s_lshl_b32 s51, s9, 5
	s_branch .LBB37_7
.LBB37_6:                               ;   in Loop: Header=BB37_7 Depth=2
	s_wait_alu 0xfffe
	s_or_b32 exec_lo, exec_lo, s4
	v_add_nc_u32_e32 v28, s51, v28
	s_add_co_i32 s52, s9, s52
	s_wait_alu 0xfffe
	s_cmp_gt_i32 s52, s44
	s_cbranch_scc1 .LBB37_3
.LBB37_7:                               ;   Parent Loop BB37_4 Depth=1
                                        ; =>  This Loop Header: Depth=2
                                        ;       Child Loop BB37_10 Depth 3
	v_lshl_add_u32 v63, s52, 5, v52
	v_mov_b32_e32 v44, 0
	v_dual_mov_b32 v40, 0 :: v_dual_mov_b32 v45, 0
	v_dual_mov_b32 v42, 0 :: v_dual_mov_b32 v41, 0
	;; [unrolled: 1-line block ×3, first 2 shown]
	v_mov_b32_e32 v39, 0
	v_ashrrev_i32_e32 v64, 31, v63
	s_and_not1_b32 vcc_lo, exec_lo, s48
	s_wait_alu 0xfffe
	s_cbranch_vccnz .LBB37_46
; %bb.8:                                ;   in Loop: Header=BB37_7 Depth=2
	v_ashrrev_i32_e32 v29, 31, v28
	v_mad_co_u64_u32 v[30:31], null, s14, v28, v[22:23]
	v_mul_lo_u32 v1, s15, v28
	v_mov_b32_e32 v40, 0
	s_delay_alu instid0(VALU_DEP_4) | instskip(SKIP_3) | instid1(VALU_DEP_4)
	v_lshlrev_b64_e32 v[32:33], 3, v[28:29]
	v_mul_lo_u32 v29, s14, v29
	v_dual_mov_b32 v38, 0 :: v_dual_mov_b32 v35, v27
	v_dual_mov_b32 v41, 0 :: v_dual_mov_b32 v44, 0
	v_add_co_u32 v32, vcc_lo, 0x80, v32
	s_wait_alu 0xfffd
	v_add_co_ci_u32_e64 v33, null, 0, v33, vcc_lo
	v_sub_co_u32 v36, vcc_lo, s47, v63
	s_delay_alu instid0(VALU_DEP_3) | instskip(NEXT) | instid1(VALU_DEP_3)
	v_mul_lo_u32 v43, s17, v32
	v_mul_lo_u32 v42, s16, v33
	v_mad_co_u64_u32 v[32:33], null, s16, v32, v[22:23]
	s_wait_alu 0xfffd
	v_sub_co_ci_u32_e64 v37, null, s50, v64, vcc_lo
	v_dual_mov_b32 v39, 0 :: v_dual_mov_b32 v34, v26
	v_add3_u32 v31, v1, v31, v29
	s_delay_alu instid0(VALU_DEP_3)
	v_cmp_lt_i64_e32 vcc_lo, 0, v[36:37]
	v_cmp_lt_i64_e64 s4, 16, v[36:37]
	v_add3_u32 v33, v43, v33, v42
	v_dual_mov_b32 v42, 0 :: v_dual_mov_b32 v37, v25
	v_mov_b32_e32 v43, 0
	v_dual_mov_b32 v45, 0 :: v_dual_mov_b32 v36, v24
	s_mov_b64 s[28:29], 0
	s_branch .LBB37_10
.LBB37_9:                               ;   in Loop: Header=BB37_10 Depth=3
	s_wait_alu 0xfffe
	s_or_b32 exec_lo, exec_lo, s5
	s_wait_dscnt 0x0
	s_barrier_signal -1
	s_barrier_wait -1
	global_inv scope:SCOPE_SE
	ds_load_b128 v[46:49], v55
	ds_load_2addr_b64 v[65:68], v54 offset1:16
	ds_load_b128 v[69:72], v55 offset:4096
	ds_load_b128 v[73:76], v55 offset:16
	ds_load_b128 v[77:80], v55 offset:4112
	v_add_co_u32 v30, s5, 0x100, v30
	s_wait_alu 0xf1ff
	v_add_co_ci_u32_e64 v31, null, 0, v31, s5
	v_add_co_u32 v36, s5, v36, s42
	s_wait_alu 0xf1ff
	v_add_co_ci_u32_e64 v37, null, s43, v37, s5
	;; [unrolled: 3-line block ×3, first 2 shown]
	v_add_co_u32 v34, s5, v34, s42
	s_add_nc_u64 s[28:29], s[28:29], 32
	v_add_co_ci_u32_e64 v35, null, s43, v35, s5
	s_wait_dscnt 0x3
	v_fma_f64 v[44:45], v[65:66], v[46:47], v[44:45]
	v_fma_f64 v[42:43], v[67:68], v[46:47], v[42:43]
	s_wait_dscnt 0x2
	v_fma_f64 v[46:47], v[65:66], v[69:70], v[40:41]
	v_fma_f64 v[50:51], v[67:68], v[69:70], v[38:39]
	ds_load_2addr_b64 v[38:41], v54 offset0:32 offset1:48
	s_wait_alu 0xfffe
	s_sub_co_i32 s5, s28, 32
	s_wait_alu 0xfffe
	s_cmp_ge_i32 s5, s46
	s_wait_dscnt 0x0
	v_fma_f64 v[44:45], v[38:39], v[48:49], v[44:45]
	v_fma_f64 v[42:43], v[40:41], v[48:49], v[42:43]
	v_fma_f64 v[46:47], v[38:39], v[71:72], v[46:47]
	v_fma_f64 v[48:49], v[40:41], v[71:72], v[50:51]
	ds_load_2addr_b64 v[38:41], v54 offset0:64 offset1:80
	s_wait_dscnt 0x0
	v_fma_f64 v[44:45], v[38:39], v[73:74], v[44:45]
	v_fma_f64 v[42:43], v[40:41], v[73:74], v[42:43]
	v_fma_f64 v[46:47], v[38:39], v[77:78], v[46:47]
	v_fma_f64 v[48:49], v[40:41], v[77:78], v[48:49]
	ds_load_2addr_b64 v[38:41], v54 offset0:96 offset1:112
	s_wait_dscnt 0x0
	v_fma_f64 v[50:51], v[38:39], v[75:76], v[44:45]
	v_fma_f64 v[73:74], v[40:41], v[75:76], v[42:43]
	v_fma_f64 v[75:76], v[38:39], v[79:80], v[46:47]
	v_fma_f64 v[77:78], v[40:41], v[79:80], v[48:49]
	ds_load_b128 v[38:41], v55 offset:32
	ds_load_2addr_b64 v[42:45], v54 offset0:128 offset1:144
	ds_load_b128 v[46:49], v55 offset:4128
	ds_load_b128 v[65:68], v55 offset:48
	ds_load_b128 v[69:72], v55 offset:4144
	s_wait_dscnt 0x3
	v_fma_f64 v[50:51], v[42:43], v[38:39], v[50:51]
	v_fma_f64 v[38:39], v[44:45], v[38:39], v[73:74]
	s_wait_dscnt 0x2
	v_fma_f64 v[73:74], v[42:43], v[46:47], v[75:76]
	v_fma_f64 v[46:47], v[44:45], v[46:47], v[77:78]
	ds_load_2addr_b64 v[42:45], v54 offset0:160 offset1:176
	s_wait_dscnt 0x0
	v_fma_f64 v[50:51], v[42:43], v[40:41], v[50:51]
	v_fma_f64 v[75:76], v[44:45], v[40:41], v[38:39]
	v_fma_f64 v[42:43], v[42:43], v[48:49], v[73:74]
	v_fma_f64 v[44:45], v[44:45], v[48:49], v[46:47]
	ds_load_2addr_b64 v[38:41], v54 offset0:192 offset1:208
	s_wait_dscnt 0x0
	v_fma_f64 v[46:47], v[38:39], v[65:66], v[50:51]
	v_fma_f64 v[48:49], v[40:41], v[65:66], v[75:76]
	v_fma_f64 v[42:43], v[38:39], v[69:70], v[42:43]
	v_fma_f64 v[44:45], v[40:41], v[69:70], v[44:45]
	ds_load_2addr_b64 v[38:41], v54 offset0:224 offset1:240
	s_wait_dscnt 0x0
	v_fma_f64 v[50:51], v[38:39], v[67:68], v[46:47]
	v_fma_f64 v[73:74], v[40:41], v[67:68], v[48:49]
	v_fma_f64 v[75:76], v[38:39], v[71:72], v[42:43]
	v_fma_f64 v[77:78], v[40:41], v[71:72], v[44:45]
	ds_load_b128 v[38:41], v55 offset:64
	ds_load_2addr_b64 v[42:45], v60 offset1:16
	ds_load_b128 v[46:49], v55 offset:4160
	ds_load_b128 v[65:68], v55 offset:80
	ds_load_b128 v[69:72], v55 offset:4176
	s_wait_dscnt 0x3
	v_fma_f64 v[50:51], v[42:43], v[38:39], v[50:51]
	v_fma_f64 v[38:39], v[44:45], v[38:39], v[73:74]
	s_wait_dscnt 0x2
	v_fma_f64 v[73:74], v[42:43], v[46:47], v[75:76]
	v_fma_f64 v[46:47], v[44:45], v[46:47], v[77:78]
	ds_load_2addr_b64 v[42:45], v60 offset0:32 offset1:48
	s_wait_dscnt 0x0
	v_fma_f64 v[50:51], v[42:43], v[40:41], v[50:51]
	v_fma_f64 v[75:76], v[44:45], v[40:41], v[38:39]
	v_fma_f64 v[42:43], v[42:43], v[48:49], v[73:74]
	v_fma_f64 v[44:45], v[44:45], v[48:49], v[46:47]
	ds_load_2addr_b64 v[38:41], v60 offset0:64 offset1:80
	s_wait_dscnt 0x0
	v_fma_f64 v[46:47], v[38:39], v[65:66], v[50:51]
	v_fma_f64 v[48:49], v[40:41], v[65:66], v[75:76]
	v_fma_f64 v[42:43], v[38:39], v[69:70], v[42:43]
	v_fma_f64 v[44:45], v[40:41], v[69:70], v[44:45]
	ds_load_2addr_b64 v[38:41], v60 offset0:96 offset1:112
	s_wait_dscnt 0x0
	v_fma_f64 v[50:51], v[38:39], v[67:68], v[46:47]
	v_fma_f64 v[73:74], v[40:41], v[67:68], v[48:49]
	v_fma_f64 v[75:76], v[38:39], v[71:72], v[42:43]
	v_fma_f64 v[77:78], v[40:41], v[71:72], v[44:45]
	ds_load_b128 v[38:41], v55 offset:96
	ds_load_2addr_b64 v[42:45], v60 offset0:128 offset1:144
	ds_load_b128 v[46:49], v55 offset:4192
	ds_load_b128 v[65:68], v55 offset:112
	ds_load_b128 v[69:72], v55 offset:4208
	s_wait_dscnt 0x3
	v_fma_f64 v[50:51], v[42:43], v[38:39], v[50:51]
	v_fma_f64 v[38:39], v[44:45], v[38:39], v[73:74]
	s_wait_dscnt 0x2
	v_fma_f64 v[73:74], v[42:43], v[46:47], v[75:76]
	v_fma_f64 v[46:47], v[44:45], v[46:47], v[77:78]
	ds_load_2addr_b64 v[42:45], v60 offset0:160 offset1:176
	s_wait_dscnt 0x0
	v_fma_f64 v[50:51], v[42:43], v[40:41], v[50:51]
	v_fma_f64 v[75:76], v[44:45], v[40:41], v[38:39]
	v_fma_f64 v[42:43], v[42:43], v[48:49], v[73:74]
	v_fma_f64 v[44:45], v[44:45], v[48:49], v[46:47]
	ds_load_2addr_b64 v[38:41], v60 offset0:192 offset1:208
	s_wait_dscnt 0x0
	v_fma_f64 v[46:47], v[38:39], v[65:66], v[50:51]
	v_fma_f64 v[48:49], v[40:41], v[65:66], v[75:76]
	v_fma_f64 v[42:43], v[38:39], v[69:70], v[42:43]
	v_fma_f64 v[44:45], v[40:41], v[69:70], v[44:45]
	ds_load_2addr_b64 v[38:41], v60 offset0:224 offset1:240
	s_wait_dscnt 0x0
	v_fma_f64 v[50:51], v[38:39], v[67:68], v[46:47]
	v_fma_f64 v[73:74], v[40:41], v[67:68], v[48:49]
	v_fma_f64 v[75:76], v[38:39], v[71:72], v[42:43]
	v_fma_f64 v[77:78], v[40:41], v[71:72], v[44:45]
	ds_load_b128 v[38:41], v55 offset:128
	ds_load_2addr_b64 v[42:45], v61 offset1:16
	ds_load_b128 v[46:49], v55 offset:4224
	ds_load_b128 v[65:68], v55 offset:144
	ds_load_b128 v[69:72], v55 offset:4240
	s_wait_dscnt 0x3
	v_fma_f64 v[50:51], v[42:43], v[38:39], v[50:51]
	v_fma_f64 v[38:39], v[44:45], v[38:39], v[73:74]
	s_wait_dscnt 0x2
	v_fma_f64 v[73:74], v[42:43], v[46:47], v[75:76]
	v_fma_f64 v[46:47], v[44:45], v[46:47], v[77:78]
	ds_load_2addr_b64 v[42:45], v61 offset0:32 offset1:48
	;; [unrolled: 58-line block ×3, first 2 shown]
	s_wait_dscnt 0x0
	v_fma_f64 v[50:51], v[42:43], v[40:41], v[50:51]
	v_fma_f64 v[75:76], v[44:45], v[40:41], v[38:39]
	;; [unrolled: 1-line block ×4, first 2 shown]
	ds_load_2addr_b64 v[38:41], v62 offset0:64 offset1:80
	s_wait_dscnt 0x0
	v_fma_f64 v[46:47], v[38:39], v[65:66], v[50:51]
	v_fma_f64 v[48:49], v[40:41], v[65:66], v[75:76]
	;; [unrolled: 1-line block ×4, first 2 shown]
	ds_load_2addr_b64 v[38:41], v62 offset0:96 offset1:112
	s_wait_dscnt 0x0
	v_fma_f64 v[50:51], v[38:39], v[67:68], v[46:47]
	v_fma_f64 v[73:74], v[40:41], v[67:68], v[48:49]
	;; [unrolled: 1-line block ×4, first 2 shown]
	ds_load_b128 v[38:41], v55 offset:224
	ds_load_2addr_b64 v[42:45], v62 offset0:128 offset1:144
	ds_load_b128 v[46:49], v55 offset:4320
	ds_load_b128 v[65:68], v55 offset:240
	;; [unrolled: 1-line block ×3, first 2 shown]
	s_wait_dscnt 0x3
	v_fma_f64 v[50:51], v[42:43], v[38:39], v[50:51]
	v_fma_f64 v[38:39], v[44:45], v[38:39], v[73:74]
	s_wait_dscnt 0x2
	v_fma_f64 v[73:74], v[42:43], v[46:47], v[75:76]
	v_fma_f64 v[46:47], v[44:45], v[46:47], v[77:78]
	ds_load_2addr_b64 v[42:45], v62 offset0:160 offset1:176
	s_wait_dscnt 0x0
	v_fma_f64 v[50:51], v[42:43], v[40:41], v[50:51]
	v_fma_f64 v[75:76], v[44:45], v[40:41], v[38:39]
	;; [unrolled: 1-line block ×4, first 2 shown]
	ds_load_2addr_b64 v[38:41], v62 offset0:192 offset1:208
	ds_load_2addr_b64 v[46:49], v62 offset0:224 offset1:240
	s_wait_loadcnt_dscnt 0x0
	s_barrier_signal -1
	s_barrier_wait -1
	global_inv scope:SCOPE_SE
	v_fma_f64 v[50:51], v[38:39], v[65:66], v[50:51]
	v_fma_f64 v[65:66], v[40:41], v[65:66], v[75:76]
	;; [unrolled: 1-line block ×4, first 2 shown]
	s_delay_alu instid0(VALU_DEP_4) | instskip(NEXT) | instid1(VALU_DEP_4)
	v_fma_f64 v[44:45], v[46:47], v[67:68], v[50:51]
	v_fma_f64 v[42:43], v[48:49], v[67:68], v[65:66]
	s_delay_alu instid0(VALU_DEP_4) | instskip(NEXT) | instid1(VALU_DEP_4)
	v_fma_f64 v[40:41], v[46:47], v[71:72], v[38:39]
	v_fma_f64 v[38:39], v[48:49], v[71:72], v[69:70]
	s_cbranch_scc1 .LBB37_46
.LBB37_10:                              ;   Parent Loop BB37_4 Depth=1
                                        ;     Parent Loop BB37_7 Depth=2
                                        ; =>    This Inner Loop Header: Depth=3
	s_wait_alu 0xfffe
	v_add_co_u32 v46, s5, v52, s28
	s_wait_alu 0xf1ff
	v_add_co_ci_u32_e64 v47, null, 0, s29, s5
	v_cmp_eq_u64_e64 s7, s[28:29], v[6:7]
                                        ; implicit-def: $vgpr50_vgpr51
	s_delay_alu instid0(VALU_DEP_2)
	v_cmp_le_i64_e64 s6, s[40:41], v[46:47]
	v_cmp_gt_i64_e64 s5, v[46:47], v[2:3]
	s_and_b32 s53, s49, s7
	v_add_co_u32 v48, s7, v34, v16
	s_wait_alu 0xf1ff
	v_add_co_ci_u32_e64 v49, null, v35, v17, s7
	s_or_b32 s8, s6, s5
	s_wait_alu 0xfffe
	s_or_b32 s7, s8, s53
	s_wait_alu 0xfffe
	s_nor_b32 s7, s0, s7
	s_wait_alu 0xfffe
	s_and_saveexec_b32 s8, s7
	s_wait_alu 0xfffe
	s_xor_b32 s7, exec_lo, s8
	s_cbranch_execz .LBB37_12
; %bb.11:                               ;   in Loop: Header=BB37_10 Depth=3
	global_load_b64 v[50:51], v[48:49], off
.LBB37_12:                              ;   in Loop: Header=BB37_10 Depth=3
	s_wait_alu 0xfffe
	s_and_not1_saveexec_b32 s7, s7
	s_cbranch_execz .LBB37_14
; %bb.13:                               ;   in Loop: Header=BB37_10 Depth=3
	v_cndmask_b32_e64 v1, 0, 0x3ff00000, s53
	s_wait_loadcnt 0x0
	s_delay_alu instid0(VALU_DEP_1)
	v_dual_mov_b32 v51, v1 :: v_dual_mov_b32 v50, v0
.LBB37_14:                              ;   in Loop: Header=BB37_10 Depth=3
	s_wait_alu 0xfffe
	s_or_b32 exec_lo, exec_lo, s7
	v_cmp_eq_u64_e64 s7, s[28:29], v[8:9]
	v_cmp_lt_i64_e64 s8, v[4:5], v[46:47]
	s_wait_loadcnt 0x0
	ds_store_b64 v56, v[50:51]
	s_and_b32 s7, s49, s7
	s_or_b32 s6, s6, s8
	s_wait_alu 0xfffe
	s_or_b32 s6, s6, s7
	s_wait_alu 0xfffe
	s_nor_b32 s6, s3, s6
	s_wait_alu 0xfffe
	s_and_saveexec_b32 s8, s6
	s_wait_alu 0xfffe
	s_xor_b32 s6, exec_lo, s8
	s_cbranch_execz .LBB37_16
; %bb.15:                               ;   in Loop: Header=BB37_10 Depth=3
	global_load_b64 v[48:49], v[48:49], off offset:128
	s_wait_loadcnt 0x0
	ds_store_b64 v56, v[48:49] offset:128
.LBB37_16:                              ;   in Loop: Header=BB37_10 Depth=3
	s_wait_alu 0xfffe
	s_and_not1_saveexec_b32 s6, s6
	s_cbranch_execz .LBB37_22
; %bb.17:                               ;   in Loop: Header=BB37_10 Depth=3
	s_xor_b32 s7, s7, -1
	s_wait_alu 0xfffe
	s_and_saveexec_b32 s8, s7
	s_wait_alu 0xfffe
	s_xor_b32 s7, exec_lo, s8
; %bb.18:                               ;   in Loop: Header=BB37_10 Depth=3
	v_mov_b32_e32 v1, v0
	ds_store_b64 v56, v[0:1] offset:128
; %bb.19:                               ;   in Loop: Header=BB37_10 Depth=3
	s_wait_alu 0xfffe
	s_and_not1_saveexec_b32 s7, s7
; %bb.20:                               ;   in Loop: Header=BB37_10 Depth=3
	v_mov_b32_e32 v1, v59
	ds_store_b64 v56, v[0:1] offset:128
; %bb.21:                               ;   in Loop: Header=BB37_10 Depth=3
	s_wait_alu 0xfffe
	s_or_b32 exec_lo, exec_lo, s7
.LBB37_22:                              ;   in Loop: Header=BB37_10 Depth=3
	s_wait_alu 0xfffe
	s_or_b32 exec_lo, exec_lo, s6
	v_add_co_u32 v46, s6, v46, 16
	s_wait_alu 0xf1ff
	v_add_co_ci_u32_e64 v47, null, 0, v47, s6
	v_cmp_eq_u64_e64 s7, s[28:29], v[12:13]
                                        ; implicit-def: $vgpr48_vgpr49
	s_delay_alu instid0(VALU_DEP_2)
	v_cmp_le_i64_e64 s6, s[40:41], v[46:47]
	v_cmp_gt_i64_e64 s8, v[46:47], v[2:3]
	s_and_b32 s54, s49, s7
	v_add_co_u32 v46, s7, v36, v16
	s_wait_alu 0xf1ff
	v_add_co_ci_u32_e64 v47, null, v37, v17, s7
	s_or_b32 s8, s6, s8
	s_wait_alu 0xfffe
	s_or_b32 s7, s8, s54
	s_wait_alu 0xfffe
	s_nor_b32 s7, s0, s7
	s_wait_alu 0xfffe
	s_and_saveexec_b32 s8, s7
	s_wait_alu 0xfffe
	s_xor_b32 s7, exec_lo, s8
	s_cbranch_execz .LBB37_24
; %bb.23:                               ;   in Loop: Header=BB37_10 Depth=3
	global_load_b64 v[48:49], v[46:47], off
.LBB37_24:                              ;   in Loop: Header=BB37_10 Depth=3
	s_wait_alu 0xfffe
	s_and_not1_saveexec_b32 s7, s7
	s_cbranch_execz .LBB37_26
; %bb.25:                               ;   in Loop: Header=BB37_10 Depth=3
	v_cndmask_b32_e64 v1, 0, 0x3ff00000, s54
	s_wait_loadcnt 0x0
	s_delay_alu instid0(VALU_DEP_1)
	v_dual_mov_b32 v49, v1 :: v_dual_mov_b32 v48, v0
.LBB37_26:                              ;   in Loop: Header=BB37_10 Depth=3
	s_wait_alu 0xfffe
	s_or_b32 exec_lo, exec_lo, s7
	s_or_b32 s5, s6, s5
	s_wait_loadcnt 0x0
	ds_store_b64 v56, v[48:49] offset:4096
	s_wait_alu 0xfffe
	s_or_b32 s5, s5, s53
	s_wait_alu 0xfffe
	s_nor_b32 s5, s3, s5
	s_wait_alu 0xfffe
	s_and_saveexec_b32 s6, s5
	s_wait_alu 0xfffe
	s_xor_b32 s5, exec_lo, s6
	s_cbranch_execz .LBB37_28
; %bb.27:                               ;   in Loop: Header=BB37_10 Depth=3
	global_load_b64 v[46:47], v[46:47], off offset:128
	s_wait_loadcnt 0x0
	ds_store_b64 v56, v[46:47] offset:4224
.LBB37_28:                              ;   in Loop: Header=BB37_10 Depth=3
	s_wait_alu 0xfffe
	s_and_not1_saveexec_b32 s5, s5
	s_cbranch_execz .LBB37_34
; %bb.29:                               ;   in Loop: Header=BB37_10 Depth=3
	s_xor_b32 s6, s53, -1
	s_wait_alu 0xfffe
	s_and_saveexec_b32 s7, s6
	s_wait_alu 0xfffe
	s_xor_b32 s6, exec_lo, s7
; %bb.30:                               ;   in Loop: Header=BB37_10 Depth=3
	v_mov_b32_e32 v1, v0
	ds_store_b64 v56, v[0:1] offset:4224
; %bb.31:                               ;   in Loop: Header=BB37_10 Depth=3
	s_wait_alu 0xfffe
	s_and_not1_saveexec_b32 s6, s6
; %bb.32:                               ;   in Loop: Header=BB37_10 Depth=3
	v_mov_b32_e32 v1, v59
	ds_store_b64 v56, v[0:1] offset:4224
; %bb.33:                               ;   in Loop: Header=BB37_10 Depth=3
	s_wait_alu 0xfffe
	s_or_b32 exec_lo, exec_lo, s6
.LBB37_34:                              ;   in Loop: Header=BB37_10 Depth=3
	s_wait_alu 0xfffe
	s_or_b32 exec_lo, exec_lo, s5
	v_add_co_u32 v46, s5, v53, s28
	s_wait_alu 0xf1ff
	v_add_co_ci_u32_e64 v47, null, 0, s29, s5
	v_mov_b32_e32 v48, 0
	v_mov_b32_e32 v49, 0
	s_delay_alu instid0(VALU_DEP_3)
	v_cmp_gt_i64_e64 s5, s[40:41], v[46:47]
	s_and_b32 s7, vcc_lo, s5
	s_wait_alu 0xfffe
	s_and_saveexec_b32 s6, s7
	s_cbranch_execz .LBB37_36
; %bb.35:                               ;   in Loop: Header=BB37_10 Depth=3
	global_load_b64 v[48:49], v[30:31], off offset:-128
.LBB37_36:                              ;   in Loop: Header=BB37_10 Depth=3
	s_wait_alu 0xfffe
	s_or_b32 exec_lo, exec_lo, s6
	v_cmp_gt_i64_e64 s6, s[22:23], v[46:47]
	s_wait_loadcnt 0x0
	ds_store_b64 v57, v[48:49]
	s_and_b32 s7, vcc_lo, s6
	s_wait_alu 0xfffe
	s_xor_b32 s7, s7, -1
	s_wait_alu 0xfffe
	s_and_saveexec_b32 s8, s7
	s_wait_alu 0xfffe
	s_xor_b32 s7, exec_lo, s8
; %bb.37:                               ;   in Loop: Header=BB37_10 Depth=3
	v_mov_b32_e32 v1, v0
	ds_store_b64 v57, v[0:1] offset:128
; %bb.38:                               ;   in Loop: Header=BB37_10 Depth=3
	s_wait_alu 0xfffe
	s_and_not1_saveexec_b32 s7, s7
	s_cbranch_execz .LBB37_40
; %bb.39:                               ;   in Loop: Header=BB37_10 Depth=3
	global_load_b64 v[46:47], v[30:31], off
	s_wait_loadcnt 0x0
	ds_store_b64 v57, v[46:47] offset:128
.LBB37_40:                              ;   in Loop: Header=BB37_10 Depth=3
	s_wait_alu 0xfffe
	s_or_b32 exec_lo, exec_lo, s7
	v_mov_b32_e32 v46, 0
	v_mov_b32_e32 v47, 0
	s_and_b32 s7, s4, s5
	s_wait_alu 0xfffe
	s_and_saveexec_b32 s5, s7
	s_cbranch_execz .LBB37_42
; %bb.41:                               ;   in Loop: Header=BB37_10 Depth=3
	global_load_b64 v[46:47], v[32:33], off offset:-128
.LBB37_42:                              ;   in Loop: Header=BB37_10 Depth=3
	s_wait_alu 0xfffe
	s_or_b32 exec_lo, exec_lo, s5
	s_and_b32 s5, s4, s6
	s_wait_loadcnt 0x0
	ds_store_b64 v57, v[46:47] offset:4096
	s_wait_alu 0xfffe
	s_xor_b32 s5, s5, -1
	s_wait_alu 0xfffe
	s_and_saveexec_b32 s6, s5
	s_wait_alu 0xfffe
	s_xor_b32 s5, exec_lo, s6
; %bb.43:                               ;   in Loop: Header=BB37_10 Depth=3
	v_mov_b32_e32 v1, v0
	ds_store_b64 v57, v[0:1] offset:4224
; %bb.44:                               ;   in Loop: Header=BB37_10 Depth=3
	s_wait_alu 0xfffe
	s_and_not1_saveexec_b32 s5, s5
	s_cbranch_execz .LBB37_9
; %bb.45:                               ;   in Loop: Header=BB37_10 Depth=3
	global_load_b64 v[46:47], v[32:33], off
	s_wait_loadcnt 0x0
	ds_store_b64 v57, v[46:47] offset:4224
	s_branch .LBB37_9
.LBB37_46:                              ;   in Loop: Header=BB37_7 Depth=2
	v_mul_lo_u32 v1, s25, v63
	v_mul_lo_u32 v31, s24, v64
	v_mad_co_u64_u32 v[29:30], null, s24, v63, 0
	v_cmp_gt_i32_e32 vcc_lo, s30, v63
	s_delay_alu instid0(VALU_DEP_2) | instskip(NEXT) | instid1(VALU_DEP_1)
	v_add3_u32 v30, v30, v31, v1
	v_lshlrev_b64_e32 v[29:30], 3, v[29:30]
	s_delay_alu instid0(VALU_DEP_1) | instskip(SKIP_1) | instid1(VALU_DEP_2)
	v_add_co_u32 v1, s4, s18, v29
	s_wait_alu 0xf1ff
	v_add_co_ci_u32_e64 v29, null, s19, v30, s4
	s_and_b32 s4, s1, vcc_lo
	s_wait_alu 0xfffe
	s_and_saveexec_b32 s5, s4
	s_cbranch_execz .LBB37_48
; %bb.47:                               ;   in Loop: Header=BB37_7 Depth=2
	v_add_co_u32 v30, s4, v1, v16
	s_wait_alu 0xf1ff
	v_add_co_ci_u32_e64 v31, null, v29, v17, s4
	global_load_b64 v[32:33], v[30:31], off
	s_wait_loadcnt 0x0
	v_fma_f64 v[32:33], s[36:37], v[44:45], v[32:33]
	global_store_b64 v[30:31], v[32:33], off
.LBB37_48:                              ;   in Loop: Header=BB37_7 Depth=2
	s_wait_alu 0xfffe
	s_or_b32 exec_lo, exec_lo, s5
	s_and_b32 s5, s2, vcc_lo
	s_wait_alu 0xfffe
	s_and_saveexec_b32 s4, s5
	s_cbranch_execz .LBB37_50
; %bb.49:                               ;   in Loop: Header=BB37_7 Depth=2
	v_add_co_u32 v30, vcc_lo, v1, v20
	s_wait_alu 0xfffd
	v_add_co_ci_u32_e64 v31, null, v29, v21, vcc_lo
	global_load_b64 v[32:33], v[30:31], off
	s_wait_loadcnt 0x0
	v_fma_f64 v[32:33], s[36:37], v[42:43], v[32:33]
	global_store_b64 v[30:31], v[32:33], off
.LBB37_50:                              ;   in Loop: Header=BB37_7 Depth=2
	s_wait_alu 0xfffe
	s_or_b32 exec_lo, exec_lo, s4
	v_add_nc_u32_e32 v1, 16, v63
	s_delay_alu instid0(VALU_DEP_1) | instskip(SKIP_3) | instid1(VALU_DEP_4)
	v_ashrrev_i32_e32 v31, 31, v1
	v_mul_lo_u32 v32, s25, v1
	v_mad_co_u64_u32 v[29:30], null, s24, v1, 0
	v_cmp_gt_i32_e32 vcc_lo, s30, v1
	v_mul_lo_u32 v31, s24, v31
	s_delay_alu instid0(VALU_DEP_1) | instskip(NEXT) | instid1(VALU_DEP_1)
	v_add3_u32 v30, v30, v31, v32
	v_lshlrev_b64_e32 v[29:30], 3, v[29:30]
	s_delay_alu instid0(VALU_DEP_1) | instskip(SKIP_1) | instid1(VALU_DEP_2)
	v_add_co_u32 v1, s4, s18, v29
	s_wait_alu 0xf1ff
	v_add_co_ci_u32_e64 v29, null, s19, v30, s4
	s_and_b32 s4, s1, vcc_lo
	s_wait_alu 0xfffe
	s_and_saveexec_b32 s5, s4
	s_cbranch_execz .LBB37_52
; %bb.51:                               ;   in Loop: Header=BB37_7 Depth=2
	v_add_co_u32 v30, s4, v1, v16
	s_wait_alu 0xf1ff
	v_add_co_ci_u32_e64 v31, null, v29, v17, s4
	global_load_b64 v[32:33], v[30:31], off
	s_wait_loadcnt 0x0
	v_fma_f64 v[32:33], s[36:37], v[40:41], v[32:33]
	global_store_b64 v[30:31], v[32:33], off
.LBB37_52:                              ;   in Loop: Header=BB37_7 Depth=2
	s_wait_alu 0xfffe
	s_or_b32 exec_lo, exec_lo, s5
	s_and_b32 s5, s2, vcc_lo
	s_wait_alu 0xfffe
	s_and_saveexec_b32 s4, s5
	s_cbranch_execz .LBB37_6
; %bb.53:                               ;   in Loop: Header=BB37_7 Depth=2
	v_add_co_u32 v30, vcc_lo, v1, v20
	s_wait_alu 0xfffd
	v_add_co_ci_u32_e64 v31, null, v29, v21, vcc_lo
	global_load_b64 v[32:33], v[30:31], off
	s_wait_loadcnt 0x0
	v_fma_f64 v[32:33], s[36:37], v[38:39], v[32:33]
	global_store_b64 v[30:31], v[32:33], off
	s_branch .LBB37_6
.LBB37_54:
	s_endpgm
	.section	.rodata,"a",@progbits
	.p2align	6, 0x0
	.amdhsa_kernel _ZL30rocblas_trmm_outofplace_kernelIdLi32ELi2ELb1ELb0ELb0ELb0EdKddEv17rocblas_diagonal_iiT6_lPT7_lllS4_lllPT8_llli
		.amdhsa_group_segment_fixed_size 16384
		.amdhsa_private_segment_fixed_size 0
		.amdhsa_kernarg_size 392
		.amdhsa_user_sgpr_count 2
		.amdhsa_user_sgpr_dispatch_ptr 0
		.amdhsa_user_sgpr_queue_ptr 0
		.amdhsa_user_sgpr_kernarg_segment_ptr 1
		.amdhsa_user_sgpr_dispatch_id 0
		.amdhsa_user_sgpr_private_segment_size 0
		.amdhsa_wavefront_size32 1
		.amdhsa_uses_dynamic_stack 0
		.amdhsa_enable_private_segment 0
		.amdhsa_system_sgpr_workgroup_id_x 1
		.amdhsa_system_sgpr_workgroup_id_y 1
		.amdhsa_system_sgpr_workgroup_id_z 1
		.amdhsa_system_sgpr_workgroup_info 0
		.amdhsa_system_vgpr_workitem_id 1
		.amdhsa_next_free_vgpr 81
		.amdhsa_next_free_sgpr 55
		.amdhsa_reserve_vcc 1
		.amdhsa_float_round_mode_32 0
		.amdhsa_float_round_mode_16_64 0
		.amdhsa_float_denorm_mode_32 3
		.amdhsa_float_denorm_mode_16_64 3
		.amdhsa_fp16_overflow 0
		.amdhsa_workgroup_processor_mode 1
		.amdhsa_memory_ordered 1
		.amdhsa_forward_progress 1
		.amdhsa_inst_pref_size 34
		.amdhsa_round_robin_scheduling 0
		.amdhsa_exception_fp_ieee_invalid_op 0
		.amdhsa_exception_fp_denorm_src 0
		.amdhsa_exception_fp_ieee_div_zero 0
		.amdhsa_exception_fp_ieee_overflow 0
		.amdhsa_exception_fp_ieee_underflow 0
		.amdhsa_exception_fp_ieee_inexact 0
		.amdhsa_exception_int_div_zero 0
	.end_amdhsa_kernel
	.section	.text._ZL30rocblas_trmm_outofplace_kernelIdLi32ELi2ELb1ELb0ELb0ELb0EdKddEv17rocblas_diagonal_iiT6_lPT7_lllS4_lllPT8_llli,"axG",@progbits,_ZL30rocblas_trmm_outofplace_kernelIdLi32ELi2ELb1ELb0ELb0ELb0EdKddEv17rocblas_diagonal_iiT6_lPT7_lllS4_lllPT8_llli,comdat
.Lfunc_end37:
	.size	_ZL30rocblas_trmm_outofplace_kernelIdLi32ELi2ELb1ELb0ELb0ELb0EdKddEv17rocblas_diagonal_iiT6_lPT7_lllS4_lllPT8_llli, .Lfunc_end37-_ZL30rocblas_trmm_outofplace_kernelIdLi32ELi2ELb1ELb0ELb0ELb0EdKddEv17rocblas_diagonal_iiT6_lPT7_lllS4_lllPT8_llli
                                        ; -- End function
	.set _ZL30rocblas_trmm_outofplace_kernelIdLi32ELi2ELb1ELb0ELb0ELb0EdKddEv17rocblas_diagonal_iiT6_lPT7_lllS4_lllPT8_llli.num_vgpr, 81
	.set _ZL30rocblas_trmm_outofplace_kernelIdLi32ELi2ELb1ELb0ELb0ELb0EdKddEv17rocblas_diagonal_iiT6_lPT7_lllS4_lllPT8_llli.num_agpr, 0
	.set _ZL30rocblas_trmm_outofplace_kernelIdLi32ELi2ELb1ELb0ELb0ELb0EdKddEv17rocblas_diagonal_iiT6_lPT7_lllS4_lllPT8_llli.numbered_sgpr, 55
	.set _ZL30rocblas_trmm_outofplace_kernelIdLi32ELi2ELb1ELb0ELb0ELb0EdKddEv17rocblas_diagonal_iiT6_lPT7_lllS4_lllPT8_llli.num_named_barrier, 0
	.set _ZL30rocblas_trmm_outofplace_kernelIdLi32ELi2ELb1ELb0ELb0ELb0EdKddEv17rocblas_diagonal_iiT6_lPT7_lllS4_lllPT8_llli.private_seg_size, 0
	.set _ZL30rocblas_trmm_outofplace_kernelIdLi32ELi2ELb1ELb0ELb0ELb0EdKddEv17rocblas_diagonal_iiT6_lPT7_lllS4_lllPT8_llli.uses_vcc, 1
	.set _ZL30rocblas_trmm_outofplace_kernelIdLi32ELi2ELb1ELb0ELb0ELb0EdKddEv17rocblas_diagonal_iiT6_lPT7_lllS4_lllPT8_llli.uses_flat_scratch, 0
	.set _ZL30rocblas_trmm_outofplace_kernelIdLi32ELi2ELb1ELb0ELb0ELb0EdKddEv17rocblas_diagonal_iiT6_lPT7_lllS4_lllPT8_llli.has_dyn_sized_stack, 0
	.set _ZL30rocblas_trmm_outofplace_kernelIdLi32ELi2ELb1ELb0ELb0ELb0EdKddEv17rocblas_diagonal_iiT6_lPT7_lllS4_lllPT8_llli.has_recursion, 0
	.set _ZL30rocblas_trmm_outofplace_kernelIdLi32ELi2ELb1ELb0ELb0ELb0EdKddEv17rocblas_diagonal_iiT6_lPT7_lllS4_lllPT8_llli.has_indirect_call, 0
	.section	.AMDGPU.csdata,"",@progbits
; Kernel info:
; codeLenInByte = 4324
; TotalNumSgprs: 57
; NumVgprs: 81
; ScratchSize: 0
; MemoryBound: 0
; FloatMode: 240
; IeeeMode: 1
; LDSByteSize: 16384 bytes/workgroup (compile time only)
; SGPRBlocks: 0
; VGPRBlocks: 10
; NumSGPRsForWavesPerEU: 57
; NumVGPRsForWavesPerEU: 81
; Occupancy: 16
; WaveLimiterHint : 0
; COMPUTE_PGM_RSRC2:SCRATCH_EN: 0
; COMPUTE_PGM_RSRC2:USER_SGPR: 2
; COMPUTE_PGM_RSRC2:TRAP_HANDLER: 0
; COMPUTE_PGM_RSRC2:TGID_X_EN: 1
; COMPUTE_PGM_RSRC2:TGID_Y_EN: 1
; COMPUTE_PGM_RSRC2:TGID_Z_EN: 1
; COMPUTE_PGM_RSRC2:TIDIG_COMP_CNT: 1
	.section	.text._ZL30rocblas_trmm_outofplace_kernelIdLi32ELi2ELb1ELb1ELb0ELb0EPKdS0_dEv17rocblas_diagonal_iiT6_lPT7_lllS5_lllPT8_llli,"axG",@progbits,_ZL30rocblas_trmm_outofplace_kernelIdLi32ELi2ELb1ELb1ELb0ELb0EPKdS0_dEv17rocblas_diagonal_iiT6_lPT7_lllS5_lllPT8_llli,comdat
	.globl	_ZL30rocblas_trmm_outofplace_kernelIdLi32ELi2ELb1ELb1ELb0ELb0EPKdS0_dEv17rocblas_diagonal_iiT6_lPT7_lllS5_lllPT8_llli ; -- Begin function _ZL30rocblas_trmm_outofplace_kernelIdLi32ELi2ELb1ELb1ELb0ELb0EPKdS0_dEv17rocblas_diagonal_iiT6_lPT7_lllS5_lllPT8_llli
	.p2align	8
	.type	_ZL30rocblas_trmm_outofplace_kernelIdLi32ELi2ELb1ELb1ELb0ELb0EPKdS0_dEv17rocblas_diagonal_iiT6_lPT7_lllS5_lllPT8_llli,@function
_ZL30rocblas_trmm_outofplace_kernelIdLi32ELi2ELb1ELb1ELb0ELb0EPKdS0_dEv17rocblas_diagonal_iiT6_lPT7_lllS5_lllPT8_llli: ; @_ZL30rocblas_trmm_outofplace_kernelIdLi32ELi2ELb1ELb1ELb0ELb0EPKdS0_dEv17rocblas_diagonal_iiT6_lPT7_lllS5_lllPT8_llli
; %bb.0:
	s_load_b32 s11, s[0:1], 0x80
	s_lshr_b32 s34, ttmp7, 16
	s_wait_kmcnt 0x0
	s_cmp_ge_u32 s34, s11
	s_cbranch_scc1 .LBB38_56
; %bb.1:
	s_clause 0x3
	s_load_b96 s[8:10], s[0:1], 0x0
	s_load_b256 s[36:43], s[0:1], 0x50
	s_load_b512 s[12:27], s[0:1], 0x10
	s_load_b128 s[28:31], s[0:1], 0x70
	s_add_nc_u64 s[44:45], s[0:1], 0x88
	v_bfe_u32 v52, v0, 10, 10
	v_and_b32_e32 v1, 0x3ff, v0
	s_and_b32 s33, ttmp7, 0xffff
	v_mov_b32_e32 v58, 0x3ff00000
	s_mov_b32 s35, 0
	v_lshlrev_b32_e32 v0, 8, v52
	v_lshlrev_b32_e32 v53, 3, v1
	v_lshl_add_u32 v57, s33, 5, v52
	s_delay_alu instid0(VALU_DEP_3) | instskip(NEXT) | instid1(VALU_DEP_3)
	v_add_nc_u32_e32 v54, 0x2000, v0
	v_add_nc_u32_e32 v55, v53, v0
	;; [unrolled: 1-line block ×5, first 2 shown]
	s_wait_kmcnt 0x0
	s_add_co_i32 s2, s10, -1
	v_add_nc_u32_e32 v56, v54, v53
	s_ashr_i32 s3, s2, 31
	s_mov_b32 s52, s10
	s_lshr_b32 s0, s3, 27
	s_delay_alu instid0(SALU_CYCLE_1)
	s_add_co_i32 s2, s2, s0
	s_lshl_b64 s[0:1], s[42:43], 3
	s_ashr_i32 s50, s2, 5
	s_mov_b32 s42, s9
	s_cmp_le_i32 s33, s50
	s_add_nc_u64 s[40:41], s[40:41], s[0:1]
	s_cselect_b32 s51, -1, 0
	s_lshl_b32 s2, ttmp9, 5
	s_delay_alu instid0(SALU_CYCLE_1) | instskip(SKIP_2) | instid1(SALU_CYCLE_1)
	v_add_nc_u32_e32 v2, s2, v1
	v_add_nc_u32_e32 v0, s2, v52
	s_sub_co_i32 s53, s9, s2
	s_cmp_gt_i32 s53, 0
	s_delay_alu instid0(VALU_DEP_2) | instskip(NEXT) | instid1(VALU_DEP_2)
	v_ashrrev_i32_e32 v3, 31, v2
	v_ashrrev_i32_e32 v1, 31, v0
	v_add_co_u32 v6, vcc_lo, v2, 16
	v_mul_lo_u32 v19, s21, v0
	s_delay_alu instid0(VALU_DEP_4)
	v_add_co_ci_u32_e64 v7, null, 0, v3, vcc_lo
	v_sub_co_u32 v8, vcc_lo, v2, v0
	v_lshlrev_b64_e32 v[12:13], 3, v[0:1]
	v_mul_lo_u32 v18, s20, v1
	v_mad_co_u64_u32 v[16:17], null, s20, v0, 0
	s_wait_alu 0xfffd
	v_sub_co_ci_u32_e64 v9, null, v3, v1, vcc_lo
	v_add_co_u32 v10, vcc_lo, v8, 16
	s_cselect_b32 s54, -1, 0
	s_wait_alu 0xfffd
	v_add_co_ci_u32_e64 v11, null, 0, v9, vcc_lo
	v_add_co_u32 v14, vcc_lo, 0x80, v12
	s_cmp_eq_u32 s8, 0x84
	s_wait_alu 0xfffd
	v_add_co_ci_u32_e64 v15, null, 0, v13, vcc_lo
	v_add3_u32 v17, v17, v18, v19
	s_cselect_b32 s55, -1, 0
	s_lshl_b64 s[4:5], s[18:19], 3
	s_delay_alu instid0(VALU_DEP_2)
	v_mul_lo_u32 v20, s20, v15
	s_add_nc_u64 s[4:5], s[16:17], s[4:5]
	v_mul_lo_u32 v21, s21, v14
	v_mad_co_u64_u32 v[12:13], null, s20, v14, s[4:5]
	v_lshlrev_b64_e32 v[18:19], 3, v[16:17]
	v_add_nc_u32_e32 v4, 16, v2
	v_add_co_u32 v14, vcc_lo, v8, -16
	s_ashr_i32 s43, s9, 31
	s_wait_alu 0xfffd
	v_add_co_ci_u32_e64 v15, null, -1, v9, vcc_lo
	v_add_co_u32 v18, vcc_lo, s4, v18
	v_cmp_le_i64_e64 s3, s[42:43], v[6:7]
	s_lshl_b64 s[6:7], s[26:27], 3
	v_lshlrev_b64_e32 v[16:17], 3, v[2:3]
	v_cmp_le_i32_e64 s0, s9, v2
	v_cmp_gt_i32_e64 s1, s9, v2
	v_cmp_gt_i32_e64 s2, s9, v4
	v_ashrrev_i32_e32 v5, 31, v4
	v_add3_u32 v13, v21, v13, v20
	s_wait_alu 0xfffd
	v_add_co_ci_u32_e64 v19, null, s5, v19, vcc_lo
	v_mov_b32_e32 v20, 0
	s_add_nc_u64 s[6:7], s[24:25], s[6:7]
	s_ashr_i32 s56, s10, 31
	s_lshl_b64 s[46:47], s[20:21], 8
	s_add_nc_u64 s[48:49], s[42:43], -16
	s_add_nc_u64 s[16:17], s[6:7], 0x80
	s_lshl_b64 s[18:19], s[38:39], 3
	s_lshl_b64 s[20:21], s[36:37], 3
	;; [unrolled: 1-line block ×3, first 2 shown]
	s_branch .LBB38_4
.LBB38_2:                               ;   in Loop: Header=BB38_4 Depth=1
	s_add_co_i32 s34, s34, 0x10000
	s_wait_alu 0xfffe
	s_cmp_ge_u32 s34, s11
	s_cselect_b32 s4, -1, 0
.LBB38_3:                               ;   in Loop: Header=BB38_4 Depth=1
	s_wait_alu 0xfffe
	s_and_b32 vcc_lo, exec_lo, s4
	s_wait_alu 0xfffe
	s_cbranch_vccnz .LBB38_56
.LBB38_4:                               ; =>This Loop Header: Depth=1
                                        ;     Child Loop BB38_8 Depth 2
                                        ;       Child Loop BB38_11 Depth 3
	s_mul_u64 s[4:5], s[14:15], s[34:35]
	s_wait_alu 0xfffe
	s_lshl_b64 s[4:5], s[4:5], 3
	s_wait_alu 0xfffe
	s_add_nc_u64 s[4:5], s[12:13], s[4:5]
	global_load_b64 v[22:23], v20, s[4:5]
	s_mov_b32 s4, -1
	s_wait_loadcnt 0x0
	v_cmp_eq_f64_e32 vcc_lo, 0, v[22:23]
	s_cbranch_vccnz .LBB38_3
; %bb.5:                                ;   in Loop: Header=BB38_4 Depth=1
	s_and_not1_b32 vcc_lo, exec_lo, s51
	s_wait_alu 0xfffe
	s_cbranch_vccnz .LBB38_2
; %bb.6:                                ;   in Loop: Header=BB38_4 Depth=1
	s_load_b32 s9, s[44:45], 0x4
	v_mad_co_u64_u32 v[24:25], null, s22, s34, v[12:13]
	v_mad_co_u64_u32 v[26:27], null, s22, s34, v[18:19]
	s_mul_i32 s8, s23, s34
	s_mul_u64 s[6:7], s[30:31], s[34:35]
	v_mov_b32_e32 v28, v57
	s_mul_u64 s[4:5], s[18:19], s[34:35]
	s_wait_alu 0xfffe
	v_add_nc_u32_e32 v25, s8, v25
	s_lshl_b64 s[6:7], s[6:7], 3
	v_add_nc_u32_e32 v27, s8, v27
	s_add_nc_u64 s[24:25], s[16:17], s[4:5]
	s_wait_alu 0xfffe
	s_add_nc_u64 s[26:27], s[40:41], s[6:7]
	s_mov_b32 s58, s33
	s_wait_kmcnt 0x0
	s_lshl_b32 s57, s9, 5
	s_branch .LBB38_8
.LBB38_7:                               ;   in Loop: Header=BB38_8 Depth=2
	s_wait_alu 0xfffe
	s_or_b32 exec_lo, exec_lo, s4
	v_add_nc_u32_e32 v28, s57, v28
	s_add_co_i32 s58, s9, s58
	s_wait_alu 0xfffe
	s_cmp_gt_i32 s58, s50
	s_cbranch_scc1 .LBB38_2
.LBB38_8:                               ;   Parent Loop BB38_4 Depth=1
                                        ; =>  This Loop Header: Depth=2
                                        ;       Child Loop BB38_11 Depth 3
	s_wait_alu 0xfffe
	v_lshl_add_u32 v62, s58, 5, v52
	s_and_not1_b32 vcc_lo, exec_lo, s54
	s_delay_alu instid0(VALU_DEP_1)
	v_ashrrev_i32_e32 v63, 31, v62
	s_wait_alu 0xfffe
	s_cbranch_vccnz .LBB38_47
; %bb.9:                                ;   in Loop: Header=BB38_8 Depth=2
	v_ashrrev_i32_e32 v29, 31, v28
	v_mad_co_u64_u32 v[30:31], null, s20, v28, s[24:25]
	v_mul_lo_u32 v21, s21, v28
	v_mov_b32_e32 v40, 0
	s_delay_alu instid0(VALU_DEP_4) | instskip(SKIP_3) | instid1(VALU_DEP_4)
	v_lshlrev_b64_e32 v[32:33], 3, v[28:29]
	v_mul_lo_u32 v29, s20, v29
	v_dual_mov_b32 v38, 0 :: v_dual_mov_b32 v35, v27
	v_dual_mov_b32 v41, 0 :: v_dual_mov_b32 v44, 0
	v_add_co_u32 v32, vcc_lo, 0x80, v32
	s_wait_alu 0xfffd
	v_add_co_ci_u32_e64 v33, null, 0, v33, vcc_lo
	v_sub_co_u32 v36, vcc_lo, s52, v62
	s_delay_alu instid0(VALU_DEP_3) | instskip(NEXT) | instid1(VALU_DEP_3)
	v_mul_lo_u32 v43, s37, v32
	v_mul_lo_u32 v42, s36, v33
	v_mad_co_u64_u32 v[32:33], null, s36, v32, s[24:25]
	s_wait_alu 0xfffd
	v_sub_co_ci_u32_e64 v37, null, s56, v63, vcc_lo
	v_dual_mov_b32 v39, 0 :: v_dual_mov_b32 v34, v26
	v_add3_u32 v31, v21, v31, v29
	s_delay_alu instid0(VALU_DEP_3)
	v_cmp_lt_i64_e32 vcc_lo, 0, v[36:37]
	v_cmp_lt_i64_e64 s4, 16, v[36:37]
	v_add3_u32 v33, v43, v33, v42
	v_dual_mov_b32 v42, 0 :: v_dual_mov_b32 v37, v25
	v_mov_b32_e32 v43, 0
	v_dual_mov_b32 v45, 0 :: v_dual_mov_b32 v36, v24
	s_mov_b64 s[38:39], 0
	s_branch .LBB38_11
.LBB38_10:                              ;   in Loop: Header=BB38_11 Depth=3
	s_wait_alu 0xfffe
	s_or_b32 exec_lo, exec_lo, s5
	s_wait_dscnt 0x0
	s_barrier_signal -1
	s_barrier_wait -1
	global_inv scope:SCOPE_SE
	ds_load_b128 v[46:49], v54
	ds_load_2addr_b64 v[64:67], v53 offset1:16
	ds_load_b128 v[68:71], v54 offset:4096
	ds_load_b128 v[72:75], v54 offset:16
	;; [unrolled: 1-line block ×3, first 2 shown]
	v_add_co_u32 v30, s5, 0x100, v30
	s_wait_alu 0xf1ff
	v_add_co_ci_u32_e64 v31, null, 0, v31, s5
	v_add_co_u32 v36, s5, v36, s46
	s_wait_alu 0xf1ff
	v_add_co_ci_u32_e64 v37, null, s47, v37, s5
	v_add_co_u32 v32, s5, 0x100, v32
	s_wait_alu 0xf1ff
	v_add_co_ci_u32_e64 v33, null, 0, v33, s5
	v_add_co_u32 v34, s5, v34, s46
	s_wait_alu 0xf1ff
	v_add_co_ci_u32_e64 v35, null, s47, v35, s5
	s_wait_dscnt 0x3
	v_fma_f64 v[44:45], v[64:65], v[46:47], v[44:45]
	v_fma_f64 v[42:43], v[66:67], v[46:47], v[42:43]
	s_wait_dscnt 0x2
	v_fma_f64 v[46:47], v[64:65], v[68:69], v[40:41]
	v_fma_f64 v[50:51], v[66:67], v[68:69], v[38:39]
	ds_load_2addr_b64 v[38:41], v53 offset0:32 offset1:48
	s_add_nc_u64 s[38:39], s[38:39], 32
	s_wait_alu 0xfffe
	s_cmp_ge_i32 s38, s53
	s_wait_dscnt 0x0
	v_fma_f64 v[44:45], v[38:39], v[48:49], v[44:45]
	v_fma_f64 v[42:43], v[40:41], v[48:49], v[42:43]
	v_fma_f64 v[46:47], v[38:39], v[70:71], v[46:47]
	v_fma_f64 v[48:49], v[40:41], v[70:71], v[50:51]
	ds_load_2addr_b64 v[38:41], v53 offset0:64 offset1:80
	s_wait_dscnt 0x0
	v_fma_f64 v[44:45], v[38:39], v[72:73], v[44:45]
	v_fma_f64 v[42:43], v[40:41], v[72:73], v[42:43]
	v_fma_f64 v[46:47], v[38:39], v[76:77], v[46:47]
	v_fma_f64 v[48:49], v[40:41], v[76:77], v[48:49]
	ds_load_2addr_b64 v[38:41], v53 offset0:96 offset1:112
	s_wait_dscnt 0x0
	v_fma_f64 v[50:51], v[38:39], v[74:75], v[44:45]
	v_fma_f64 v[72:73], v[40:41], v[74:75], v[42:43]
	v_fma_f64 v[74:75], v[38:39], v[78:79], v[46:47]
	v_fma_f64 v[76:77], v[40:41], v[78:79], v[48:49]
	ds_load_b128 v[38:41], v54 offset:32
	ds_load_2addr_b64 v[42:45], v53 offset0:128 offset1:144
	ds_load_b128 v[46:49], v54 offset:4128
	ds_load_b128 v[64:67], v54 offset:48
	ds_load_b128 v[68:71], v54 offset:4144
	s_wait_dscnt 0x3
	v_fma_f64 v[50:51], v[42:43], v[38:39], v[50:51]
	v_fma_f64 v[38:39], v[44:45], v[38:39], v[72:73]
	s_wait_dscnt 0x2
	v_fma_f64 v[72:73], v[42:43], v[46:47], v[74:75]
	v_fma_f64 v[46:47], v[44:45], v[46:47], v[76:77]
	ds_load_2addr_b64 v[42:45], v53 offset0:160 offset1:176
	s_wait_dscnt 0x0
	v_fma_f64 v[50:51], v[42:43], v[40:41], v[50:51]
	v_fma_f64 v[74:75], v[44:45], v[40:41], v[38:39]
	v_fma_f64 v[42:43], v[42:43], v[48:49], v[72:73]
	v_fma_f64 v[44:45], v[44:45], v[48:49], v[46:47]
	ds_load_2addr_b64 v[38:41], v53 offset0:192 offset1:208
	s_wait_dscnt 0x0
	v_fma_f64 v[46:47], v[38:39], v[64:65], v[50:51]
	v_fma_f64 v[48:49], v[40:41], v[64:65], v[74:75]
	v_fma_f64 v[42:43], v[38:39], v[68:69], v[42:43]
	v_fma_f64 v[44:45], v[40:41], v[68:69], v[44:45]
	ds_load_2addr_b64 v[38:41], v53 offset0:224 offset1:240
	s_wait_dscnt 0x0
	v_fma_f64 v[50:51], v[38:39], v[66:67], v[46:47]
	v_fma_f64 v[72:73], v[40:41], v[66:67], v[48:49]
	v_fma_f64 v[74:75], v[38:39], v[70:71], v[42:43]
	v_fma_f64 v[76:77], v[40:41], v[70:71], v[44:45]
	ds_load_b128 v[38:41], v54 offset:64
	ds_load_2addr_b64 v[42:45], v59 offset1:16
	ds_load_b128 v[46:49], v54 offset:4160
	ds_load_b128 v[64:67], v54 offset:80
	ds_load_b128 v[68:71], v54 offset:4176
	s_wait_dscnt 0x3
	v_fma_f64 v[50:51], v[42:43], v[38:39], v[50:51]
	v_fma_f64 v[38:39], v[44:45], v[38:39], v[72:73]
	s_wait_dscnt 0x2
	v_fma_f64 v[72:73], v[42:43], v[46:47], v[74:75]
	v_fma_f64 v[46:47], v[44:45], v[46:47], v[76:77]
	ds_load_2addr_b64 v[42:45], v59 offset0:32 offset1:48
	s_wait_dscnt 0x0
	v_fma_f64 v[50:51], v[42:43], v[40:41], v[50:51]
	v_fma_f64 v[74:75], v[44:45], v[40:41], v[38:39]
	v_fma_f64 v[42:43], v[42:43], v[48:49], v[72:73]
	v_fma_f64 v[44:45], v[44:45], v[48:49], v[46:47]
	ds_load_2addr_b64 v[38:41], v59 offset0:64 offset1:80
	s_wait_dscnt 0x0
	v_fma_f64 v[46:47], v[38:39], v[64:65], v[50:51]
	v_fma_f64 v[48:49], v[40:41], v[64:65], v[74:75]
	v_fma_f64 v[42:43], v[38:39], v[68:69], v[42:43]
	v_fma_f64 v[44:45], v[40:41], v[68:69], v[44:45]
	ds_load_2addr_b64 v[38:41], v59 offset0:96 offset1:112
	s_wait_dscnt 0x0
	v_fma_f64 v[50:51], v[38:39], v[66:67], v[46:47]
	v_fma_f64 v[72:73], v[40:41], v[66:67], v[48:49]
	v_fma_f64 v[74:75], v[38:39], v[70:71], v[42:43]
	v_fma_f64 v[76:77], v[40:41], v[70:71], v[44:45]
	ds_load_b128 v[38:41], v54 offset:96
	ds_load_2addr_b64 v[42:45], v59 offset0:128 offset1:144
	ds_load_b128 v[46:49], v54 offset:4192
	ds_load_b128 v[64:67], v54 offset:112
	ds_load_b128 v[68:71], v54 offset:4208
	s_wait_dscnt 0x3
	v_fma_f64 v[50:51], v[42:43], v[38:39], v[50:51]
	v_fma_f64 v[38:39], v[44:45], v[38:39], v[72:73]
	s_wait_dscnt 0x2
	v_fma_f64 v[72:73], v[42:43], v[46:47], v[74:75]
	v_fma_f64 v[46:47], v[44:45], v[46:47], v[76:77]
	ds_load_2addr_b64 v[42:45], v59 offset0:160 offset1:176
	s_wait_dscnt 0x0
	v_fma_f64 v[50:51], v[42:43], v[40:41], v[50:51]
	v_fma_f64 v[74:75], v[44:45], v[40:41], v[38:39]
	v_fma_f64 v[42:43], v[42:43], v[48:49], v[72:73]
	v_fma_f64 v[44:45], v[44:45], v[48:49], v[46:47]
	ds_load_2addr_b64 v[38:41], v59 offset0:192 offset1:208
	s_wait_dscnt 0x0
	v_fma_f64 v[46:47], v[38:39], v[64:65], v[50:51]
	v_fma_f64 v[48:49], v[40:41], v[64:65], v[74:75]
	v_fma_f64 v[42:43], v[38:39], v[68:69], v[42:43]
	v_fma_f64 v[44:45], v[40:41], v[68:69], v[44:45]
	ds_load_2addr_b64 v[38:41], v59 offset0:224 offset1:240
	s_wait_dscnt 0x0
	v_fma_f64 v[50:51], v[38:39], v[66:67], v[46:47]
	v_fma_f64 v[72:73], v[40:41], v[66:67], v[48:49]
	v_fma_f64 v[74:75], v[38:39], v[70:71], v[42:43]
	v_fma_f64 v[76:77], v[40:41], v[70:71], v[44:45]
	ds_load_b128 v[38:41], v54 offset:128
	ds_load_2addr_b64 v[42:45], v60 offset1:16
	ds_load_b128 v[46:49], v54 offset:4224
	ds_load_b128 v[64:67], v54 offset:144
	ds_load_b128 v[68:71], v54 offset:4240
	s_wait_dscnt 0x3
	v_fma_f64 v[50:51], v[42:43], v[38:39], v[50:51]
	v_fma_f64 v[38:39], v[44:45], v[38:39], v[72:73]
	s_wait_dscnt 0x2
	v_fma_f64 v[72:73], v[42:43], v[46:47], v[74:75]
	v_fma_f64 v[46:47], v[44:45], v[46:47], v[76:77]
	ds_load_2addr_b64 v[42:45], v60 offset0:32 offset1:48
	;; [unrolled: 58-line block ×3, first 2 shown]
	s_wait_dscnt 0x0
	v_fma_f64 v[50:51], v[42:43], v[40:41], v[50:51]
	v_fma_f64 v[74:75], v[44:45], v[40:41], v[38:39]
	;; [unrolled: 1-line block ×4, first 2 shown]
	ds_load_2addr_b64 v[38:41], v61 offset0:64 offset1:80
	s_wait_dscnt 0x0
	v_fma_f64 v[46:47], v[38:39], v[64:65], v[50:51]
	v_fma_f64 v[48:49], v[40:41], v[64:65], v[74:75]
	;; [unrolled: 1-line block ×4, first 2 shown]
	ds_load_2addr_b64 v[38:41], v61 offset0:96 offset1:112
	s_wait_dscnt 0x0
	v_fma_f64 v[50:51], v[38:39], v[66:67], v[46:47]
	v_fma_f64 v[72:73], v[40:41], v[66:67], v[48:49]
	v_fma_f64 v[74:75], v[38:39], v[70:71], v[42:43]
	v_fma_f64 v[76:77], v[40:41], v[70:71], v[44:45]
	ds_load_b128 v[38:41], v54 offset:224
	ds_load_2addr_b64 v[42:45], v61 offset0:128 offset1:144
	ds_load_b128 v[46:49], v54 offset:4320
	ds_load_b128 v[64:67], v54 offset:240
	;; [unrolled: 1-line block ×3, first 2 shown]
	s_wait_dscnt 0x3
	v_fma_f64 v[50:51], v[42:43], v[38:39], v[50:51]
	v_fma_f64 v[38:39], v[44:45], v[38:39], v[72:73]
	s_wait_dscnt 0x2
	v_fma_f64 v[72:73], v[42:43], v[46:47], v[74:75]
	v_fma_f64 v[46:47], v[44:45], v[46:47], v[76:77]
	ds_load_2addr_b64 v[42:45], v61 offset0:160 offset1:176
	s_wait_dscnt 0x0
	v_fma_f64 v[50:51], v[42:43], v[40:41], v[50:51]
	v_fma_f64 v[74:75], v[44:45], v[40:41], v[38:39]
	v_fma_f64 v[42:43], v[42:43], v[48:49], v[72:73]
	v_fma_f64 v[44:45], v[44:45], v[48:49], v[46:47]
	ds_load_2addr_b64 v[38:41], v61 offset0:192 offset1:208
	ds_load_2addr_b64 v[46:49], v61 offset0:224 offset1:240
	s_wait_loadcnt_dscnt 0x0
	s_barrier_signal -1
	s_barrier_wait -1
	global_inv scope:SCOPE_SE
	v_fma_f64 v[50:51], v[38:39], v[64:65], v[50:51]
	v_fma_f64 v[64:65], v[40:41], v[64:65], v[74:75]
	;; [unrolled: 1-line block ×4, first 2 shown]
	s_delay_alu instid0(VALU_DEP_4) | instskip(NEXT) | instid1(VALU_DEP_4)
	v_fma_f64 v[44:45], v[46:47], v[66:67], v[50:51]
	v_fma_f64 v[42:43], v[48:49], v[66:67], v[64:65]
	s_delay_alu instid0(VALU_DEP_4) | instskip(NEXT) | instid1(VALU_DEP_4)
	v_fma_f64 v[40:41], v[46:47], v[70:71], v[38:39]
	v_fma_f64 v[38:39], v[48:49], v[70:71], v[68:69]
	s_cbranch_scc1 .LBB38_48
.LBB38_11:                              ;   Parent Loop BB38_4 Depth=1
                                        ;     Parent Loop BB38_8 Depth=2
                                        ; =>    This Inner Loop Header: Depth=3
	s_wait_alu 0xfffe
	v_add_co_u32 v46, s5, v0, s38
	s_wait_alu 0xf1ff
	v_add_co_ci_u32_e64 v47, null, s39, v1, s5
	v_cmp_eq_u64_e64 s7, s[38:39], v[8:9]
                                        ; implicit-def: $vgpr50_vgpr51
	s_delay_alu instid0(VALU_DEP_2)
	v_cmp_le_i64_e64 s6, s[42:43], v[46:47]
	v_cmp_lt_i64_e64 s5, v[46:47], v[2:3]
	s_and_b32 s59, s55, s7
	v_add_co_u32 v48, s7, v34, v16
	s_wait_alu 0xf1ff
	v_add_co_ci_u32_e64 v49, null, v35, v17, s7
	s_or_b32 s8, s6, s5
	s_wait_alu 0xfffe
	s_or_b32 s7, s8, s59
	s_wait_alu 0xfffe
	s_nor_b32 s7, s0, s7
	s_wait_alu 0xfffe
	s_and_saveexec_b32 s8, s7
	s_wait_alu 0xfffe
	s_xor_b32 s7, exec_lo, s8
	s_cbranch_execz .LBB38_13
; %bb.12:                               ;   in Loop: Header=BB38_11 Depth=3
	global_load_b64 v[50:51], v[48:49], off
.LBB38_13:                              ;   in Loop: Header=BB38_11 Depth=3
	s_wait_alu 0xfffe
	s_and_not1_saveexec_b32 s7, s7
	s_cbranch_execz .LBB38_15
; %bb.14:                               ;   in Loop: Header=BB38_11 Depth=3
	v_cndmask_b32_e64 v21, 0, 0x3ff00000, s59
	s_wait_loadcnt 0x0
	s_delay_alu instid0(VALU_DEP_1)
	v_dual_mov_b32 v51, v21 :: v_dual_mov_b32 v50, v20
.LBB38_15:                              ;   in Loop: Header=BB38_11 Depth=3
	s_wait_alu 0xfffe
	s_or_b32 exec_lo, exec_lo, s7
	v_cmp_eq_u64_e64 s7, s[38:39], v[10:11]
	v_cmp_gt_i64_e64 s8, v[6:7], v[46:47]
	s_wait_loadcnt 0x0
	ds_store_b64 v55, v[50:51]
	s_and_b32 s7, s55, s7
	s_or_b32 s6, s6, s8
	s_wait_alu 0xfffe
	s_or_b32 s6, s6, s7
	s_wait_alu 0xfffe
	s_nor_b32 s6, s3, s6
	s_wait_alu 0xfffe
	s_and_saveexec_b32 s8, s6
	s_wait_alu 0xfffe
	s_xor_b32 s6, exec_lo, s8
	s_cbranch_execz .LBB38_17
; %bb.16:                               ;   in Loop: Header=BB38_11 Depth=3
	global_load_b64 v[48:49], v[48:49], off offset:128
	s_wait_loadcnt 0x0
	ds_store_b64 v55, v[48:49] offset:128
.LBB38_17:                              ;   in Loop: Header=BB38_11 Depth=3
	s_wait_alu 0xfffe
	s_and_not1_saveexec_b32 s6, s6
	s_cbranch_execz .LBB38_23
; %bb.18:                               ;   in Loop: Header=BB38_11 Depth=3
	s_xor_b32 s7, s7, -1
	s_wait_alu 0xfffe
	s_and_saveexec_b32 s8, s7
	s_wait_alu 0xfffe
	s_xor_b32 s7, exec_lo, s8
; %bb.19:                               ;   in Loop: Header=BB38_11 Depth=3
	v_mov_b32_e32 v21, v20
	ds_store_b64 v55, v[20:21] offset:128
; %bb.20:                               ;   in Loop: Header=BB38_11 Depth=3
	s_wait_alu 0xfffe
	s_and_not1_saveexec_b32 s7, s7
; %bb.21:                               ;   in Loop: Header=BB38_11 Depth=3
	v_mov_b32_e32 v21, v58
	ds_store_b64 v55, v[20:21] offset:128
; %bb.22:                               ;   in Loop: Header=BB38_11 Depth=3
	s_wait_alu 0xfffe
	s_or_b32 exec_lo, exec_lo, s7
.LBB38_23:                              ;   in Loop: Header=BB38_11 Depth=3
	s_wait_alu 0xfffe
	s_or_b32 exec_lo, exec_lo, s6
	v_add_co_u32 v46, s6, v46, 16
	s_wait_alu 0xf1ff
	v_add_co_ci_u32_e64 v47, null, 0, v47, s6
	v_cmp_eq_u64_e64 s7, s[38:39], v[14:15]
                                        ; implicit-def: $vgpr48_vgpr49
	s_delay_alu instid0(VALU_DEP_2)
	v_cmp_le_i64_e64 s6, s[42:43], v[46:47]
	v_cmp_lt_i64_e64 s8, v[46:47], v[2:3]
	s_and_b32 s60, s55, s7
	v_add_co_u32 v46, s7, v36, v16
	s_wait_alu 0xf1ff
	v_add_co_ci_u32_e64 v47, null, v37, v17, s7
	s_or_b32 s8, s6, s8
	s_wait_alu 0xfffe
	s_or_b32 s7, s8, s60
	s_wait_alu 0xfffe
	s_nor_b32 s7, s0, s7
	s_wait_alu 0xfffe
	s_and_saveexec_b32 s8, s7
	s_wait_alu 0xfffe
	s_xor_b32 s7, exec_lo, s8
	s_cbranch_execz .LBB38_25
; %bb.24:                               ;   in Loop: Header=BB38_11 Depth=3
	global_load_b64 v[48:49], v[46:47], off
.LBB38_25:                              ;   in Loop: Header=BB38_11 Depth=3
	s_wait_alu 0xfffe
	s_and_not1_saveexec_b32 s7, s7
	s_cbranch_execz .LBB38_27
; %bb.26:                               ;   in Loop: Header=BB38_11 Depth=3
	v_cndmask_b32_e64 v21, 0, 0x3ff00000, s60
	s_wait_loadcnt 0x0
	s_delay_alu instid0(VALU_DEP_1)
	v_dual_mov_b32 v49, v21 :: v_dual_mov_b32 v48, v20
.LBB38_27:                              ;   in Loop: Header=BB38_11 Depth=3
	s_wait_alu 0xfffe
	s_or_b32 exec_lo, exec_lo, s7
	s_or_b32 s5, s6, s5
	s_wait_loadcnt 0x0
	ds_store_b64 v55, v[48:49] offset:4096
	s_wait_alu 0xfffe
	s_or_b32 s5, s5, s59
	s_wait_alu 0xfffe
	s_nor_b32 s5, s3, s5
	s_wait_alu 0xfffe
	s_and_saveexec_b32 s6, s5
	s_wait_alu 0xfffe
	s_xor_b32 s5, exec_lo, s6
	s_cbranch_execz .LBB38_29
; %bb.28:                               ;   in Loop: Header=BB38_11 Depth=3
	global_load_b64 v[46:47], v[46:47], off offset:128
	s_wait_loadcnt 0x0
	ds_store_b64 v55, v[46:47] offset:4224
.LBB38_29:                              ;   in Loop: Header=BB38_11 Depth=3
	s_wait_alu 0xfffe
	s_and_not1_saveexec_b32 s5, s5
	s_cbranch_execz .LBB38_35
; %bb.30:                               ;   in Loop: Header=BB38_11 Depth=3
	s_xor_b32 s6, s59, -1
	s_wait_alu 0xfffe
	s_and_saveexec_b32 s7, s6
	s_wait_alu 0xfffe
	s_xor_b32 s6, exec_lo, s7
; %bb.31:                               ;   in Loop: Header=BB38_11 Depth=3
	v_mov_b32_e32 v21, v20
	ds_store_b64 v55, v[20:21] offset:4224
; %bb.32:                               ;   in Loop: Header=BB38_11 Depth=3
	s_wait_alu 0xfffe
	s_and_not1_saveexec_b32 s6, s6
; %bb.33:                               ;   in Loop: Header=BB38_11 Depth=3
	v_mov_b32_e32 v21, v58
	ds_store_b64 v55, v[20:21] offset:4224
; %bb.34:                               ;   in Loop: Header=BB38_11 Depth=3
	s_wait_alu 0xfffe
	s_or_b32 exec_lo, exec_lo, s6
.LBB38_35:                              ;   in Loop: Header=BB38_11 Depth=3
	s_wait_alu 0xfffe
	s_or_b32 exec_lo, exec_lo, s5
	v_add_co_u32 v48, s5, v2, s38
	s_wait_alu 0xf1ff
	v_add_co_ci_u32_e64 v49, null, s39, v3, s5
	v_add_co_u32 v46, s6, v30, v16
	v_mov_b32_e32 v50, 0
	s_delay_alu instid0(VALU_DEP_3)
	v_cmp_gt_i64_e64 s5, s[42:43], v[48:49]
	v_mov_b32_e32 v51, 0
	s_wait_alu 0xf1ff
	v_add_co_ci_u32_e64 v47, null, v31, v17, s6
	s_and_b32 s7, vcc_lo, s5
	s_wait_alu 0xfffe
	s_and_saveexec_b32 s6, s7
	s_cbranch_execz .LBB38_37
; %bb.36:                               ;   in Loop: Header=BB38_11 Depth=3
	global_load_b64 v[50:51], v[46:47], off offset:-128
.LBB38_37:                              ;   in Loop: Header=BB38_11 Depth=3
	s_wait_alu 0xfffe
	s_or_b32 exec_lo, exec_lo, s6
	v_cmp_gt_i64_e64 s6, s[48:49], v[48:49]
	s_wait_loadcnt 0x0
	ds_store_b64 v56, v[50:51]
	s_and_b32 s7, vcc_lo, s6
	s_wait_alu 0xfffe
	s_xor_b32 s7, s7, -1
	s_wait_alu 0xfffe
	s_and_saveexec_b32 s8, s7
	s_wait_alu 0xfffe
	s_xor_b32 s7, exec_lo, s8
; %bb.38:                               ;   in Loop: Header=BB38_11 Depth=3
	v_mov_b32_e32 v21, v20
                                        ; implicit-def: $vgpr46_vgpr47
	ds_store_b64 v56, v[20:21] offset:128
; %bb.39:                               ;   in Loop: Header=BB38_11 Depth=3
	s_wait_alu 0xfffe
	s_and_not1_saveexec_b32 s7, s7
	s_cbranch_execz .LBB38_41
; %bb.40:                               ;   in Loop: Header=BB38_11 Depth=3
	global_load_b64 v[46:47], v[46:47], off
	s_wait_loadcnt 0x0
	ds_store_b64 v56, v[46:47] offset:128
.LBB38_41:                              ;   in Loop: Header=BB38_11 Depth=3
	s_wait_alu 0xfffe
	s_or_b32 exec_lo, exec_lo, s7
	v_add_co_u32 v46, s7, v32, v16
	v_mov_b32_e32 v48, 0
	v_mov_b32_e32 v49, 0
	s_wait_alu 0xf1ff
	v_add_co_ci_u32_e64 v47, null, v33, v17, s7
	s_and_b32 s7, s4, s5
	s_wait_alu 0xfffe
	s_and_saveexec_b32 s5, s7
	s_cbranch_execz .LBB38_43
; %bb.42:                               ;   in Loop: Header=BB38_11 Depth=3
	global_load_b64 v[48:49], v[46:47], off offset:-128
.LBB38_43:                              ;   in Loop: Header=BB38_11 Depth=3
	s_wait_alu 0xfffe
	s_or_b32 exec_lo, exec_lo, s5
	s_and_b32 s5, s4, s6
	s_wait_loadcnt 0x0
	ds_store_b64 v56, v[48:49] offset:4096
	s_wait_alu 0xfffe
	s_xor_b32 s5, s5, -1
	s_wait_alu 0xfffe
	s_and_saveexec_b32 s6, s5
	s_wait_alu 0xfffe
	s_xor_b32 s5, exec_lo, s6
; %bb.44:                               ;   in Loop: Header=BB38_11 Depth=3
	v_mov_b32_e32 v21, v20
                                        ; implicit-def: $vgpr46_vgpr47
	ds_store_b64 v56, v[20:21] offset:4224
; %bb.45:                               ;   in Loop: Header=BB38_11 Depth=3
	s_wait_alu 0xfffe
	s_and_not1_saveexec_b32 s5, s5
	s_cbranch_execz .LBB38_10
; %bb.46:                               ;   in Loop: Header=BB38_11 Depth=3
	global_load_b64 v[46:47], v[46:47], off
	s_wait_loadcnt 0x0
	ds_store_b64 v56, v[46:47] offset:4224
	s_branch .LBB38_10
.LBB38_47:                              ;   in Loop: Header=BB38_8 Depth=2
	v_mov_b32_e32 v44, 0
	v_dual_mov_b32 v40, 0 :: v_dual_mov_b32 v45, 0
	v_dual_mov_b32 v42, 0 :: v_dual_mov_b32 v41, 0
	v_dual_mov_b32 v38, 0 :: v_dual_mov_b32 v43, 0
	v_mov_b32_e32 v39, 0
.LBB38_48:                              ;   in Loop: Header=BB38_8 Depth=2
	v_mul_lo_u32 v21, s29, v62
	v_mul_lo_u32 v31, s28, v63
	v_mad_co_u64_u32 v[29:30], null, s28, v62, 0
	v_cmp_gt_i32_e32 vcc_lo, s10, v62
	s_delay_alu instid0(VALU_DEP_2) | instskip(NEXT) | instid1(VALU_DEP_1)
	v_add3_u32 v30, v30, v31, v21
	v_lshlrev_b64_e32 v[29:30], 3, v[29:30]
	s_delay_alu instid0(VALU_DEP_1) | instskip(SKIP_1) | instid1(VALU_DEP_2)
	v_add_co_u32 v21, s4, s26, v29
	s_wait_alu 0xf1ff
	v_add_co_ci_u32_e64 v29, null, s27, v30, s4
	s_and_b32 s4, s1, vcc_lo
	s_wait_alu 0xfffe
	s_and_saveexec_b32 s5, s4
	s_cbranch_execz .LBB38_50
; %bb.49:                               ;   in Loop: Header=BB38_8 Depth=2
	v_add_co_u32 v30, s4, v21, v16
	s_wait_alu 0xf1ff
	v_add_co_ci_u32_e64 v31, null, v29, v17, s4
	global_load_b64 v[32:33], v[30:31], off
	s_wait_loadcnt 0x0
	v_fma_f64 v[32:33], v[22:23], v[44:45], v[32:33]
	global_store_b64 v[30:31], v[32:33], off
.LBB38_50:                              ;   in Loop: Header=BB38_8 Depth=2
	s_wait_alu 0xfffe
	s_or_b32 exec_lo, exec_lo, s5
	s_and_b32 s5, s2, vcc_lo
	s_wait_alu 0xfffe
	s_and_saveexec_b32 s4, s5
	s_cbranch_execz .LBB38_52
; %bb.51:                               ;   in Loop: Header=BB38_8 Depth=2
	v_lshlrev_b64_e32 v[30:31], 3, v[4:5]
	s_delay_alu instid0(VALU_DEP_1) | instskip(SKIP_1) | instid1(VALU_DEP_2)
	v_add_co_u32 v30, vcc_lo, v21, v30
	s_wait_alu 0xfffd
	v_add_co_ci_u32_e64 v31, null, v29, v31, vcc_lo
	global_load_b64 v[32:33], v[30:31], off
	s_wait_loadcnt 0x0
	v_fma_f64 v[32:33], v[22:23], v[42:43], v[32:33]
	global_store_b64 v[30:31], v[32:33], off
.LBB38_52:                              ;   in Loop: Header=BB38_8 Depth=2
	s_wait_alu 0xfffe
	s_or_b32 exec_lo, exec_lo, s4
	v_add_nc_u32_e32 v21, 16, v62
	s_delay_alu instid0(VALU_DEP_1) | instskip(SKIP_3) | instid1(VALU_DEP_4)
	v_ashrrev_i32_e32 v31, 31, v21
	v_mul_lo_u32 v32, s29, v21
	v_mad_co_u64_u32 v[29:30], null, s28, v21, 0
	v_cmp_gt_i32_e32 vcc_lo, s10, v21
	v_mul_lo_u32 v31, s28, v31
	s_delay_alu instid0(VALU_DEP_1) | instskip(NEXT) | instid1(VALU_DEP_1)
	v_add3_u32 v30, v30, v31, v32
	v_lshlrev_b64_e32 v[29:30], 3, v[29:30]
	s_delay_alu instid0(VALU_DEP_1) | instskip(SKIP_1) | instid1(VALU_DEP_2)
	v_add_co_u32 v21, s4, s26, v29
	s_wait_alu 0xf1ff
	v_add_co_ci_u32_e64 v29, null, s27, v30, s4
	s_and_b32 s4, s1, vcc_lo
	s_wait_alu 0xfffe
	s_and_saveexec_b32 s5, s4
	s_cbranch_execz .LBB38_54
; %bb.53:                               ;   in Loop: Header=BB38_8 Depth=2
	v_add_co_u32 v30, s4, v21, v16
	s_wait_alu 0xf1ff
	v_add_co_ci_u32_e64 v31, null, v29, v17, s4
	global_load_b64 v[32:33], v[30:31], off
	s_wait_loadcnt 0x0
	v_fma_f64 v[32:33], v[22:23], v[40:41], v[32:33]
	global_store_b64 v[30:31], v[32:33], off
.LBB38_54:                              ;   in Loop: Header=BB38_8 Depth=2
	s_wait_alu 0xfffe
	s_or_b32 exec_lo, exec_lo, s5
	s_and_b32 s5, s2, vcc_lo
	s_wait_alu 0xfffe
	s_and_saveexec_b32 s4, s5
	s_cbranch_execz .LBB38_7
; %bb.55:                               ;   in Loop: Header=BB38_8 Depth=2
	v_lshlrev_b64_e32 v[30:31], 3, v[4:5]
	s_delay_alu instid0(VALU_DEP_1) | instskip(SKIP_1) | instid1(VALU_DEP_2)
	v_add_co_u32 v30, vcc_lo, v21, v30
	s_wait_alu 0xfffd
	v_add_co_ci_u32_e64 v31, null, v29, v31, vcc_lo
	global_load_b64 v[32:33], v[30:31], off
	s_wait_loadcnt 0x0
	v_fma_f64 v[32:33], v[22:23], v[38:39], v[32:33]
	global_store_b64 v[30:31], v[32:33], off
	s_branch .LBB38_7
.LBB38_56:
	s_endpgm
	.section	.rodata,"a",@progbits
	.p2align	6, 0x0
	.amdhsa_kernel _ZL30rocblas_trmm_outofplace_kernelIdLi32ELi2ELb1ELb1ELb0ELb0EPKdS0_dEv17rocblas_diagonal_iiT6_lPT7_lllS5_lllPT8_llli
		.amdhsa_group_segment_fixed_size 16384
		.amdhsa_private_segment_fixed_size 0
		.amdhsa_kernarg_size 392
		.amdhsa_user_sgpr_count 2
		.amdhsa_user_sgpr_dispatch_ptr 0
		.amdhsa_user_sgpr_queue_ptr 0
		.amdhsa_user_sgpr_kernarg_segment_ptr 1
		.amdhsa_user_sgpr_dispatch_id 0
		.amdhsa_user_sgpr_private_segment_size 0
		.amdhsa_wavefront_size32 1
		.amdhsa_uses_dynamic_stack 0
		.amdhsa_enable_private_segment 0
		.amdhsa_system_sgpr_workgroup_id_x 1
		.amdhsa_system_sgpr_workgroup_id_y 1
		.amdhsa_system_sgpr_workgroup_id_z 1
		.amdhsa_system_sgpr_workgroup_info 0
		.amdhsa_system_vgpr_workitem_id 1
		.amdhsa_next_free_vgpr 80
		.amdhsa_next_free_sgpr 61
		.amdhsa_reserve_vcc 1
		.amdhsa_float_round_mode_32 0
		.amdhsa_float_round_mode_16_64 0
		.amdhsa_float_denorm_mode_32 3
		.amdhsa_float_denorm_mode_16_64 3
		.amdhsa_fp16_overflow 0
		.amdhsa_workgroup_processor_mode 1
		.amdhsa_memory_ordered 1
		.amdhsa_forward_progress 1
		.amdhsa_inst_pref_size 35
		.amdhsa_round_robin_scheduling 0
		.amdhsa_exception_fp_ieee_invalid_op 0
		.amdhsa_exception_fp_denorm_src 0
		.amdhsa_exception_fp_ieee_div_zero 0
		.amdhsa_exception_fp_ieee_overflow 0
		.amdhsa_exception_fp_ieee_underflow 0
		.amdhsa_exception_fp_ieee_inexact 0
		.amdhsa_exception_int_div_zero 0
	.end_amdhsa_kernel
	.section	.text._ZL30rocblas_trmm_outofplace_kernelIdLi32ELi2ELb1ELb1ELb0ELb0EPKdS0_dEv17rocblas_diagonal_iiT6_lPT7_lllS5_lllPT8_llli,"axG",@progbits,_ZL30rocblas_trmm_outofplace_kernelIdLi32ELi2ELb1ELb1ELb0ELb0EPKdS0_dEv17rocblas_diagonal_iiT6_lPT7_lllS5_lllPT8_llli,comdat
.Lfunc_end38:
	.size	_ZL30rocblas_trmm_outofplace_kernelIdLi32ELi2ELb1ELb1ELb0ELb0EPKdS0_dEv17rocblas_diagonal_iiT6_lPT7_lllS5_lllPT8_llli, .Lfunc_end38-_ZL30rocblas_trmm_outofplace_kernelIdLi32ELi2ELb1ELb1ELb0ELb0EPKdS0_dEv17rocblas_diagonal_iiT6_lPT7_lllS5_lllPT8_llli
                                        ; -- End function
	.set _ZL30rocblas_trmm_outofplace_kernelIdLi32ELi2ELb1ELb1ELb0ELb0EPKdS0_dEv17rocblas_diagonal_iiT6_lPT7_lllS5_lllPT8_llli.num_vgpr, 80
	.set _ZL30rocblas_trmm_outofplace_kernelIdLi32ELi2ELb1ELb1ELb0ELb0EPKdS0_dEv17rocblas_diagonal_iiT6_lPT7_lllS5_lllPT8_llli.num_agpr, 0
	.set _ZL30rocblas_trmm_outofplace_kernelIdLi32ELi2ELb1ELb1ELb0ELb0EPKdS0_dEv17rocblas_diagonal_iiT6_lPT7_lllS5_lllPT8_llli.numbered_sgpr, 61
	.set _ZL30rocblas_trmm_outofplace_kernelIdLi32ELi2ELb1ELb1ELb0ELb0EPKdS0_dEv17rocblas_diagonal_iiT6_lPT7_lllS5_lllPT8_llli.num_named_barrier, 0
	.set _ZL30rocblas_trmm_outofplace_kernelIdLi32ELi2ELb1ELb1ELb0ELb0EPKdS0_dEv17rocblas_diagonal_iiT6_lPT7_lllS5_lllPT8_llli.private_seg_size, 0
	.set _ZL30rocblas_trmm_outofplace_kernelIdLi32ELi2ELb1ELb1ELb0ELb0EPKdS0_dEv17rocblas_diagonal_iiT6_lPT7_lllS5_lllPT8_llli.uses_vcc, 1
	.set _ZL30rocblas_trmm_outofplace_kernelIdLi32ELi2ELb1ELb1ELb0ELb0EPKdS0_dEv17rocblas_diagonal_iiT6_lPT7_lllS5_lllPT8_llli.uses_flat_scratch, 0
	.set _ZL30rocblas_trmm_outofplace_kernelIdLi32ELi2ELb1ELb1ELb0ELb0EPKdS0_dEv17rocblas_diagonal_iiT6_lPT7_lllS5_lllPT8_llli.has_dyn_sized_stack, 0
	.set _ZL30rocblas_trmm_outofplace_kernelIdLi32ELi2ELb1ELb1ELb0ELb0EPKdS0_dEv17rocblas_diagonal_iiT6_lPT7_lllS5_lllPT8_llli.has_recursion, 0
	.set _ZL30rocblas_trmm_outofplace_kernelIdLi32ELi2ELb1ELb1ELb0ELb0EPKdS0_dEv17rocblas_diagonal_iiT6_lPT7_lllS5_lllPT8_llli.has_indirect_call, 0
	.section	.AMDGPU.csdata,"",@progbits
; Kernel info:
; codeLenInByte = 4416
; TotalNumSgprs: 63
; NumVgprs: 80
; ScratchSize: 0
; MemoryBound: 0
; FloatMode: 240
; IeeeMode: 1
; LDSByteSize: 16384 bytes/workgroup (compile time only)
; SGPRBlocks: 0
; VGPRBlocks: 9
; NumSGPRsForWavesPerEU: 63
; NumVGPRsForWavesPerEU: 80
; Occupancy: 16
; WaveLimiterHint : 0
; COMPUTE_PGM_RSRC2:SCRATCH_EN: 0
; COMPUTE_PGM_RSRC2:USER_SGPR: 2
; COMPUTE_PGM_RSRC2:TRAP_HANDLER: 0
; COMPUTE_PGM_RSRC2:TGID_X_EN: 1
; COMPUTE_PGM_RSRC2:TGID_Y_EN: 1
; COMPUTE_PGM_RSRC2:TGID_Z_EN: 1
; COMPUTE_PGM_RSRC2:TIDIG_COMP_CNT: 1
	.section	.text._ZL30rocblas_trmm_outofplace_kernelIdLi32ELi2ELb1ELb1ELb0ELb0EdKddEv17rocblas_diagonal_iiT6_lPT7_lllS4_lllPT8_llli,"axG",@progbits,_ZL30rocblas_trmm_outofplace_kernelIdLi32ELi2ELb1ELb1ELb0ELb0EdKddEv17rocblas_diagonal_iiT6_lPT7_lllS4_lllPT8_llli,comdat
	.globl	_ZL30rocblas_trmm_outofplace_kernelIdLi32ELi2ELb1ELb1ELb0ELb0EdKddEv17rocblas_diagonal_iiT6_lPT7_lllS4_lllPT8_llli ; -- Begin function _ZL30rocblas_trmm_outofplace_kernelIdLi32ELi2ELb1ELb1ELb0ELb0EdKddEv17rocblas_diagonal_iiT6_lPT7_lllS4_lllPT8_llli
	.p2align	8
	.type	_ZL30rocblas_trmm_outofplace_kernelIdLi32ELi2ELb1ELb1ELb0ELb0EdKddEv17rocblas_diagonal_iiT6_lPT7_lllS4_lllPT8_llli,@function
_ZL30rocblas_trmm_outofplace_kernelIdLi32ELi2ELb1ELb1ELb0ELb0EdKddEv17rocblas_diagonal_iiT6_lPT7_lllS4_lllPT8_llli: ; @_ZL30rocblas_trmm_outofplace_kernelIdLi32ELi2ELb1ELb1ELb0ELb0EdKddEv17rocblas_diagonal_iiT6_lPT7_lllS4_lllPT8_llli
; %bb.0:
	s_load_b32 s31, s[0:1], 0x80
	s_lshr_b32 s34, ttmp7, 16
	s_wait_kmcnt 0x0
	s_cmp_ge_u32 s34, s31
	s_cbranch_scc1 .LBB39_55
; %bb.1:
	s_load_b64 s[36:37], s[0:1], 0x10
	s_wait_kmcnt 0x0
	v_cmp_eq_f64_e64 s2, s[36:37], 0
	s_and_b32 vcc_lo, exec_lo, s2
	s_cbranch_vccnz .LBB39_55
; %bb.2:
	s_load_b96 s[28:30], s[0:1], 0x0
	v_bfe_u32 v50, v0, 10, 10
	s_load_b512 s[4:19], s[0:1], 0x20
	v_and_b32_e32 v1, 0x3ff, v0
	s_and_b32 s33, ttmp7, 0xffff
	s_add_nc_u64 s[38:39], s[0:1], 0x88
	v_lshlrev_b32_e32 v0, 8, v50
	s_load_b256 s[20:27], s[0:1], 0x60
	v_dual_mov_b32 v56, 0x3ff00000 :: v_dual_lshlrev_b32 v51, 3, v1
	v_lshl_add_u32 v55, s33, 5, v50
	s_delay_alu instid0(VALU_DEP_3) | instskip(SKIP_1) | instid1(VALU_DEP_3)
	v_add_nc_u32_e32 v52, 0x2000, v0
	s_mov_b32 s35, 0
	v_add_nc_u32_e32 v53, v51, v0
	v_add_nc_u32_e32 v57, 0x800, v51
	;; [unrolled: 1-line block ×5, first 2 shown]
	s_wait_kmcnt 0x0
	s_add_co_i32 s2, s30, -1
	s_mov_b32 s40, s29
	s_ashr_i32 s3, s2, 31
	s_mov_b32 s51, s30
	s_lshr_b32 s3, s3, 27
	s_delay_alu instid0(SALU_CYCLE_1) | instskip(NEXT) | instid1(SALU_CYCLE_1)
	s_add_co_i32 s2, s2, s3
	s_ashr_i32 s48, s2, 5
	s_delay_alu instid0(SALU_CYCLE_1) | instskip(SKIP_2) | instid1(SALU_CYCLE_1)
	s_cmp_le_i32 s33, s48
	s_cselect_b32 s49, -1, 0
	s_lshl_b32 s0, ttmp9, 5
	v_add_nc_u32_e32 v2, s0, v1
	v_add_nc_u32_e32 v0, s0, v50
	s_sub_co_i32 s50, s29, s0
	s_delay_alu instid0(SALU_CYCLE_1) | instskip(NEXT) | instid1(VALU_DEP_2)
	s_cmp_gt_i32 s50, 0
	v_ashrrev_i32_e32 v3, 31, v2
	s_delay_alu instid0(VALU_DEP_2) | instskip(SKIP_2) | instid1(VALU_DEP_4)
	v_ashrrev_i32_e32 v1, 31, v0
	v_add_co_u32 v6, vcc_lo, v2, 16
	v_mul_lo_u32 v19, s9, v0
	v_add_co_ci_u32_e64 v7, null, 0, v3, vcc_lo
	v_sub_co_u32 v8, vcc_lo, v2, v0
	v_lshlrev_b64_e32 v[12:13], 3, v[0:1]
	v_mul_lo_u32 v18, s8, v1
	v_mad_co_u64_u32 v[16:17], null, s8, v0, 0
	s_wait_alu 0xfffd
	v_sub_co_ci_u32_e64 v9, null, v3, v1, vcc_lo
	v_add_co_u32 v10, vcc_lo, v8, 16
	s_cselect_b32 s52, -1, 0
	s_wait_alu 0xfffd
	v_add_co_ci_u32_e64 v11, null, 0, v9, vcc_lo
	v_add_co_u32 v14, vcc_lo, 0x80, v12
	s_cmp_eq_u32 s28, 0x84
	s_wait_alu 0xfffd
	v_add_co_ci_u32_e64 v15, null, 0, v13, vcc_lo
	v_add3_u32 v17, v17, v18, v19
	s_cselect_b32 s53, -1, 0
	s_lshl_b64 s[6:7], s[6:7], 3
	s_delay_alu instid0(VALU_DEP_2)
	v_mul_lo_u32 v20, s8, v15
	s_add_nc_u64 s[4:5], s[4:5], s[6:7]
	v_mul_lo_u32 v21, s9, v14
	v_mad_co_u64_u32 v[12:13], null, s8, v14, s[4:5]
	v_lshlrev_b64_e32 v[18:19], 3, v[16:17]
	v_add_nc_u32_e32 v4, 16, v2
	v_add_co_u32 v14, vcc_lo, v8, -16
	s_ashr_i32 s41, s29, 31
	s_lshl_b64 s[2:3], s[22:23], 3
	s_wait_alu 0xfffd
	v_add_co_ci_u32_e64 v15, null, -1, v9, vcc_lo
	v_add_co_u32 v18, vcc_lo, s4, v18
	s_add_nc_u64 s[20:21], s[20:21], s[2:3]
	v_cmp_le_i64_e64 s3, s[40:41], v[6:7]
	s_lshl_b64 s[14:15], s[14:15], 3
	v_lshlrev_b64_e32 v[16:17], 3, v[2:3]
	v_cmp_le_i32_e64 s0, s29, v2
	v_cmp_gt_i32_e64 s1, s29, v2
	v_cmp_gt_i32_e64 s2, s29, v4
	v_ashrrev_i32_e32 v5, 31, v4
	v_add3_u32 v13, v21, v13, v20
	s_wait_alu 0xfffd
	v_add_co_ci_u32_e64 v19, null, s5, v19, vcc_lo
	v_mov_b32_e32 v20, 0
	s_add_nc_u64 s[6:7], s[12:13], s[14:15]
	s_ashr_i32 s54, s30, 31
	s_lshl_b64 s[42:43], s[8:9], 8
	s_add_nc_u64 s[22:23], s[40:41], -16
	s_add_nc_u64 s[12:13], s[6:7], 0x80
	s_lshl_b64 s[14:15], s[18:19], 3
	s_lshl_b64 s[18:19], s[16:17], 3
	;; [unrolled: 1-line block ×3, first 2 shown]
	s_branch .LBB39_4
.LBB39_3:                               ;   in Loop: Header=BB39_4 Depth=1
	s_add_co_i32 s34, s34, 0x10000
	s_wait_alu 0xfffe
	s_cmp_ge_u32 s34, s31
	s_cbranch_scc1 .LBB39_55
.LBB39_4:                               ; =>This Loop Header: Depth=1
                                        ;     Child Loop BB39_7 Depth 2
                                        ;       Child Loop BB39_10 Depth 3
	s_and_not1_b32 vcc_lo, exec_lo, s49
	s_wait_alu 0xfffe
	s_cbranch_vccnz .LBB39_3
; %bb.5:                                ;   in Loop: Header=BB39_4 Depth=1
	s_load_b32 s9, s[38:39], 0x4
	v_mad_co_u64_u32 v[22:23], null, s10, s34, v[12:13]
	v_mad_co_u64_u32 v[24:25], null, s10, s34, v[18:19]
	s_mul_i32 s8, s11, s34
	s_mul_u64 s[6:7], s[26:27], s[34:35]
	v_mov_b32_e32 v26, v55
	s_mul_u64 s[4:5], s[14:15], s[34:35]
	s_wait_alu 0xfffe
	v_add_nc_u32_e32 v23, s8, v23
	s_lshl_b64 s[6:7], s[6:7], 3
	v_add_nc_u32_e32 v25, s8, v25
	s_add_nc_u64 s[28:29], s[12:13], s[4:5]
	s_wait_alu 0xfffe
	s_add_nc_u64 s[44:45], s[20:21], s[6:7]
	s_mov_b32 s56, s33
	s_wait_kmcnt 0x0
	s_lshl_b32 s55, s9, 5
	s_branch .LBB39_7
.LBB39_6:                               ;   in Loop: Header=BB39_7 Depth=2
	s_wait_alu 0xfffe
	s_or_b32 exec_lo, exec_lo, s4
	v_add_nc_u32_e32 v26, s55, v26
	s_add_co_i32 s56, s9, s56
	s_wait_alu 0xfffe
	s_cmp_gt_i32 s56, s48
	s_cbranch_scc1 .LBB39_3
.LBB39_7:                               ;   Parent Loop BB39_4 Depth=1
                                        ; =>  This Loop Header: Depth=2
                                        ;       Child Loop BB39_10 Depth 3
	s_wait_alu 0xfffe
	v_lshl_add_u32 v60, s56, 5, v50
	s_and_not1_b32 vcc_lo, exec_lo, s52
	s_delay_alu instid0(VALU_DEP_1)
	v_ashrrev_i32_e32 v61, 31, v60
	s_wait_alu 0xfffe
	s_cbranch_vccnz .LBB39_46
; %bb.8:                                ;   in Loop: Header=BB39_7 Depth=2
	v_ashrrev_i32_e32 v27, 31, v26
	v_mad_co_u64_u32 v[28:29], null, s18, v26, s[28:29]
	v_mul_lo_u32 v21, s19, v26
	v_mov_b32_e32 v38, 0
	s_delay_alu instid0(VALU_DEP_4) | instskip(SKIP_3) | instid1(VALU_DEP_4)
	v_lshlrev_b64_e32 v[30:31], 3, v[26:27]
	v_mul_lo_u32 v27, s18, v27
	v_dual_mov_b32 v36, 0 :: v_dual_mov_b32 v33, v25
	v_dual_mov_b32 v39, 0 :: v_dual_mov_b32 v42, 0
	v_add_co_u32 v30, vcc_lo, 0x80, v30
	s_wait_alu 0xfffd
	v_add_co_ci_u32_e64 v31, null, 0, v31, vcc_lo
	v_sub_co_u32 v34, vcc_lo, s51, v60
	s_delay_alu instid0(VALU_DEP_3) | instskip(NEXT) | instid1(VALU_DEP_3)
	v_mul_lo_u32 v41, s17, v30
	v_mul_lo_u32 v40, s16, v31
	v_mad_co_u64_u32 v[30:31], null, s16, v30, s[28:29]
	s_wait_alu 0xfffd
	v_sub_co_ci_u32_e64 v35, null, s54, v61, vcc_lo
	v_dual_mov_b32 v37, 0 :: v_dual_mov_b32 v32, v24
	v_add3_u32 v29, v21, v29, v27
	s_delay_alu instid0(VALU_DEP_3)
	v_cmp_lt_i64_e32 vcc_lo, 0, v[34:35]
	v_cmp_lt_i64_e64 s4, 16, v[34:35]
	v_add3_u32 v31, v41, v31, v40
	v_dual_mov_b32 v40, 0 :: v_dual_mov_b32 v35, v23
	v_mov_b32_e32 v41, 0
	v_dual_mov_b32 v43, 0 :: v_dual_mov_b32 v34, v22
	s_mov_b64 s[46:47], 0
	s_branch .LBB39_10
.LBB39_9:                               ;   in Loop: Header=BB39_10 Depth=3
	s_wait_alu 0xfffe
	s_or_b32 exec_lo, exec_lo, s5
	s_wait_dscnt 0x0
	s_barrier_signal -1
	s_barrier_wait -1
	global_inv scope:SCOPE_SE
	ds_load_b128 v[44:47], v52
	ds_load_2addr_b64 v[62:65], v51 offset1:16
	ds_load_b128 v[66:69], v52 offset:4096
	ds_load_b128 v[70:73], v52 offset:16
	;; [unrolled: 1-line block ×3, first 2 shown]
	v_add_co_u32 v28, s5, 0x100, v28
	s_wait_alu 0xf1ff
	v_add_co_ci_u32_e64 v29, null, 0, v29, s5
	v_add_co_u32 v34, s5, v34, s42
	s_wait_alu 0xf1ff
	v_add_co_ci_u32_e64 v35, null, s43, v35, s5
	;; [unrolled: 3-line block ×4, first 2 shown]
	s_wait_dscnt 0x3
	v_fma_f64 v[42:43], v[62:63], v[44:45], v[42:43]
	v_fma_f64 v[40:41], v[64:65], v[44:45], v[40:41]
	s_wait_dscnt 0x2
	v_fma_f64 v[44:45], v[62:63], v[66:67], v[38:39]
	v_fma_f64 v[48:49], v[64:65], v[66:67], v[36:37]
	ds_load_2addr_b64 v[36:39], v51 offset0:32 offset1:48
	s_add_nc_u64 s[46:47], s[46:47], 32
	s_wait_alu 0xfffe
	s_cmp_ge_i32 s46, s50
	s_wait_dscnt 0x0
	v_fma_f64 v[42:43], v[36:37], v[46:47], v[42:43]
	v_fma_f64 v[40:41], v[38:39], v[46:47], v[40:41]
	v_fma_f64 v[44:45], v[36:37], v[68:69], v[44:45]
	v_fma_f64 v[46:47], v[38:39], v[68:69], v[48:49]
	ds_load_2addr_b64 v[36:39], v51 offset0:64 offset1:80
	s_wait_dscnt 0x0
	v_fma_f64 v[42:43], v[36:37], v[70:71], v[42:43]
	v_fma_f64 v[40:41], v[38:39], v[70:71], v[40:41]
	v_fma_f64 v[44:45], v[36:37], v[74:75], v[44:45]
	v_fma_f64 v[46:47], v[38:39], v[74:75], v[46:47]
	ds_load_2addr_b64 v[36:39], v51 offset0:96 offset1:112
	s_wait_dscnt 0x0
	v_fma_f64 v[48:49], v[36:37], v[72:73], v[42:43]
	v_fma_f64 v[70:71], v[38:39], v[72:73], v[40:41]
	v_fma_f64 v[72:73], v[36:37], v[76:77], v[44:45]
	v_fma_f64 v[74:75], v[38:39], v[76:77], v[46:47]
	ds_load_b128 v[36:39], v52 offset:32
	ds_load_2addr_b64 v[40:43], v51 offset0:128 offset1:144
	ds_load_b128 v[44:47], v52 offset:4128
	ds_load_b128 v[62:65], v52 offset:48
	ds_load_b128 v[66:69], v52 offset:4144
	s_wait_dscnt 0x3
	v_fma_f64 v[48:49], v[40:41], v[36:37], v[48:49]
	v_fma_f64 v[36:37], v[42:43], v[36:37], v[70:71]
	s_wait_dscnt 0x2
	v_fma_f64 v[70:71], v[40:41], v[44:45], v[72:73]
	v_fma_f64 v[44:45], v[42:43], v[44:45], v[74:75]
	ds_load_2addr_b64 v[40:43], v51 offset0:160 offset1:176
	s_wait_dscnt 0x0
	v_fma_f64 v[48:49], v[40:41], v[38:39], v[48:49]
	v_fma_f64 v[72:73], v[42:43], v[38:39], v[36:37]
	v_fma_f64 v[40:41], v[40:41], v[46:47], v[70:71]
	v_fma_f64 v[42:43], v[42:43], v[46:47], v[44:45]
	ds_load_2addr_b64 v[36:39], v51 offset0:192 offset1:208
	s_wait_dscnt 0x0
	v_fma_f64 v[44:45], v[36:37], v[62:63], v[48:49]
	v_fma_f64 v[46:47], v[38:39], v[62:63], v[72:73]
	v_fma_f64 v[40:41], v[36:37], v[66:67], v[40:41]
	v_fma_f64 v[42:43], v[38:39], v[66:67], v[42:43]
	ds_load_2addr_b64 v[36:39], v51 offset0:224 offset1:240
	s_wait_dscnt 0x0
	v_fma_f64 v[48:49], v[36:37], v[64:65], v[44:45]
	v_fma_f64 v[70:71], v[38:39], v[64:65], v[46:47]
	v_fma_f64 v[72:73], v[36:37], v[68:69], v[40:41]
	v_fma_f64 v[74:75], v[38:39], v[68:69], v[42:43]
	ds_load_b128 v[36:39], v52 offset:64
	ds_load_2addr_b64 v[40:43], v57 offset1:16
	ds_load_b128 v[44:47], v52 offset:4160
	ds_load_b128 v[62:65], v52 offset:80
	ds_load_b128 v[66:69], v52 offset:4176
	s_wait_dscnt 0x3
	v_fma_f64 v[48:49], v[40:41], v[36:37], v[48:49]
	v_fma_f64 v[36:37], v[42:43], v[36:37], v[70:71]
	s_wait_dscnt 0x2
	v_fma_f64 v[70:71], v[40:41], v[44:45], v[72:73]
	v_fma_f64 v[44:45], v[42:43], v[44:45], v[74:75]
	ds_load_2addr_b64 v[40:43], v57 offset0:32 offset1:48
	s_wait_dscnt 0x0
	v_fma_f64 v[48:49], v[40:41], v[38:39], v[48:49]
	v_fma_f64 v[72:73], v[42:43], v[38:39], v[36:37]
	v_fma_f64 v[40:41], v[40:41], v[46:47], v[70:71]
	v_fma_f64 v[42:43], v[42:43], v[46:47], v[44:45]
	ds_load_2addr_b64 v[36:39], v57 offset0:64 offset1:80
	s_wait_dscnt 0x0
	v_fma_f64 v[44:45], v[36:37], v[62:63], v[48:49]
	v_fma_f64 v[46:47], v[38:39], v[62:63], v[72:73]
	v_fma_f64 v[40:41], v[36:37], v[66:67], v[40:41]
	v_fma_f64 v[42:43], v[38:39], v[66:67], v[42:43]
	ds_load_2addr_b64 v[36:39], v57 offset0:96 offset1:112
	s_wait_dscnt 0x0
	v_fma_f64 v[48:49], v[36:37], v[64:65], v[44:45]
	v_fma_f64 v[70:71], v[38:39], v[64:65], v[46:47]
	v_fma_f64 v[72:73], v[36:37], v[68:69], v[40:41]
	v_fma_f64 v[74:75], v[38:39], v[68:69], v[42:43]
	ds_load_b128 v[36:39], v52 offset:96
	ds_load_2addr_b64 v[40:43], v57 offset0:128 offset1:144
	ds_load_b128 v[44:47], v52 offset:4192
	ds_load_b128 v[62:65], v52 offset:112
	ds_load_b128 v[66:69], v52 offset:4208
	s_wait_dscnt 0x3
	v_fma_f64 v[48:49], v[40:41], v[36:37], v[48:49]
	v_fma_f64 v[36:37], v[42:43], v[36:37], v[70:71]
	s_wait_dscnt 0x2
	v_fma_f64 v[70:71], v[40:41], v[44:45], v[72:73]
	v_fma_f64 v[44:45], v[42:43], v[44:45], v[74:75]
	ds_load_2addr_b64 v[40:43], v57 offset0:160 offset1:176
	s_wait_dscnt 0x0
	v_fma_f64 v[48:49], v[40:41], v[38:39], v[48:49]
	v_fma_f64 v[72:73], v[42:43], v[38:39], v[36:37]
	v_fma_f64 v[40:41], v[40:41], v[46:47], v[70:71]
	v_fma_f64 v[42:43], v[42:43], v[46:47], v[44:45]
	ds_load_2addr_b64 v[36:39], v57 offset0:192 offset1:208
	s_wait_dscnt 0x0
	v_fma_f64 v[44:45], v[36:37], v[62:63], v[48:49]
	v_fma_f64 v[46:47], v[38:39], v[62:63], v[72:73]
	v_fma_f64 v[40:41], v[36:37], v[66:67], v[40:41]
	v_fma_f64 v[42:43], v[38:39], v[66:67], v[42:43]
	ds_load_2addr_b64 v[36:39], v57 offset0:224 offset1:240
	s_wait_dscnt 0x0
	v_fma_f64 v[48:49], v[36:37], v[64:65], v[44:45]
	v_fma_f64 v[70:71], v[38:39], v[64:65], v[46:47]
	v_fma_f64 v[72:73], v[36:37], v[68:69], v[40:41]
	v_fma_f64 v[74:75], v[38:39], v[68:69], v[42:43]
	ds_load_b128 v[36:39], v52 offset:128
	ds_load_2addr_b64 v[40:43], v58 offset1:16
	ds_load_b128 v[44:47], v52 offset:4224
	ds_load_b128 v[62:65], v52 offset:144
	ds_load_b128 v[66:69], v52 offset:4240
	s_wait_dscnt 0x3
	v_fma_f64 v[48:49], v[40:41], v[36:37], v[48:49]
	v_fma_f64 v[36:37], v[42:43], v[36:37], v[70:71]
	s_wait_dscnt 0x2
	v_fma_f64 v[70:71], v[40:41], v[44:45], v[72:73]
	v_fma_f64 v[44:45], v[42:43], v[44:45], v[74:75]
	ds_load_2addr_b64 v[40:43], v58 offset0:32 offset1:48
	;; [unrolled: 58-line block ×3, first 2 shown]
	s_wait_dscnt 0x0
	v_fma_f64 v[48:49], v[40:41], v[38:39], v[48:49]
	v_fma_f64 v[72:73], v[42:43], v[38:39], v[36:37]
	;; [unrolled: 1-line block ×4, first 2 shown]
	ds_load_2addr_b64 v[36:39], v59 offset0:64 offset1:80
	s_wait_dscnt 0x0
	v_fma_f64 v[44:45], v[36:37], v[62:63], v[48:49]
	v_fma_f64 v[46:47], v[38:39], v[62:63], v[72:73]
	;; [unrolled: 1-line block ×4, first 2 shown]
	ds_load_2addr_b64 v[36:39], v59 offset0:96 offset1:112
	s_wait_dscnt 0x0
	v_fma_f64 v[48:49], v[36:37], v[64:65], v[44:45]
	v_fma_f64 v[70:71], v[38:39], v[64:65], v[46:47]
	;; [unrolled: 1-line block ×4, first 2 shown]
	ds_load_b128 v[36:39], v52 offset:224
	ds_load_2addr_b64 v[40:43], v59 offset0:128 offset1:144
	ds_load_b128 v[44:47], v52 offset:4320
	ds_load_b128 v[62:65], v52 offset:240
	;; [unrolled: 1-line block ×3, first 2 shown]
	s_wait_dscnt 0x3
	v_fma_f64 v[48:49], v[40:41], v[36:37], v[48:49]
	v_fma_f64 v[36:37], v[42:43], v[36:37], v[70:71]
	s_wait_dscnt 0x2
	v_fma_f64 v[70:71], v[40:41], v[44:45], v[72:73]
	v_fma_f64 v[44:45], v[42:43], v[44:45], v[74:75]
	ds_load_2addr_b64 v[40:43], v59 offset0:160 offset1:176
	s_wait_dscnt 0x0
	v_fma_f64 v[48:49], v[40:41], v[38:39], v[48:49]
	v_fma_f64 v[72:73], v[42:43], v[38:39], v[36:37]
	;; [unrolled: 1-line block ×4, first 2 shown]
	ds_load_2addr_b64 v[36:39], v59 offset0:192 offset1:208
	ds_load_2addr_b64 v[44:47], v59 offset0:224 offset1:240
	s_wait_loadcnt_dscnt 0x0
	s_barrier_signal -1
	s_barrier_wait -1
	global_inv scope:SCOPE_SE
	v_fma_f64 v[48:49], v[36:37], v[62:63], v[48:49]
	v_fma_f64 v[62:63], v[38:39], v[62:63], v[72:73]
	;; [unrolled: 1-line block ×4, first 2 shown]
	s_delay_alu instid0(VALU_DEP_4) | instskip(NEXT) | instid1(VALU_DEP_4)
	v_fma_f64 v[42:43], v[44:45], v[64:65], v[48:49]
	v_fma_f64 v[40:41], v[46:47], v[64:65], v[62:63]
	s_delay_alu instid0(VALU_DEP_4) | instskip(NEXT) | instid1(VALU_DEP_4)
	v_fma_f64 v[38:39], v[44:45], v[68:69], v[36:37]
	v_fma_f64 v[36:37], v[46:47], v[68:69], v[66:67]
	s_cbranch_scc1 .LBB39_47
.LBB39_10:                              ;   Parent Loop BB39_4 Depth=1
                                        ;     Parent Loop BB39_7 Depth=2
                                        ; =>    This Inner Loop Header: Depth=3
	s_wait_alu 0xfffe
	v_add_co_u32 v44, s5, v0, s46
	s_wait_alu 0xf1ff
	v_add_co_ci_u32_e64 v45, null, s47, v1, s5
	v_cmp_eq_u64_e64 s7, s[46:47], v[8:9]
                                        ; implicit-def: $vgpr48_vgpr49
	s_delay_alu instid0(VALU_DEP_2)
	v_cmp_le_i64_e64 s6, s[40:41], v[44:45]
	v_cmp_lt_i64_e64 s5, v[44:45], v[2:3]
	s_and_b32 s57, s53, s7
	v_add_co_u32 v46, s7, v32, v16
	s_wait_alu 0xf1ff
	v_add_co_ci_u32_e64 v47, null, v33, v17, s7
	s_or_b32 s8, s6, s5
	s_wait_alu 0xfffe
	s_or_b32 s7, s8, s57
	s_wait_alu 0xfffe
	s_nor_b32 s7, s0, s7
	s_wait_alu 0xfffe
	s_and_saveexec_b32 s8, s7
	s_wait_alu 0xfffe
	s_xor_b32 s7, exec_lo, s8
	s_cbranch_execz .LBB39_12
; %bb.11:                               ;   in Loop: Header=BB39_10 Depth=3
	global_load_b64 v[48:49], v[46:47], off
.LBB39_12:                              ;   in Loop: Header=BB39_10 Depth=3
	s_wait_alu 0xfffe
	s_and_not1_saveexec_b32 s7, s7
	s_cbranch_execz .LBB39_14
; %bb.13:                               ;   in Loop: Header=BB39_10 Depth=3
	v_cndmask_b32_e64 v21, 0, 0x3ff00000, s57
	s_wait_loadcnt 0x0
	s_delay_alu instid0(VALU_DEP_1)
	v_dual_mov_b32 v49, v21 :: v_dual_mov_b32 v48, v20
.LBB39_14:                              ;   in Loop: Header=BB39_10 Depth=3
	s_wait_alu 0xfffe
	s_or_b32 exec_lo, exec_lo, s7
	v_cmp_eq_u64_e64 s7, s[46:47], v[10:11]
	v_cmp_gt_i64_e64 s8, v[6:7], v[44:45]
	s_wait_loadcnt 0x0
	ds_store_b64 v53, v[48:49]
	s_and_b32 s7, s53, s7
	s_or_b32 s6, s6, s8
	s_wait_alu 0xfffe
	s_or_b32 s6, s6, s7
	s_wait_alu 0xfffe
	s_nor_b32 s6, s3, s6
	s_wait_alu 0xfffe
	s_and_saveexec_b32 s8, s6
	s_wait_alu 0xfffe
	s_xor_b32 s6, exec_lo, s8
	s_cbranch_execz .LBB39_16
; %bb.15:                               ;   in Loop: Header=BB39_10 Depth=3
	global_load_b64 v[46:47], v[46:47], off offset:128
	s_wait_loadcnt 0x0
	ds_store_b64 v53, v[46:47] offset:128
.LBB39_16:                              ;   in Loop: Header=BB39_10 Depth=3
	s_wait_alu 0xfffe
	s_and_not1_saveexec_b32 s6, s6
	s_cbranch_execz .LBB39_22
; %bb.17:                               ;   in Loop: Header=BB39_10 Depth=3
	s_xor_b32 s7, s7, -1
	s_wait_alu 0xfffe
	s_and_saveexec_b32 s8, s7
	s_wait_alu 0xfffe
	s_xor_b32 s7, exec_lo, s8
; %bb.18:                               ;   in Loop: Header=BB39_10 Depth=3
	v_mov_b32_e32 v21, v20
	ds_store_b64 v53, v[20:21] offset:128
; %bb.19:                               ;   in Loop: Header=BB39_10 Depth=3
	s_wait_alu 0xfffe
	s_and_not1_saveexec_b32 s7, s7
; %bb.20:                               ;   in Loop: Header=BB39_10 Depth=3
	v_mov_b32_e32 v21, v56
	ds_store_b64 v53, v[20:21] offset:128
; %bb.21:                               ;   in Loop: Header=BB39_10 Depth=3
	s_wait_alu 0xfffe
	s_or_b32 exec_lo, exec_lo, s7
.LBB39_22:                              ;   in Loop: Header=BB39_10 Depth=3
	s_wait_alu 0xfffe
	s_or_b32 exec_lo, exec_lo, s6
	v_add_co_u32 v44, s6, v44, 16
	s_wait_alu 0xf1ff
	v_add_co_ci_u32_e64 v45, null, 0, v45, s6
	v_cmp_eq_u64_e64 s7, s[46:47], v[14:15]
                                        ; implicit-def: $vgpr46_vgpr47
	s_delay_alu instid0(VALU_DEP_2)
	v_cmp_le_i64_e64 s6, s[40:41], v[44:45]
	v_cmp_lt_i64_e64 s8, v[44:45], v[2:3]
	s_and_b32 s58, s53, s7
	v_add_co_u32 v44, s7, v34, v16
	s_wait_alu 0xf1ff
	v_add_co_ci_u32_e64 v45, null, v35, v17, s7
	s_or_b32 s8, s6, s8
	s_wait_alu 0xfffe
	s_or_b32 s7, s8, s58
	s_wait_alu 0xfffe
	s_nor_b32 s7, s0, s7
	s_wait_alu 0xfffe
	s_and_saveexec_b32 s8, s7
	s_wait_alu 0xfffe
	s_xor_b32 s7, exec_lo, s8
	s_cbranch_execz .LBB39_24
; %bb.23:                               ;   in Loop: Header=BB39_10 Depth=3
	global_load_b64 v[46:47], v[44:45], off
.LBB39_24:                              ;   in Loop: Header=BB39_10 Depth=3
	s_wait_alu 0xfffe
	s_and_not1_saveexec_b32 s7, s7
	s_cbranch_execz .LBB39_26
; %bb.25:                               ;   in Loop: Header=BB39_10 Depth=3
	v_cndmask_b32_e64 v21, 0, 0x3ff00000, s58
	s_wait_loadcnt 0x0
	s_delay_alu instid0(VALU_DEP_1)
	v_dual_mov_b32 v47, v21 :: v_dual_mov_b32 v46, v20
.LBB39_26:                              ;   in Loop: Header=BB39_10 Depth=3
	s_wait_alu 0xfffe
	s_or_b32 exec_lo, exec_lo, s7
	s_or_b32 s5, s6, s5
	s_wait_loadcnt 0x0
	ds_store_b64 v53, v[46:47] offset:4096
	s_wait_alu 0xfffe
	s_or_b32 s5, s5, s57
	s_wait_alu 0xfffe
	s_nor_b32 s5, s3, s5
	s_wait_alu 0xfffe
	s_and_saveexec_b32 s6, s5
	s_wait_alu 0xfffe
	s_xor_b32 s5, exec_lo, s6
	s_cbranch_execz .LBB39_28
; %bb.27:                               ;   in Loop: Header=BB39_10 Depth=3
	global_load_b64 v[44:45], v[44:45], off offset:128
	s_wait_loadcnt 0x0
	ds_store_b64 v53, v[44:45] offset:4224
.LBB39_28:                              ;   in Loop: Header=BB39_10 Depth=3
	s_wait_alu 0xfffe
	s_and_not1_saveexec_b32 s5, s5
	s_cbranch_execz .LBB39_34
; %bb.29:                               ;   in Loop: Header=BB39_10 Depth=3
	s_xor_b32 s6, s57, -1
	s_wait_alu 0xfffe
	s_and_saveexec_b32 s7, s6
	s_wait_alu 0xfffe
	s_xor_b32 s6, exec_lo, s7
; %bb.30:                               ;   in Loop: Header=BB39_10 Depth=3
	v_mov_b32_e32 v21, v20
	ds_store_b64 v53, v[20:21] offset:4224
; %bb.31:                               ;   in Loop: Header=BB39_10 Depth=3
	s_wait_alu 0xfffe
	s_and_not1_saveexec_b32 s6, s6
; %bb.32:                               ;   in Loop: Header=BB39_10 Depth=3
	v_mov_b32_e32 v21, v56
	ds_store_b64 v53, v[20:21] offset:4224
; %bb.33:                               ;   in Loop: Header=BB39_10 Depth=3
	s_wait_alu 0xfffe
	s_or_b32 exec_lo, exec_lo, s6
.LBB39_34:                              ;   in Loop: Header=BB39_10 Depth=3
	s_wait_alu 0xfffe
	s_or_b32 exec_lo, exec_lo, s5
	v_add_co_u32 v46, s5, v2, s46
	s_wait_alu 0xf1ff
	v_add_co_ci_u32_e64 v47, null, s47, v3, s5
	v_add_co_u32 v44, s6, v28, v16
	v_mov_b32_e32 v48, 0
	s_delay_alu instid0(VALU_DEP_3)
	v_cmp_gt_i64_e64 s5, s[40:41], v[46:47]
	v_mov_b32_e32 v49, 0
	s_wait_alu 0xf1ff
	v_add_co_ci_u32_e64 v45, null, v29, v17, s6
	s_and_b32 s7, vcc_lo, s5
	s_wait_alu 0xfffe
	s_and_saveexec_b32 s6, s7
	s_cbranch_execz .LBB39_36
; %bb.35:                               ;   in Loop: Header=BB39_10 Depth=3
	global_load_b64 v[48:49], v[44:45], off offset:-128
.LBB39_36:                              ;   in Loop: Header=BB39_10 Depth=3
	s_wait_alu 0xfffe
	s_or_b32 exec_lo, exec_lo, s6
	v_cmp_gt_i64_e64 s6, s[22:23], v[46:47]
	s_wait_loadcnt 0x0
	ds_store_b64 v54, v[48:49]
	s_and_b32 s7, vcc_lo, s6
	s_wait_alu 0xfffe
	s_xor_b32 s7, s7, -1
	s_wait_alu 0xfffe
	s_and_saveexec_b32 s8, s7
	s_wait_alu 0xfffe
	s_xor_b32 s7, exec_lo, s8
; %bb.37:                               ;   in Loop: Header=BB39_10 Depth=3
	v_mov_b32_e32 v21, v20
                                        ; implicit-def: $vgpr44_vgpr45
	ds_store_b64 v54, v[20:21] offset:128
; %bb.38:                               ;   in Loop: Header=BB39_10 Depth=3
	s_wait_alu 0xfffe
	s_and_not1_saveexec_b32 s7, s7
	s_cbranch_execz .LBB39_40
; %bb.39:                               ;   in Loop: Header=BB39_10 Depth=3
	global_load_b64 v[44:45], v[44:45], off
	s_wait_loadcnt 0x0
	ds_store_b64 v54, v[44:45] offset:128
.LBB39_40:                              ;   in Loop: Header=BB39_10 Depth=3
	s_wait_alu 0xfffe
	s_or_b32 exec_lo, exec_lo, s7
	v_add_co_u32 v44, s7, v30, v16
	v_mov_b32_e32 v46, 0
	v_mov_b32_e32 v47, 0
	s_wait_alu 0xf1ff
	v_add_co_ci_u32_e64 v45, null, v31, v17, s7
	s_and_b32 s7, s4, s5
	s_wait_alu 0xfffe
	s_and_saveexec_b32 s5, s7
	s_cbranch_execz .LBB39_42
; %bb.41:                               ;   in Loop: Header=BB39_10 Depth=3
	global_load_b64 v[46:47], v[44:45], off offset:-128
.LBB39_42:                              ;   in Loop: Header=BB39_10 Depth=3
	s_wait_alu 0xfffe
	s_or_b32 exec_lo, exec_lo, s5
	s_and_b32 s5, s4, s6
	s_wait_loadcnt 0x0
	ds_store_b64 v54, v[46:47] offset:4096
	s_wait_alu 0xfffe
	s_xor_b32 s5, s5, -1
	s_wait_alu 0xfffe
	s_and_saveexec_b32 s6, s5
	s_wait_alu 0xfffe
	s_xor_b32 s5, exec_lo, s6
; %bb.43:                               ;   in Loop: Header=BB39_10 Depth=3
	v_mov_b32_e32 v21, v20
                                        ; implicit-def: $vgpr44_vgpr45
	ds_store_b64 v54, v[20:21] offset:4224
; %bb.44:                               ;   in Loop: Header=BB39_10 Depth=3
	s_wait_alu 0xfffe
	s_and_not1_saveexec_b32 s5, s5
	s_cbranch_execz .LBB39_9
; %bb.45:                               ;   in Loop: Header=BB39_10 Depth=3
	global_load_b64 v[44:45], v[44:45], off
	s_wait_loadcnt 0x0
	ds_store_b64 v54, v[44:45] offset:4224
	s_branch .LBB39_9
.LBB39_46:                              ;   in Loop: Header=BB39_7 Depth=2
	v_mov_b32_e32 v42, 0
	v_dual_mov_b32 v38, 0 :: v_dual_mov_b32 v43, 0
	v_dual_mov_b32 v40, 0 :: v_dual_mov_b32 v39, 0
	;; [unrolled: 1-line block ×3, first 2 shown]
	v_mov_b32_e32 v37, 0
.LBB39_47:                              ;   in Loop: Header=BB39_7 Depth=2
	v_mul_lo_u32 v21, s25, v60
	v_mul_lo_u32 v29, s24, v61
	v_mad_co_u64_u32 v[27:28], null, s24, v60, 0
	v_cmp_gt_i32_e32 vcc_lo, s30, v60
	s_delay_alu instid0(VALU_DEP_2) | instskip(NEXT) | instid1(VALU_DEP_1)
	v_add3_u32 v28, v28, v29, v21
	v_lshlrev_b64_e32 v[27:28], 3, v[27:28]
	s_delay_alu instid0(VALU_DEP_1) | instskip(SKIP_1) | instid1(VALU_DEP_2)
	v_add_co_u32 v21, s4, s44, v27
	s_wait_alu 0xf1ff
	v_add_co_ci_u32_e64 v27, null, s45, v28, s4
	s_and_b32 s4, s1, vcc_lo
	s_wait_alu 0xfffe
	s_and_saveexec_b32 s5, s4
	s_cbranch_execz .LBB39_49
; %bb.48:                               ;   in Loop: Header=BB39_7 Depth=2
	v_add_co_u32 v28, s4, v21, v16
	s_wait_alu 0xf1ff
	v_add_co_ci_u32_e64 v29, null, v27, v17, s4
	global_load_b64 v[30:31], v[28:29], off
	s_wait_loadcnt 0x0
	v_fma_f64 v[30:31], s[36:37], v[42:43], v[30:31]
	global_store_b64 v[28:29], v[30:31], off
.LBB39_49:                              ;   in Loop: Header=BB39_7 Depth=2
	s_wait_alu 0xfffe
	s_or_b32 exec_lo, exec_lo, s5
	s_and_b32 s5, s2, vcc_lo
	s_wait_alu 0xfffe
	s_and_saveexec_b32 s4, s5
	s_cbranch_execz .LBB39_51
; %bb.50:                               ;   in Loop: Header=BB39_7 Depth=2
	v_lshlrev_b64_e32 v[28:29], 3, v[4:5]
	s_delay_alu instid0(VALU_DEP_1) | instskip(SKIP_1) | instid1(VALU_DEP_2)
	v_add_co_u32 v28, vcc_lo, v21, v28
	s_wait_alu 0xfffd
	v_add_co_ci_u32_e64 v29, null, v27, v29, vcc_lo
	global_load_b64 v[30:31], v[28:29], off
	s_wait_loadcnt 0x0
	v_fma_f64 v[30:31], s[36:37], v[40:41], v[30:31]
	global_store_b64 v[28:29], v[30:31], off
.LBB39_51:                              ;   in Loop: Header=BB39_7 Depth=2
	s_wait_alu 0xfffe
	s_or_b32 exec_lo, exec_lo, s4
	v_add_nc_u32_e32 v21, 16, v60
	s_delay_alu instid0(VALU_DEP_1) | instskip(SKIP_3) | instid1(VALU_DEP_4)
	v_ashrrev_i32_e32 v29, 31, v21
	v_mul_lo_u32 v30, s25, v21
	v_mad_co_u64_u32 v[27:28], null, s24, v21, 0
	v_cmp_gt_i32_e32 vcc_lo, s30, v21
	v_mul_lo_u32 v29, s24, v29
	s_delay_alu instid0(VALU_DEP_1) | instskip(NEXT) | instid1(VALU_DEP_1)
	v_add3_u32 v28, v28, v29, v30
	v_lshlrev_b64_e32 v[27:28], 3, v[27:28]
	s_delay_alu instid0(VALU_DEP_1) | instskip(SKIP_1) | instid1(VALU_DEP_2)
	v_add_co_u32 v21, s4, s44, v27
	s_wait_alu 0xf1ff
	v_add_co_ci_u32_e64 v27, null, s45, v28, s4
	s_and_b32 s4, s1, vcc_lo
	s_wait_alu 0xfffe
	s_and_saveexec_b32 s5, s4
	s_cbranch_execz .LBB39_53
; %bb.52:                               ;   in Loop: Header=BB39_7 Depth=2
	v_add_co_u32 v28, s4, v21, v16
	s_wait_alu 0xf1ff
	v_add_co_ci_u32_e64 v29, null, v27, v17, s4
	global_load_b64 v[30:31], v[28:29], off
	s_wait_loadcnt 0x0
	v_fma_f64 v[30:31], s[36:37], v[38:39], v[30:31]
	global_store_b64 v[28:29], v[30:31], off
.LBB39_53:                              ;   in Loop: Header=BB39_7 Depth=2
	s_wait_alu 0xfffe
	s_or_b32 exec_lo, exec_lo, s5
	s_and_b32 s5, s2, vcc_lo
	s_wait_alu 0xfffe
	s_and_saveexec_b32 s4, s5
	s_cbranch_execz .LBB39_6
; %bb.54:                               ;   in Loop: Header=BB39_7 Depth=2
	v_lshlrev_b64_e32 v[28:29], 3, v[4:5]
	s_delay_alu instid0(VALU_DEP_1) | instskip(SKIP_1) | instid1(VALU_DEP_2)
	v_add_co_u32 v28, vcc_lo, v21, v28
	s_wait_alu 0xfffd
	v_add_co_ci_u32_e64 v29, null, v27, v29, vcc_lo
	global_load_b64 v[30:31], v[28:29], off
	s_wait_loadcnt 0x0
	v_fma_f64 v[30:31], s[36:37], v[36:37], v[30:31]
	global_store_b64 v[28:29], v[30:31], off
	s_branch .LBB39_6
.LBB39_55:
	s_endpgm
	.section	.rodata,"a",@progbits
	.p2align	6, 0x0
	.amdhsa_kernel _ZL30rocblas_trmm_outofplace_kernelIdLi32ELi2ELb1ELb1ELb0ELb0EdKddEv17rocblas_diagonal_iiT6_lPT7_lllS4_lllPT8_llli
		.amdhsa_group_segment_fixed_size 16384
		.amdhsa_private_segment_fixed_size 0
		.amdhsa_kernarg_size 392
		.amdhsa_user_sgpr_count 2
		.amdhsa_user_sgpr_dispatch_ptr 0
		.amdhsa_user_sgpr_queue_ptr 0
		.amdhsa_user_sgpr_kernarg_segment_ptr 1
		.amdhsa_user_sgpr_dispatch_id 0
		.amdhsa_user_sgpr_private_segment_size 0
		.amdhsa_wavefront_size32 1
		.amdhsa_uses_dynamic_stack 0
		.amdhsa_enable_private_segment 0
		.amdhsa_system_sgpr_workgroup_id_x 1
		.amdhsa_system_sgpr_workgroup_id_y 1
		.amdhsa_system_sgpr_workgroup_id_z 1
		.amdhsa_system_sgpr_workgroup_info 0
		.amdhsa_system_vgpr_workitem_id 1
		.amdhsa_next_free_vgpr 78
		.amdhsa_next_free_sgpr 59
		.amdhsa_reserve_vcc 1
		.amdhsa_float_round_mode_32 0
		.amdhsa_float_round_mode_16_64 0
		.amdhsa_float_denorm_mode_32 3
		.amdhsa_float_denorm_mode_16_64 3
		.amdhsa_fp16_overflow 0
		.amdhsa_workgroup_processor_mode 1
		.amdhsa_memory_ordered 1
		.amdhsa_forward_progress 1
		.amdhsa_inst_pref_size 35
		.amdhsa_round_robin_scheduling 0
		.amdhsa_exception_fp_ieee_invalid_op 0
		.amdhsa_exception_fp_denorm_src 0
		.amdhsa_exception_fp_ieee_div_zero 0
		.amdhsa_exception_fp_ieee_overflow 0
		.amdhsa_exception_fp_ieee_underflow 0
		.amdhsa_exception_fp_ieee_inexact 0
		.amdhsa_exception_int_div_zero 0
	.end_amdhsa_kernel
	.section	.text._ZL30rocblas_trmm_outofplace_kernelIdLi32ELi2ELb1ELb1ELb0ELb0EdKddEv17rocblas_diagonal_iiT6_lPT7_lllS4_lllPT8_llli,"axG",@progbits,_ZL30rocblas_trmm_outofplace_kernelIdLi32ELi2ELb1ELb1ELb0ELb0EdKddEv17rocblas_diagonal_iiT6_lPT7_lllS4_lllPT8_llli,comdat
.Lfunc_end39:
	.size	_ZL30rocblas_trmm_outofplace_kernelIdLi32ELi2ELb1ELb1ELb0ELb0EdKddEv17rocblas_diagonal_iiT6_lPT7_lllS4_lllPT8_llli, .Lfunc_end39-_ZL30rocblas_trmm_outofplace_kernelIdLi32ELi2ELb1ELb1ELb0ELb0EdKddEv17rocblas_diagonal_iiT6_lPT7_lllS4_lllPT8_llli
                                        ; -- End function
	.set _ZL30rocblas_trmm_outofplace_kernelIdLi32ELi2ELb1ELb1ELb0ELb0EdKddEv17rocblas_diagonal_iiT6_lPT7_lllS4_lllPT8_llli.num_vgpr, 78
	.set _ZL30rocblas_trmm_outofplace_kernelIdLi32ELi2ELb1ELb1ELb0ELb0EdKddEv17rocblas_diagonal_iiT6_lPT7_lllS4_lllPT8_llli.num_agpr, 0
	.set _ZL30rocblas_trmm_outofplace_kernelIdLi32ELi2ELb1ELb1ELb0ELb0EdKddEv17rocblas_diagonal_iiT6_lPT7_lllS4_lllPT8_llli.numbered_sgpr, 59
	.set _ZL30rocblas_trmm_outofplace_kernelIdLi32ELi2ELb1ELb1ELb0ELb0EdKddEv17rocblas_diagonal_iiT6_lPT7_lllS4_lllPT8_llli.num_named_barrier, 0
	.set _ZL30rocblas_trmm_outofplace_kernelIdLi32ELi2ELb1ELb1ELb0ELb0EdKddEv17rocblas_diagonal_iiT6_lPT7_lllS4_lllPT8_llli.private_seg_size, 0
	.set _ZL30rocblas_trmm_outofplace_kernelIdLi32ELi2ELb1ELb1ELb0ELb0EdKddEv17rocblas_diagonal_iiT6_lPT7_lllS4_lllPT8_llli.uses_vcc, 1
	.set _ZL30rocblas_trmm_outofplace_kernelIdLi32ELi2ELb1ELb1ELb0ELb0EdKddEv17rocblas_diagonal_iiT6_lPT7_lllS4_lllPT8_llli.uses_flat_scratch, 0
	.set _ZL30rocblas_trmm_outofplace_kernelIdLi32ELi2ELb1ELb1ELb0ELb0EdKddEv17rocblas_diagonal_iiT6_lPT7_lllS4_lllPT8_llli.has_dyn_sized_stack, 0
	.set _ZL30rocblas_trmm_outofplace_kernelIdLi32ELi2ELb1ELb1ELb0ELb0EdKddEv17rocblas_diagonal_iiT6_lPT7_lllS4_lllPT8_llli.has_recursion, 0
	.set _ZL30rocblas_trmm_outofplace_kernelIdLi32ELi2ELb1ELb1ELb0ELb0EdKddEv17rocblas_diagonal_iiT6_lPT7_lllS4_lllPT8_llli.has_indirect_call, 0
	.section	.AMDGPU.csdata,"",@progbits
; Kernel info:
; codeLenInByte = 4368
; TotalNumSgprs: 61
; NumVgprs: 78
; ScratchSize: 0
; MemoryBound: 0
; FloatMode: 240
; IeeeMode: 1
; LDSByteSize: 16384 bytes/workgroup (compile time only)
; SGPRBlocks: 0
; VGPRBlocks: 9
; NumSGPRsForWavesPerEU: 61
; NumVGPRsForWavesPerEU: 78
; Occupancy: 16
; WaveLimiterHint : 0
; COMPUTE_PGM_RSRC2:SCRATCH_EN: 0
; COMPUTE_PGM_RSRC2:USER_SGPR: 2
; COMPUTE_PGM_RSRC2:TRAP_HANDLER: 0
; COMPUTE_PGM_RSRC2:TGID_X_EN: 1
; COMPUTE_PGM_RSRC2:TGID_Y_EN: 1
; COMPUTE_PGM_RSRC2:TGID_Z_EN: 1
; COMPUTE_PGM_RSRC2:TIDIG_COMP_CNT: 1
	.section	.text._ZL30rocblas_trmm_outofplace_kernelIdLi32ELi2ELb1ELb0ELb1ELb0EPKdS0_dEv17rocblas_diagonal_iiT6_lPT7_lllS5_lllPT8_llli,"axG",@progbits,_ZL30rocblas_trmm_outofplace_kernelIdLi32ELi2ELb1ELb0ELb1ELb0EPKdS0_dEv17rocblas_diagonal_iiT6_lPT7_lllS5_lllPT8_llli,comdat
	.globl	_ZL30rocblas_trmm_outofplace_kernelIdLi32ELi2ELb1ELb0ELb1ELb0EPKdS0_dEv17rocblas_diagonal_iiT6_lPT7_lllS5_lllPT8_llli ; -- Begin function _ZL30rocblas_trmm_outofplace_kernelIdLi32ELi2ELb1ELb0ELb1ELb0EPKdS0_dEv17rocblas_diagonal_iiT6_lPT7_lllS5_lllPT8_llli
	.p2align	8
	.type	_ZL30rocblas_trmm_outofplace_kernelIdLi32ELi2ELb1ELb0ELb1ELb0EPKdS0_dEv17rocblas_diagonal_iiT6_lPT7_lllS5_lllPT8_llli,@function
_ZL30rocblas_trmm_outofplace_kernelIdLi32ELi2ELb1ELb0ELb1ELb0EPKdS0_dEv17rocblas_diagonal_iiT6_lPT7_lllS5_lllPT8_llli: ; @_ZL30rocblas_trmm_outofplace_kernelIdLi32ELi2ELb1ELb0ELb1ELb0EPKdS0_dEv17rocblas_diagonal_iiT6_lPT7_lllS5_lllPT8_llli
; %bb.0:
	s_load_b32 s11, s[0:1], 0x80
	s_lshr_b32 s34, ttmp7, 16
	s_wait_kmcnt 0x0
	s_cmp_ge_u32 s34, s11
	s_cbranch_scc1 .LBB40_56
; %bb.1:
	s_clause 0x3
	s_load_b96 s[8:10], s[0:1], 0x0
	s_load_b256 s[36:43], s[0:1], 0x50
	s_load_b512 s[12:27], s[0:1], 0x10
	s_load_b128 s[28:31], s[0:1], 0x70
	s_add_nc_u64 s[44:45], s[0:1], 0x88
	v_bfe_u32 v52, v0, 10, 10
	v_and_b32_e32 v1, 0x3ff, v0
	s_and_b32 s33, ttmp7, 0xffff
	v_mov_b32_e32 v58, 0x3ff00000
	s_mov_b32 s35, 0
	v_lshlrev_b32_e32 v0, 8, v52
	v_lshlrev_b32_e32 v53, 3, v1
	v_lshl_add_u32 v57, s33, 5, v52
	s_delay_alu instid0(VALU_DEP_3) | instskip(NEXT) | instid1(VALU_DEP_3)
	v_add_nc_u32_e32 v54, 0x2000, v0
	v_add_nc_u32_e32 v55, v53, v0
	;; [unrolled: 1-line block ×5, first 2 shown]
	s_wait_kmcnt 0x0
	s_add_co_i32 s2, s10, -1
	v_add_nc_u32_e32 v56, v54, v53
	s_ashr_i32 s3, s2, 31
	s_mov_b32 s50, s10
	s_lshr_b32 s0, s3, 27
	s_delay_alu instid0(SALU_CYCLE_1)
	s_add_co_i32 s2, s2, s0
	s_lshl_b64 s[0:1], s[42:43], 3
	s_ashr_i32 s48, s2, 5
	s_mov_b32 s42, s9
	s_cmp_le_i32 s33, s48
	s_add_nc_u64 s[40:41], s[40:41], s[0:1]
	s_cselect_b32 s49, -1, 0
	s_lshl_b32 s2, ttmp9, 5
	s_delay_alu instid0(SALU_CYCLE_1) | instskip(SKIP_2) | instid1(SALU_CYCLE_1)
	v_add_nc_u32_e32 v2, s2, v1
	v_add_nc_u32_e32 v0, s2, v52
	s_sub_co_i32 s51, s9, s2
	s_cmp_gt_i32 s51, 0
	s_delay_alu instid0(VALU_DEP_2) | instskip(NEXT) | instid1(VALU_DEP_2)
	v_ashrrev_i32_e32 v3, 31, v2
	v_ashrrev_i32_e32 v1, 31, v0
	v_add_co_u32 v6, vcc_lo, v2, 16
	v_mul_lo_u32 v21, s21, v2
	s_delay_alu instid0(VALU_DEP_4) | instskip(SKIP_4) | instid1(VALU_DEP_3)
	v_add_co_ci_u32_e64 v7, null, 0, v3, vcc_lo
	v_sub_co_u32 v8, vcc_lo, v2, v0
	v_lshlrev_b64_e32 v[10:11], 3, v[2:3]
	s_wait_alu 0xfffd
	v_sub_co_ci_u32_e64 v9, null, v3, v1, vcc_lo
	v_add_co_u32 v12, vcc_lo, v8, 16
	v_mul_lo_u32 v20, s20, v3
	v_mad_co_u64_u32 v[16:17], null, s20, v2, 0
	s_wait_alu 0xfffd
	v_add_co_ci_u32_e64 v13, null, 0, v9, vcc_lo
	v_add_co_u32 v18, vcc_lo, 0x80, v10
	s_wait_alu 0xfffd
	v_add_co_ci_u32_e64 v19, null, 0, v11, vcc_lo
	s_cselect_b32 s52, -1, 0
	s_cmp_eq_u32 s8, 0x84
	v_mul_lo_u32 v23, s21, v18
	s_cselect_b32 s53, -1, 0
	s_lshl_b64 s[6:7], s[18:19], 3
	s_lshl_b64 s[4:5], s[26:27], 3
	v_mul_lo_u32 v22, s20, v19
	v_mad_co_u64_u32 v[18:19], null, s20, v18, s[6:7]
	v_add3_u32 v17, v17, v20, v21
	v_add_co_u32 v14, vcc_lo, v8, -16
	s_add_nc_u64 s[4:5], s[24:25], s[4:5]
	s_wait_alu 0xfffd
	v_add_co_ci_u32_e64 v15, null, -1, v9, vcc_lo
	v_add_co_u32 v24, vcc_lo, s4, v10
	v_lshlrev_b64_e32 v[20:21], 3, v[16:17]
	s_wait_alu 0xfffd
	v_add_co_ci_u32_e64 v25, null, s5, v11, vcc_lo
	v_add3_u32 v19, v23, v19, v22
	v_lshlrev_b64_e32 v[22:23], 3, v[0:1]
	v_add_co_u32 v16, vcc_lo, 0x80, v24
	s_wait_alu 0xfffd
	v_add_co_ci_u32_e64 v17, null, 0, v25, vcc_lo
	v_add_co_u32 v20, vcc_lo, v20, s6
	s_wait_alu 0xfffd
	v_add_co_ci_u32_e64 v21, null, s7, v21, vcc_lo
	;; [unrolled: 3-line block ×3, first 2 shown]
	v_add_co_u32 v20, vcc_lo, v20, v22
	v_add_nc_u32_e32 v4, 16, v2
	s_wait_alu 0xfffd
	v_add_co_ci_u32_e64 v21, null, v21, v23, vcc_lo
	v_add_co_u32 v18, vcc_lo, s16, v18
	s_ashr_i32 s43, s9, 31
	s_wait_alu 0xfffd
	v_add_co_ci_u32_e64 v19, null, s17, v19, vcc_lo
	v_add_co_u32 v20, vcc_lo, s16, v20
	v_cmp_le_i64_e64 s3, s[42:43], v[6:7]
	v_cmp_le_i32_e64 s0, s9, v2
	v_cmp_gt_i32_e64 s1, s9, v2
	v_cmp_gt_i32_e64 s2, s9, v4
	v_ashrrev_i32_e32 v5, 31, v4
	s_wait_alu 0xfffd
	v_add_co_ci_u32_e64 v21, null, s17, v21, vcc_lo
	v_mov_b32_e32 v22, 0
	s_ashr_i32 s54, s10, 31
	s_add_nc_u64 s[46:47], s[42:43], -16
	s_lshl_b64 s[16:17], s[38:39], 3
	s_lshl_b64 s[18:19], s[36:37], 3
	;; [unrolled: 1-line block ×3, first 2 shown]
	s_branch .LBB40_4
.LBB40_2:                               ;   in Loop: Header=BB40_4 Depth=1
	s_add_co_i32 s34, s34, 0x10000
	s_wait_alu 0xfffe
	s_cmp_ge_u32 s34, s11
	s_cselect_b32 s4, -1, 0
.LBB40_3:                               ;   in Loop: Header=BB40_4 Depth=1
	s_wait_alu 0xfffe
	s_and_b32 vcc_lo, exec_lo, s4
	s_wait_alu 0xfffe
	s_cbranch_vccnz .LBB40_56
.LBB40_4:                               ; =>This Loop Header: Depth=1
                                        ;     Child Loop BB40_8 Depth 2
                                        ;       Child Loop BB40_11 Depth 3
	s_mul_u64 s[4:5], s[14:15], s[34:35]
	s_wait_alu 0xfffe
	s_lshl_b64 s[4:5], s[4:5], 3
	s_wait_alu 0xfffe
	s_add_nc_u64 s[4:5], s[12:13], s[4:5]
	global_load_b64 v[24:25], v22, s[4:5]
	s_mov_b32 s4, -1
	s_wait_loadcnt 0x0
	v_cmp_eq_f64_e32 vcc_lo, 0, v[24:25]
	s_cbranch_vccnz .LBB40_3
; %bb.5:                                ;   in Loop: Header=BB40_4 Depth=1
	s_and_not1_b32 vcc_lo, exec_lo, s49
	s_wait_alu 0xfffe
	s_cbranch_vccnz .LBB40_2
; %bb.6:                                ;   in Loop: Header=BB40_4 Depth=1
	v_mad_co_u64_u32 v[26:27], null, s16, s34, v[16:17]
	s_load_b32 s9, s[44:45], 0x4
	v_mad_co_u64_u32 v[28:29], null, s20, s34, v[18:19]
	v_mad_co_u64_u32 v[30:31], null, s20, s34, v[20:21]
	s_mul_i32 s6, s21, s34
	v_mov_b32_e32 v23, v27
	s_mul_u64 s[4:5], s[30:31], s[34:35]
	s_mov_b32 s39, s33
	s_wait_alu 0xfffe
	v_add_nc_u32_e32 v29, s6, v29
	s_lshl_b64 s[4:5], s[4:5], 3
	v_mad_co_u64_u32 v[32:33], null, s17, s34, v[23:24]
	v_add_nc_u32_e32 v31, s6, v31
	s_wait_alu 0xfffe
	s_add_nc_u64 s[22:23], s[40:41], s[4:5]
	s_delay_alu instid0(VALU_DEP_2)
	v_dual_mov_b32 v27, v32 :: v_dual_mov_b32 v32, v57
	s_wait_kmcnt 0x0
	s_lshl_b32 s38, s9, 5
	s_branch .LBB40_8
.LBB40_7:                               ;   in Loop: Header=BB40_8 Depth=2
	s_wait_alu 0xfffe
	s_or_b32 exec_lo, exec_lo, s4
	v_add_nc_u32_e32 v32, s38, v32
	s_add_co_i32 s39, s9, s39
	s_wait_alu 0xfffe
	s_cmp_gt_i32 s39, s48
	s_cbranch_scc1 .LBB40_2
.LBB40_8:                               ;   Parent Loop BB40_4 Depth=1
                                        ; =>  This Loop Header: Depth=2
                                        ;       Child Loop BB40_11 Depth 3
	v_lshl_add_u32 v62, s39, 5, v52
	s_and_not1_b32 vcc_lo, exec_lo, s52
	s_delay_alu instid0(VALU_DEP_1)
	v_ashrrev_i32_e32 v63, 31, v62
	s_wait_alu 0xfffe
	s_cbranch_vccnz .LBB40_47
; %bb.9:                                ;   in Loop: Header=BB40_8 Depth=2
	v_ashrrev_i32_e32 v33, 31, v32
	v_mad_co_u64_u32 v[34:35], null, s18, v32, v[26:27]
	v_mul_lo_u32 v23, s19, v32
	v_mov_b32_e32 v42, 0
	s_delay_alu instid0(VALU_DEP_4) | instskip(SKIP_4) | instid1(VALU_DEP_4)
	v_lshlrev_b64_e32 v[36:37], 3, v[32:33]
	v_mul_lo_u32 v33, s18, v33
	v_dual_mov_b32 v43, 0 :: v_dual_mov_b32 v44, 0
	v_mov_b32_e32 v45, 0
	s_mov_b64 s[24:25], 0
	v_add_co_u32 v36, vcc_lo, 0x80, v36
	s_wait_alu 0xfffd
	v_add_co_ci_u32_e64 v37, null, 0, v37, vcc_lo
	v_sub_co_u32 v38, vcc_lo, s50, v62
	s_delay_alu instid0(VALU_DEP_3) | instskip(NEXT) | instid1(VALU_DEP_3)
	v_mul_lo_u32 v47, s37, v36
	v_mul_lo_u32 v46, s36, v37
	v_mad_co_u64_u32 v[36:37], null, s36, v36, v[26:27]
	s_wait_alu 0xfffd
	v_sub_co_ci_u32_e64 v39, null, s54, v63, vcc_lo
	v_mov_b32_e32 v40, 0
	v_add3_u32 v35, v23, v35, v33
	v_mov_b32_e32 v41, 0
	s_delay_alu instid0(VALU_DEP_4)
	v_cmp_lt_i64_e32 vcc_lo, 0, v[38:39]
	v_cmp_lt_i64_e64 s4, 16, v[38:39]
	v_mov_b32_e32 v38, 0
	v_mov_b32_e32 v39, 0
	v_add3_u32 v37, v47, v37, v46
	s_mov_b64 s[26:27], 0
	s_branch .LBB40_11
.LBB40_10:                              ;   in Loop: Header=BB40_11 Depth=3
	s_wait_alu 0xfffe
	s_or_b32 exec_lo, exec_lo, s5
	s_wait_dscnt 0x0
	s_barrier_signal -1
	s_barrier_wait -1
	global_inv scope:SCOPE_SE
	ds_load_b128 v[46:49], v54
	ds_load_2addr_b64 v[64:67], v53 offset1:16
	ds_load_b128 v[68:71], v54 offset:4096
	ds_load_b128 v[72:75], v54 offset:16
	;; [unrolled: 1-line block ×3, first 2 shown]
	s_add_nc_u64 s[26:27], s[26:27], 32
	s_add_nc_u64 s[24:25], s[24:25], 0x100
	s_wait_alu 0xfffe
	s_cmp_ge_i32 s26, s51
	s_wait_dscnt 0x3
	v_fma_f64 v[44:45], v[64:65], v[46:47], v[44:45]
	v_fma_f64 v[42:43], v[66:67], v[46:47], v[42:43]
	s_wait_dscnt 0x2
	v_fma_f64 v[46:47], v[64:65], v[68:69], v[40:41]
	v_fma_f64 v[50:51], v[66:67], v[68:69], v[38:39]
	ds_load_2addr_b64 v[38:41], v53 offset0:32 offset1:48
	s_wait_dscnt 0x0
	v_fma_f64 v[44:45], v[38:39], v[48:49], v[44:45]
	v_fma_f64 v[42:43], v[40:41], v[48:49], v[42:43]
	v_fma_f64 v[46:47], v[38:39], v[70:71], v[46:47]
	v_fma_f64 v[48:49], v[40:41], v[70:71], v[50:51]
	ds_load_2addr_b64 v[38:41], v53 offset0:64 offset1:80
	s_wait_dscnt 0x0
	v_fma_f64 v[44:45], v[38:39], v[72:73], v[44:45]
	v_fma_f64 v[42:43], v[40:41], v[72:73], v[42:43]
	v_fma_f64 v[46:47], v[38:39], v[76:77], v[46:47]
	v_fma_f64 v[48:49], v[40:41], v[76:77], v[48:49]
	ds_load_2addr_b64 v[38:41], v53 offset0:96 offset1:112
	s_wait_dscnt 0x0
	v_fma_f64 v[50:51], v[38:39], v[74:75], v[44:45]
	v_fma_f64 v[72:73], v[40:41], v[74:75], v[42:43]
	v_fma_f64 v[74:75], v[38:39], v[78:79], v[46:47]
	v_fma_f64 v[76:77], v[40:41], v[78:79], v[48:49]
	ds_load_b128 v[38:41], v54 offset:32
	ds_load_2addr_b64 v[42:45], v53 offset0:128 offset1:144
	ds_load_b128 v[46:49], v54 offset:4128
	ds_load_b128 v[64:67], v54 offset:48
	ds_load_b128 v[68:71], v54 offset:4144
	s_wait_dscnt 0x3
	v_fma_f64 v[50:51], v[42:43], v[38:39], v[50:51]
	v_fma_f64 v[38:39], v[44:45], v[38:39], v[72:73]
	s_wait_dscnt 0x2
	v_fma_f64 v[72:73], v[42:43], v[46:47], v[74:75]
	v_fma_f64 v[46:47], v[44:45], v[46:47], v[76:77]
	ds_load_2addr_b64 v[42:45], v53 offset0:160 offset1:176
	s_wait_dscnt 0x0
	v_fma_f64 v[50:51], v[42:43], v[40:41], v[50:51]
	v_fma_f64 v[74:75], v[44:45], v[40:41], v[38:39]
	v_fma_f64 v[42:43], v[42:43], v[48:49], v[72:73]
	v_fma_f64 v[44:45], v[44:45], v[48:49], v[46:47]
	ds_load_2addr_b64 v[38:41], v53 offset0:192 offset1:208
	s_wait_dscnt 0x0
	v_fma_f64 v[46:47], v[38:39], v[64:65], v[50:51]
	v_fma_f64 v[48:49], v[40:41], v[64:65], v[74:75]
	v_fma_f64 v[42:43], v[38:39], v[68:69], v[42:43]
	v_fma_f64 v[44:45], v[40:41], v[68:69], v[44:45]
	ds_load_2addr_b64 v[38:41], v53 offset0:224 offset1:240
	s_wait_dscnt 0x0
	v_fma_f64 v[50:51], v[38:39], v[66:67], v[46:47]
	v_fma_f64 v[72:73], v[40:41], v[66:67], v[48:49]
	v_fma_f64 v[74:75], v[38:39], v[70:71], v[42:43]
	v_fma_f64 v[76:77], v[40:41], v[70:71], v[44:45]
	ds_load_b128 v[38:41], v54 offset:64
	ds_load_2addr_b64 v[42:45], v59 offset1:16
	ds_load_b128 v[46:49], v54 offset:4160
	ds_load_b128 v[64:67], v54 offset:80
	ds_load_b128 v[68:71], v54 offset:4176
	s_wait_dscnt 0x3
	v_fma_f64 v[50:51], v[42:43], v[38:39], v[50:51]
	v_fma_f64 v[38:39], v[44:45], v[38:39], v[72:73]
	s_wait_dscnt 0x2
	v_fma_f64 v[72:73], v[42:43], v[46:47], v[74:75]
	v_fma_f64 v[46:47], v[44:45], v[46:47], v[76:77]
	ds_load_2addr_b64 v[42:45], v59 offset0:32 offset1:48
	s_wait_dscnt 0x0
	v_fma_f64 v[50:51], v[42:43], v[40:41], v[50:51]
	v_fma_f64 v[74:75], v[44:45], v[40:41], v[38:39]
	v_fma_f64 v[42:43], v[42:43], v[48:49], v[72:73]
	v_fma_f64 v[44:45], v[44:45], v[48:49], v[46:47]
	ds_load_2addr_b64 v[38:41], v59 offset0:64 offset1:80
	s_wait_dscnt 0x0
	v_fma_f64 v[46:47], v[38:39], v[64:65], v[50:51]
	v_fma_f64 v[48:49], v[40:41], v[64:65], v[74:75]
	v_fma_f64 v[42:43], v[38:39], v[68:69], v[42:43]
	v_fma_f64 v[44:45], v[40:41], v[68:69], v[44:45]
	ds_load_2addr_b64 v[38:41], v59 offset0:96 offset1:112
	s_wait_dscnt 0x0
	v_fma_f64 v[50:51], v[38:39], v[66:67], v[46:47]
	v_fma_f64 v[72:73], v[40:41], v[66:67], v[48:49]
	v_fma_f64 v[74:75], v[38:39], v[70:71], v[42:43]
	v_fma_f64 v[76:77], v[40:41], v[70:71], v[44:45]
	ds_load_b128 v[38:41], v54 offset:96
	ds_load_2addr_b64 v[42:45], v59 offset0:128 offset1:144
	ds_load_b128 v[46:49], v54 offset:4192
	ds_load_b128 v[64:67], v54 offset:112
	ds_load_b128 v[68:71], v54 offset:4208
	s_wait_dscnt 0x3
	v_fma_f64 v[50:51], v[42:43], v[38:39], v[50:51]
	v_fma_f64 v[38:39], v[44:45], v[38:39], v[72:73]
	s_wait_dscnt 0x2
	v_fma_f64 v[72:73], v[42:43], v[46:47], v[74:75]
	v_fma_f64 v[46:47], v[44:45], v[46:47], v[76:77]
	ds_load_2addr_b64 v[42:45], v59 offset0:160 offset1:176
	s_wait_dscnt 0x0
	v_fma_f64 v[50:51], v[42:43], v[40:41], v[50:51]
	v_fma_f64 v[74:75], v[44:45], v[40:41], v[38:39]
	v_fma_f64 v[42:43], v[42:43], v[48:49], v[72:73]
	v_fma_f64 v[44:45], v[44:45], v[48:49], v[46:47]
	ds_load_2addr_b64 v[38:41], v59 offset0:192 offset1:208
	s_wait_dscnt 0x0
	v_fma_f64 v[46:47], v[38:39], v[64:65], v[50:51]
	v_fma_f64 v[48:49], v[40:41], v[64:65], v[74:75]
	v_fma_f64 v[42:43], v[38:39], v[68:69], v[42:43]
	v_fma_f64 v[44:45], v[40:41], v[68:69], v[44:45]
	ds_load_2addr_b64 v[38:41], v59 offset0:224 offset1:240
	s_wait_dscnt 0x0
	v_fma_f64 v[50:51], v[38:39], v[66:67], v[46:47]
	v_fma_f64 v[72:73], v[40:41], v[66:67], v[48:49]
	v_fma_f64 v[74:75], v[38:39], v[70:71], v[42:43]
	v_fma_f64 v[76:77], v[40:41], v[70:71], v[44:45]
	ds_load_b128 v[38:41], v54 offset:128
	ds_load_2addr_b64 v[42:45], v60 offset1:16
	ds_load_b128 v[46:49], v54 offset:4224
	ds_load_b128 v[64:67], v54 offset:144
	ds_load_b128 v[68:71], v54 offset:4240
	;; [unrolled: 58-line block ×3, first 2 shown]
	s_wait_dscnt 0x3
	v_fma_f64 v[50:51], v[42:43], v[38:39], v[50:51]
	v_fma_f64 v[38:39], v[44:45], v[38:39], v[72:73]
	s_wait_dscnt 0x2
	v_fma_f64 v[72:73], v[42:43], v[46:47], v[74:75]
	v_fma_f64 v[46:47], v[44:45], v[46:47], v[76:77]
	ds_load_2addr_b64 v[42:45], v61 offset0:32 offset1:48
	s_wait_dscnt 0x0
	v_fma_f64 v[50:51], v[42:43], v[40:41], v[50:51]
	v_fma_f64 v[74:75], v[44:45], v[40:41], v[38:39]
	v_fma_f64 v[42:43], v[42:43], v[48:49], v[72:73]
	v_fma_f64 v[44:45], v[44:45], v[48:49], v[46:47]
	ds_load_2addr_b64 v[38:41], v61 offset0:64 offset1:80
	s_wait_dscnt 0x0
	v_fma_f64 v[46:47], v[38:39], v[64:65], v[50:51]
	v_fma_f64 v[48:49], v[40:41], v[64:65], v[74:75]
	;; [unrolled: 6-line block ×3, first 2 shown]
	v_fma_f64 v[74:75], v[38:39], v[70:71], v[42:43]
	v_fma_f64 v[76:77], v[40:41], v[70:71], v[44:45]
	ds_load_b128 v[38:41], v54 offset:224
	ds_load_2addr_b64 v[42:45], v61 offset0:128 offset1:144
	ds_load_b128 v[46:49], v54 offset:4320
	ds_load_b128 v[64:67], v54 offset:240
	;; [unrolled: 1-line block ×3, first 2 shown]
	s_wait_dscnt 0x3
	v_fma_f64 v[50:51], v[42:43], v[38:39], v[50:51]
	v_fma_f64 v[38:39], v[44:45], v[38:39], v[72:73]
	s_wait_dscnt 0x2
	v_fma_f64 v[72:73], v[42:43], v[46:47], v[74:75]
	v_fma_f64 v[46:47], v[44:45], v[46:47], v[76:77]
	ds_load_2addr_b64 v[42:45], v61 offset0:160 offset1:176
	s_wait_dscnt 0x0
	v_fma_f64 v[50:51], v[42:43], v[40:41], v[50:51]
	v_fma_f64 v[74:75], v[44:45], v[40:41], v[38:39]
	;; [unrolled: 1-line block ×4, first 2 shown]
	ds_load_2addr_b64 v[38:41], v61 offset0:192 offset1:208
	ds_load_2addr_b64 v[46:49], v61 offset0:224 offset1:240
	s_wait_loadcnt_dscnt 0x0
	s_barrier_signal -1
	s_barrier_wait -1
	global_inv scope:SCOPE_SE
	v_fma_f64 v[50:51], v[38:39], v[64:65], v[50:51]
	v_fma_f64 v[64:65], v[40:41], v[64:65], v[74:75]
	;; [unrolled: 1-line block ×4, first 2 shown]
	s_delay_alu instid0(VALU_DEP_4) | instskip(NEXT) | instid1(VALU_DEP_4)
	v_fma_f64 v[44:45], v[46:47], v[66:67], v[50:51]
	v_fma_f64 v[42:43], v[48:49], v[66:67], v[64:65]
	s_delay_alu instid0(VALU_DEP_4) | instskip(NEXT) | instid1(VALU_DEP_4)
	v_fma_f64 v[40:41], v[46:47], v[70:71], v[38:39]
	v_fma_f64 v[38:39], v[48:49], v[70:71], v[68:69]
	s_cbranch_scc1 .LBB40_48
.LBB40_11:                              ;   Parent Loop BB40_4 Depth=1
                                        ;     Parent Loop BB40_8 Depth=2
                                        ; =>    This Inner Loop Header: Depth=3
	s_wait_alu 0xfffe
	v_add_co_u32 v48, s5, v0, s26
	s_wait_alu 0xf1ff
	v_add_co_ci_u32_e64 v49, null, s27, v1, s5
	v_cmp_eq_u64_e64 s7, s[26:27], v[8:9]
                                        ; implicit-def: $vgpr50_vgpr51
	s_delay_alu instid0(VALU_DEP_2)
	v_cmp_le_i64_e64 s6, s[42:43], v[48:49]
	v_cmp_lt_i64_e64 s5, v[48:49], v[2:3]
	s_and_b32 s55, s53, s7
	v_add_co_u32 v46, s7, v30, s24
	s_wait_alu 0xf1ff
	v_add_co_ci_u32_e64 v47, null, s25, v31, s7
	s_or_b32 s8, s6, s5
	s_wait_alu 0xfffe
	s_or_b32 s7, s8, s55
	s_wait_alu 0xfffe
	s_nor_b32 s7, s0, s7
	s_wait_alu 0xfffe
	s_and_saveexec_b32 s8, s7
	s_wait_alu 0xfffe
	s_xor_b32 s7, exec_lo, s8
	s_cbranch_execz .LBB40_13
; %bb.12:                               ;   in Loop: Header=BB40_11 Depth=3
	global_load_b64 v[50:51], v[46:47], off
.LBB40_13:                              ;   in Loop: Header=BB40_11 Depth=3
	s_wait_alu 0xfffe
	s_and_not1_saveexec_b32 s7, s7
	s_cbranch_execz .LBB40_15
; %bb.14:                               ;   in Loop: Header=BB40_11 Depth=3
	v_cndmask_b32_e64 v23, 0, 0x3ff00000, s55
	s_wait_loadcnt 0x0
	s_delay_alu instid0(VALU_DEP_1)
	v_dual_mov_b32 v51, v23 :: v_dual_mov_b32 v50, v22
.LBB40_15:                              ;   in Loop: Header=BB40_11 Depth=3
	s_wait_alu 0xfffe
	s_or_b32 exec_lo, exec_lo, s7
	v_cmp_eq_u64_e64 s7, s[26:27], v[12:13]
	v_cmp_gt_i64_e64 s8, v[6:7], v[48:49]
	s_wait_loadcnt 0x0
	ds_store_b64 v55, v[50:51]
	s_and_b32 s7, s53, s7
	s_or_b32 s6, s6, s8
	s_wait_alu 0xfffe
	s_or_b32 s6, s6, s7
	s_wait_alu 0xfffe
	s_nor_b32 s6, s3, s6
	s_wait_alu 0xfffe
	s_and_saveexec_b32 s8, s6
	s_wait_alu 0xfffe
	s_xor_b32 s8, exec_lo, s8
	s_cbranch_execz .LBB40_17
; %bb.16:                               ;   in Loop: Header=BB40_11 Depth=3
	v_add_co_u32 v50, s6, v28, s24
	s_wait_alu 0xf1ff
	v_add_co_ci_u32_e64 v51, null, s25, v29, s6
	global_load_b64 v[50:51], v[50:51], off
	s_wait_loadcnt 0x0
	ds_store_b64 v55, v[50:51] offset:128
.LBB40_17:                              ;   in Loop: Header=BB40_11 Depth=3
	s_wait_alu 0xfffe
	s_and_not1_saveexec_b32 s6, s8
	s_cbranch_execz .LBB40_23
; %bb.18:                               ;   in Loop: Header=BB40_11 Depth=3
	s_xor_b32 s7, s7, -1
	s_wait_alu 0xfffe
	s_and_saveexec_b32 s8, s7
	s_wait_alu 0xfffe
	s_xor_b32 s7, exec_lo, s8
; %bb.19:                               ;   in Loop: Header=BB40_11 Depth=3
	v_mov_b32_e32 v23, v22
	ds_store_b64 v55, v[22:23] offset:128
; %bb.20:                               ;   in Loop: Header=BB40_11 Depth=3
	s_wait_alu 0xfffe
	s_and_not1_saveexec_b32 s7, s7
; %bb.21:                               ;   in Loop: Header=BB40_11 Depth=3
	v_mov_b32_e32 v23, v58
	ds_store_b64 v55, v[22:23] offset:128
; %bb.22:                               ;   in Loop: Header=BB40_11 Depth=3
	s_wait_alu 0xfffe
	s_or_b32 exec_lo, exec_lo, s7
.LBB40_23:                              ;   in Loop: Header=BB40_11 Depth=3
	s_wait_alu 0xfffe
	s_or_b32 exec_lo, exec_lo, s6
	v_add_co_u32 v48, s6, v48, 16
	s_wait_alu 0xf1ff
	v_add_co_ci_u32_e64 v49, null, 0, v49, s6
	v_cmp_eq_u64_e64 s7, s[26:27], v[14:15]
	s_delay_alu instid0(VALU_DEP_2)
	v_cmp_le_i64_e64 s6, s[42:43], v[48:49]
	v_cmp_lt_i64_e64 s8, v[48:49], v[2:3]
                                        ; implicit-def: $vgpr48_vgpr49
	s_and_b32 s7, s53, s7
	s_or_b32 s8, s6, s8
	s_wait_alu 0xfffe
	s_or_b32 s8, s8, s7
	s_wait_alu 0xfffe
	s_nor_b32 s8, s0, s8
	s_wait_alu 0xfffe
	s_and_saveexec_b32 s56, s8
	s_delay_alu instid0(SALU_CYCLE_1)
	s_xor_b32 s8, exec_lo, s56
	s_cbranch_execz .LBB40_25
; %bb.24:                               ;   in Loop: Header=BB40_11 Depth=3
	global_load_b64 v[48:49], v[46:47], off offset:128
.LBB40_25:                              ;   in Loop: Header=BB40_11 Depth=3
	s_wait_alu 0xfffe
	s_and_not1_saveexec_b32 s8, s8
	s_cbranch_execz .LBB40_27
; %bb.26:                               ;   in Loop: Header=BB40_11 Depth=3
	v_cndmask_b32_e64 v23, 0, 0x3ff00000, s7
	s_wait_loadcnt 0x0
	s_delay_alu instid0(VALU_DEP_1)
	v_dual_mov_b32 v49, v23 :: v_dual_mov_b32 v48, v22
.LBB40_27:                              ;   in Loop: Header=BB40_11 Depth=3
	s_wait_alu 0xfffe
	s_or_b32 exec_lo, exec_lo, s8
	s_or_b32 s5, s6, s5
	s_wait_loadcnt 0x0
	ds_store_b64 v55, v[48:49] offset:4096
	s_wait_alu 0xfffe
	s_or_b32 s5, s5, s55
	s_wait_alu 0xfffe
	s_nor_b32 s5, s3, s5
	s_wait_alu 0xfffe
	s_and_saveexec_b32 s6, s5
	s_wait_alu 0xfffe
	s_xor_b32 s6, exec_lo, s6
	s_cbranch_execz .LBB40_29
; %bb.28:                               ;   in Loop: Header=BB40_11 Depth=3
	v_add_co_u32 v46, s5, v28, s24
	s_wait_alu 0xf1ff
	v_add_co_ci_u32_e64 v47, null, s25, v29, s5
	global_load_b64 v[46:47], v[46:47], off offset:128
	s_wait_loadcnt 0x0
	ds_store_b64 v55, v[46:47] offset:4224
.LBB40_29:                              ;   in Loop: Header=BB40_11 Depth=3
	s_wait_alu 0xfffe
	s_and_not1_saveexec_b32 s5, s6
	s_cbranch_execz .LBB40_35
; %bb.30:                               ;   in Loop: Header=BB40_11 Depth=3
	s_xor_b32 s6, s55, -1
	s_wait_alu 0xfffe
	s_and_saveexec_b32 s7, s6
	s_wait_alu 0xfffe
	s_xor_b32 s6, exec_lo, s7
; %bb.31:                               ;   in Loop: Header=BB40_11 Depth=3
	v_mov_b32_e32 v23, v22
	ds_store_b64 v55, v[22:23] offset:4224
; %bb.32:                               ;   in Loop: Header=BB40_11 Depth=3
	s_wait_alu 0xfffe
	s_and_not1_saveexec_b32 s6, s6
; %bb.33:                               ;   in Loop: Header=BB40_11 Depth=3
	v_mov_b32_e32 v23, v58
	ds_store_b64 v55, v[22:23] offset:4224
; %bb.34:                               ;   in Loop: Header=BB40_11 Depth=3
	s_wait_alu 0xfffe
	s_or_b32 exec_lo, exec_lo, s6
.LBB40_35:                              ;   in Loop: Header=BB40_11 Depth=3
	s_wait_alu 0xfffe
	s_or_b32 exec_lo, exec_lo, s5
	v_add_co_u32 v48, s5, v2, s26
	s_wait_alu 0xf1ff
	v_add_co_ci_u32_e64 v49, null, s27, v3, s5
	v_add_co_u32 v46, s6, v34, s24
	v_mov_b32_e32 v50, 0
	s_delay_alu instid0(VALU_DEP_3)
	v_cmp_gt_i64_e64 s5, s[42:43], v[48:49]
	v_mov_b32_e32 v51, 0
	s_wait_alu 0xf1ff
	v_add_co_ci_u32_e64 v47, null, s25, v35, s6
	s_and_b32 s7, vcc_lo, s5
	s_wait_alu 0xfffe
	s_and_saveexec_b32 s6, s7
	s_cbranch_execz .LBB40_37
; %bb.36:                               ;   in Loop: Header=BB40_11 Depth=3
	global_load_b64 v[50:51], v[46:47], off offset:-128
.LBB40_37:                              ;   in Loop: Header=BB40_11 Depth=3
	s_wait_alu 0xfffe
	s_or_b32 exec_lo, exec_lo, s6
	v_cmp_gt_i64_e64 s6, s[46:47], v[48:49]
	s_wait_loadcnt 0x0
	ds_store_b64 v56, v[50:51]
	s_and_b32 s7, vcc_lo, s6
	s_wait_alu 0xfffe
	s_xor_b32 s7, s7, -1
	s_wait_alu 0xfffe
	s_and_saveexec_b32 s8, s7
	s_wait_alu 0xfffe
	s_xor_b32 s7, exec_lo, s8
; %bb.38:                               ;   in Loop: Header=BB40_11 Depth=3
	v_mov_b32_e32 v23, v22
                                        ; implicit-def: $vgpr46_vgpr47
	ds_store_b64 v56, v[22:23] offset:128
; %bb.39:                               ;   in Loop: Header=BB40_11 Depth=3
	s_wait_alu 0xfffe
	s_and_not1_saveexec_b32 s7, s7
	s_cbranch_execz .LBB40_41
; %bb.40:                               ;   in Loop: Header=BB40_11 Depth=3
	global_load_b64 v[46:47], v[46:47], off
	s_wait_loadcnt 0x0
	ds_store_b64 v56, v[46:47] offset:128
.LBB40_41:                              ;   in Loop: Header=BB40_11 Depth=3
	s_wait_alu 0xfffe
	s_or_b32 exec_lo, exec_lo, s7
	v_add_co_u32 v46, s7, v36, s24
	v_mov_b32_e32 v48, 0
	v_mov_b32_e32 v49, 0
	s_wait_alu 0xf1ff
	v_add_co_ci_u32_e64 v47, null, s25, v37, s7
	s_and_b32 s7, s4, s5
	s_wait_alu 0xfffe
	s_and_saveexec_b32 s5, s7
	s_cbranch_execz .LBB40_43
; %bb.42:                               ;   in Loop: Header=BB40_11 Depth=3
	global_load_b64 v[48:49], v[46:47], off offset:-128
.LBB40_43:                              ;   in Loop: Header=BB40_11 Depth=3
	s_wait_alu 0xfffe
	s_or_b32 exec_lo, exec_lo, s5
	s_and_b32 s5, s4, s6
	s_wait_loadcnt 0x0
	ds_store_b64 v56, v[48:49] offset:4096
	s_wait_alu 0xfffe
	s_xor_b32 s5, s5, -1
	s_wait_alu 0xfffe
	s_and_saveexec_b32 s6, s5
	s_wait_alu 0xfffe
	s_xor_b32 s5, exec_lo, s6
; %bb.44:                               ;   in Loop: Header=BB40_11 Depth=3
	v_mov_b32_e32 v23, v22
                                        ; implicit-def: $vgpr46_vgpr47
	ds_store_b64 v56, v[22:23] offset:4224
; %bb.45:                               ;   in Loop: Header=BB40_11 Depth=3
	s_wait_alu 0xfffe
	s_and_not1_saveexec_b32 s5, s5
	s_cbranch_execz .LBB40_10
; %bb.46:                               ;   in Loop: Header=BB40_11 Depth=3
	global_load_b64 v[46:47], v[46:47], off
	s_wait_loadcnt 0x0
	ds_store_b64 v56, v[46:47] offset:4224
	s_branch .LBB40_10
.LBB40_47:                              ;   in Loop: Header=BB40_8 Depth=2
	v_mov_b32_e32 v44, 0
	v_dual_mov_b32 v40, 0 :: v_dual_mov_b32 v45, 0
	v_dual_mov_b32 v42, 0 :: v_dual_mov_b32 v41, 0
	;; [unrolled: 1-line block ×3, first 2 shown]
	v_mov_b32_e32 v39, 0
.LBB40_48:                              ;   in Loop: Header=BB40_8 Depth=2
	v_mul_lo_u32 v23, s29, v62
	v_mul_lo_u32 v35, s28, v63
	v_mad_co_u64_u32 v[33:34], null, s28, v62, 0
	v_cmp_gt_i32_e32 vcc_lo, s10, v62
	s_delay_alu instid0(VALU_DEP_2) | instskip(NEXT) | instid1(VALU_DEP_1)
	v_add3_u32 v34, v34, v35, v23
	v_lshlrev_b64_e32 v[33:34], 3, v[33:34]
	s_delay_alu instid0(VALU_DEP_1) | instskip(SKIP_1) | instid1(VALU_DEP_2)
	v_add_co_u32 v23, s4, s22, v33
	s_wait_alu 0xf1ff
	v_add_co_ci_u32_e64 v33, null, s23, v34, s4
	s_and_b32 s4, s1, vcc_lo
	s_wait_alu 0xfffe
	s_and_saveexec_b32 s5, s4
	s_cbranch_execz .LBB40_50
; %bb.49:                               ;   in Loop: Header=BB40_8 Depth=2
	v_add_co_u32 v34, s4, v23, v10
	s_wait_alu 0xf1ff
	v_add_co_ci_u32_e64 v35, null, v33, v11, s4
	global_load_b64 v[36:37], v[34:35], off
	s_wait_loadcnt 0x0
	v_fma_f64 v[36:37], v[24:25], v[44:45], v[36:37]
	global_store_b64 v[34:35], v[36:37], off
.LBB40_50:                              ;   in Loop: Header=BB40_8 Depth=2
	s_wait_alu 0xfffe
	s_or_b32 exec_lo, exec_lo, s5
	s_and_b32 s5, s2, vcc_lo
	s_wait_alu 0xfffe
	s_and_saveexec_b32 s4, s5
	s_cbranch_execz .LBB40_52
; %bb.51:                               ;   in Loop: Header=BB40_8 Depth=2
	v_lshlrev_b64_e32 v[34:35], 3, v[4:5]
	s_delay_alu instid0(VALU_DEP_1) | instskip(SKIP_1) | instid1(VALU_DEP_2)
	v_add_co_u32 v34, vcc_lo, v23, v34
	s_wait_alu 0xfffd
	v_add_co_ci_u32_e64 v35, null, v33, v35, vcc_lo
	global_load_b64 v[36:37], v[34:35], off
	s_wait_loadcnt 0x0
	v_fma_f64 v[36:37], v[24:25], v[42:43], v[36:37]
	global_store_b64 v[34:35], v[36:37], off
.LBB40_52:                              ;   in Loop: Header=BB40_8 Depth=2
	s_wait_alu 0xfffe
	s_or_b32 exec_lo, exec_lo, s4
	v_add_nc_u32_e32 v23, 16, v62
	s_delay_alu instid0(VALU_DEP_1) | instskip(SKIP_3) | instid1(VALU_DEP_4)
	v_ashrrev_i32_e32 v35, 31, v23
	v_mul_lo_u32 v36, s29, v23
	v_mad_co_u64_u32 v[33:34], null, s28, v23, 0
	v_cmp_gt_i32_e32 vcc_lo, s10, v23
	v_mul_lo_u32 v35, s28, v35
	s_delay_alu instid0(VALU_DEP_1) | instskip(NEXT) | instid1(VALU_DEP_1)
	v_add3_u32 v34, v34, v35, v36
	v_lshlrev_b64_e32 v[33:34], 3, v[33:34]
	s_delay_alu instid0(VALU_DEP_1) | instskip(SKIP_1) | instid1(VALU_DEP_2)
	v_add_co_u32 v23, s4, s22, v33
	s_wait_alu 0xf1ff
	v_add_co_ci_u32_e64 v33, null, s23, v34, s4
	s_and_b32 s4, s1, vcc_lo
	s_wait_alu 0xfffe
	s_and_saveexec_b32 s5, s4
	s_cbranch_execz .LBB40_54
; %bb.53:                               ;   in Loop: Header=BB40_8 Depth=2
	v_add_co_u32 v34, s4, v23, v10
	s_wait_alu 0xf1ff
	v_add_co_ci_u32_e64 v35, null, v33, v11, s4
	global_load_b64 v[36:37], v[34:35], off
	s_wait_loadcnt 0x0
	v_fma_f64 v[36:37], v[24:25], v[40:41], v[36:37]
	global_store_b64 v[34:35], v[36:37], off
.LBB40_54:                              ;   in Loop: Header=BB40_8 Depth=2
	s_wait_alu 0xfffe
	s_or_b32 exec_lo, exec_lo, s5
	s_and_b32 s5, s2, vcc_lo
	s_wait_alu 0xfffe
	s_and_saveexec_b32 s4, s5
	s_cbranch_execz .LBB40_7
; %bb.55:                               ;   in Loop: Header=BB40_8 Depth=2
	v_lshlrev_b64_e32 v[34:35], 3, v[4:5]
	s_delay_alu instid0(VALU_DEP_1) | instskip(SKIP_1) | instid1(VALU_DEP_2)
	v_add_co_u32 v34, vcc_lo, v23, v34
	s_wait_alu 0xfffd
	v_add_co_ci_u32_e64 v35, null, v33, v35, vcc_lo
	global_load_b64 v[36:37], v[34:35], off
	s_wait_loadcnt 0x0
	v_fma_f64 v[36:37], v[24:25], v[38:39], v[36:37]
	global_store_b64 v[34:35], v[36:37], off
	s_branch .LBB40_7
.LBB40_56:
	s_endpgm
	.section	.rodata,"a",@progbits
	.p2align	6, 0x0
	.amdhsa_kernel _ZL30rocblas_trmm_outofplace_kernelIdLi32ELi2ELb1ELb0ELb1ELb0EPKdS0_dEv17rocblas_diagonal_iiT6_lPT7_lllS5_lllPT8_llli
		.amdhsa_group_segment_fixed_size 16384
		.amdhsa_private_segment_fixed_size 0
		.amdhsa_kernarg_size 392
		.amdhsa_user_sgpr_count 2
		.amdhsa_user_sgpr_dispatch_ptr 0
		.amdhsa_user_sgpr_queue_ptr 0
		.amdhsa_user_sgpr_kernarg_segment_ptr 1
		.amdhsa_user_sgpr_dispatch_id 0
		.amdhsa_user_sgpr_private_segment_size 0
		.amdhsa_wavefront_size32 1
		.amdhsa_uses_dynamic_stack 0
		.amdhsa_enable_private_segment 0
		.amdhsa_system_sgpr_workgroup_id_x 1
		.amdhsa_system_sgpr_workgroup_id_y 1
		.amdhsa_system_sgpr_workgroup_id_z 1
		.amdhsa_system_sgpr_workgroup_info 0
		.amdhsa_system_vgpr_workitem_id 1
		.amdhsa_next_free_vgpr 80
		.amdhsa_next_free_sgpr 57
		.amdhsa_reserve_vcc 1
		.amdhsa_float_round_mode_32 0
		.amdhsa_float_round_mode_16_64 0
		.amdhsa_float_denorm_mode_32 3
		.amdhsa_float_denorm_mode_16_64 3
		.amdhsa_fp16_overflow 0
		.amdhsa_workgroup_processor_mode 1
		.amdhsa_memory_ordered 1
		.amdhsa_forward_progress 1
		.amdhsa_inst_pref_size 35
		.amdhsa_round_robin_scheduling 0
		.amdhsa_exception_fp_ieee_invalid_op 0
		.amdhsa_exception_fp_denorm_src 0
		.amdhsa_exception_fp_ieee_div_zero 0
		.amdhsa_exception_fp_ieee_overflow 0
		.amdhsa_exception_fp_ieee_underflow 0
		.amdhsa_exception_fp_ieee_inexact 0
		.amdhsa_exception_int_div_zero 0
	.end_amdhsa_kernel
	.section	.text._ZL30rocblas_trmm_outofplace_kernelIdLi32ELi2ELb1ELb0ELb1ELb0EPKdS0_dEv17rocblas_diagonal_iiT6_lPT7_lllS5_lllPT8_llli,"axG",@progbits,_ZL30rocblas_trmm_outofplace_kernelIdLi32ELi2ELb1ELb0ELb1ELb0EPKdS0_dEv17rocblas_diagonal_iiT6_lPT7_lllS5_lllPT8_llli,comdat
.Lfunc_end40:
	.size	_ZL30rocblas_trmm_outofplace_kernelIdLi32ELi2ELb1ELb0ELb1ELb0EPKdS0_dEv17rocblas_diagonal_iiT6_lPT7_lllS5_lllPT8_llli, .Lfunc_end40-_ZL30rocblas_trmm_outofplace_kernelIdLi32ELi2ELb1ELb0ELb1ELb0EPKdS0_dEv17rocblas_diagonal_iiT6_lPT7_lllS5_lllPT8_llli
                                        ; -- End function
	.set _ZL30rocblas_trmm_outofplace_kernelIdLi32ELi2ELb1ELb0ELb1ELb0EPKdS0_dEv17rocblas_diagonal_iiT6_lPT7_lllS5_lllPT8_llli.num_vgpr, 80
	.set _ZL30rocblas_trmm_outofplace_kernelIdLi32ELi2ELb1ELb0ELb1ELb0EPKdS0_dEv17rocblas_diagonal_iiT6_lPT7_lllS5_lllPT8_llli.num_agpr, 0
	.set _ZL30rocblas_trmm_outofplace_kernelIdLi32ELi2ELb1ELb0ELb1ELb0EPKdS0_dEv17rocblas_diagonal_iiT6_lPT7_lllS5_lllPT8_llli.numbered_sgpr, 57
	.set _ZL30rocblas_trmm_outofplace_kernelIdLi32ELi2ELb1ELb0ELb1ELb0EPKdS0_dEv17rocblas_diagonal_iiT6_lPT7_lllS5_lllPT8_llli.num_named_barrier, 0
	.set _ZL30rocblas_trmm_outofplace_kernelIdLi32ELi2ELb1ELb0ELb1ELb0EPKdS0_dEv17rocblas_diagonal_iiT6_lPT7_lllS5_lllPT8_llli.private_seg_size, 0
	.set _ZL30rocblas_trmm_outofplace_kernelIdLi32ELi2ELb1ELb0ELb1ELb0EPKdS0_dEv17rocblas_diagonal_iiT6_lPT7_lllS5_lllPT8_llli.uses_vcc, 1
	.set _ZL30rocblas_trmm_outofplace_kernelIdLi32ELi2ELb1ELb0ELb1ELb0EPKdS0_dEv17rocblas_diagonal_iiT6_lPT7_lllS5_lllPT8_llli.uses_flat_scratch, 0
	.set _ZL30rocblas_trmm_outofplace_kernelIdLi32ELi2ELb1ELb0ELb1ELb0EPKdS0_dEv17rocblas_diagonal_iiT6_lPT7_lllS5_lllPT8_llli.has_dyn_sized_stack, 0
	.set _ZL30rocblas_trmm_outofplace_kernelIdLi32ELi2ELb1ELb0ELb1ELb0EPKdS0_dEv17rocblas_diagonal_iiT6_lPT7_lllS5_lllPT8_llli.has_recursion, 0
	.set _ZL30rocblas_trmm_outofplace_kernelIdLi32ELi2ELb1ELb0ELb1ELb0EPKdS0_dEv17rocblas_diagonal_iiT6_lPT7_lllS5_lllPT8_llli.has_indirect_call, 0
	.section	.AMDGPU.csdata,"",@progbits
; Kernel info:
; codeLenInByte = 4464
; TotalNumSgprs: 59
; NumVgprs: 80
; ScratchSize: 0
; MemoryBound: 0
; FloatMode: 240
; IeeeMode: 1
; LDSByteSize: 16384 bytes/workgroup (compile time only)
; SGPRBlocks: 0
; VGPRBlocks: 9
; NumSGPRsForWavesPerEU: 59
; NumVGPRsForWavesPerEU: 80
; Occupancy: 16
; WaveLimiterHint : 0
; COMPUTE_PGM_RSRC2:SCRATCH_EN: 0
; COMPUTE_PGM_RSRC2:USER_SGPR: 2
; COMPUTE_PGM_RSRC2:TRAP_HANDLER: 0
; COMPUTE_PGM_RSRC2:TGID_X_EN: 1
; COMPUTE_PGM_RSRC2:TGID_Y_EN: 1
; COMPUTE_PGM_RSRC2:TGID_Z_EN: 1
; COMPUTE_PGM_RSRC2:TIDIG_COMP_CNT: 1
	.section	.text._ZL30rocblas_trmm_outofplace_kernelIdLi32ELi2ELb1ELb0ELb1ELb0EdKddEv17rocblas_diagonal_iiT6_lPT7_lllS4_lllPT8_llli,"axG",@progbits,_ZL30rocblas_trmm_outofplace_kernelIdLi32ELi2ELb1ELb0ELb1ELb0EdKddEv17rocblas_diagonal_iiT6_lPT7_lllS4_lllPT8_llli,comdat
	.globl	_ZL30rocblas_trmm_outofplace_kernelIdLi32ELi2ELb1ELb0ELb1ELb0EdKddEv17rocblas_diagonal_iiT6_lPT7_lllS4_lllPT8_llli ; -- Begin function _ZL30rocblas_trmm_outofplace_kernelIdLi32ELi2ELb1ELb0ELb1ELb0EdKddEv17rocblas_diagonal_iiT6_lPT7_lllS4_lllPT8_llli
	.p2align	8
	.type	_ZL30rocblas_trmm_outofplace_kernelIdLi32ELi2ELb1ELb0ELb1ELb0EdKddEv17rocblas_diagonal_iiT6_lPT7_lllS4_lllPT8_llli,@function
_ZL30rocblas_trmm_outofplace_kernelIdLi32ELi2ELb1ELb0ELb1ELb0EdKddEv17rocblas_diagonal_iiT6_lPT7_lllS4_lllPT8_llli: ; @_ZL30rocblas_trmm_outofplace_kernelIdLi32ELi2ELb1ELb0ELb1ELb0EdKddEv17rocblas_diagonal_iiT6_lPT7_lllS4_lllPT8_llli
; %bb.0:
	s_load_b32 s31, s[0:1], 0x80
	s_lshr_b32 s34, ttmp7, 16
	s_wait_kmcnt 0x0
	s_cmp_ge_u32 s34, s31
	s_cbranch_scc1 .LBB41_55
; %bb.1:
	s_load_b64 s[36:37], s[0:1], 0x10
	s_wait_kmcnt 0x0
	v_cmp_eq_f64_e64 s2, s[36:37], 0
	s_and_b32 vcc_lo, exec_lo, s2
	s_cbranch_vccnz .LBB41_55
; %bb.2:
	s_load_b96 s[28:30], s[0:1], 0x0
	v_bfe_u32 v50, v0, 10, 10
	v_and_b32_e32 v1, 0x3ff, v0
	s_and_b32 s33, ttmp7, 0xffff
	s_load_b512 s[4:19], s[0:1], 0x20
	s_add_nc_u64 s[38:39], s[0:1], 0x88
	v_lshlrev_b32_e32 v0, 8, v50
	v_dual_mov_b32 v56, 0x3ff00000 :: v_dual_lshlrev_b32 v51, 3, v1
	s_load_b256 s[20:27], s[0:1], 0x60
	v_lshl_add_u32 v55, s33, 5, v50
	s_delay_alu instid0(VALU_DEP_3) | instskip(NEXT) | instid1(VALU_DEP_3)
	v_add_nc_u32_e32 v52, 0x2000, v0
	v_add_nc_u32_e32 v53, v51, v0
	;; [unrolled: 1-line block ×6, first 2 shown]
	s_mov_b32 s35, 0
	s_wait_kmcnt 0x0
	s_add_co_i32 s2, s30, -1
	s_mov_b32 s40, s29
	s_ashr_i32 s3, s2, 31
	s_mov_b32 s47, s30
	s_lshr_b32 s3, s3, 27
	s_delay_alu instid0(SALU_CYCLE_1) | instskip(NEXT) | instid1(SALU_CYCLE_1)
	s_add_co_i32 s2, s2, s3
	s_ashr_i32 s44, s2, 5
	s_delay_alu instid0(SALU_CYCLE_1) | instskip(SKIP_2) | instid1(SALU_CYCLE_1)
	s_cmp_le_i32 s33, s44
	s_cselect_b32 s45, -1, 0
	s_lshl_b32 s0, ttmp9, 5
	v_add_nc_u32_e32 v2, s0, v1
	v_add_nc_u32_e32 v0, s0, v50
	s_sub_co_i32 s46, s29, s0
	s_delay_alu instid0(SALU_CYCLE_1) | instskip(NEXT) | instid1(VALU_DEP_2)
	s_cmp_gt_i32 s46, 0
	v_ashrrev_i32_e32 v3, 31, v2
	s_delay_alu instid0(VALU_DEP_2) | instskip(SKIP_2) | instid1(VALU_DEP_4)
	v_ashrrev_i32_e32 v1, 31, v0
	v_add_co_u32 v6, vcc_lo, v2, 16
	v_mul_lo_u32 v21, s9, v2
	v_add_co_ci_u32_e64 v7, null, 0, v3, vcc_lo
	v_sub_co_u32 v8, vcc_lo, v2, v0
	v_lshlrev_b64_e32 v[10:11], 3, v[2:3]
	s_wait_alu 0xfffd
	v_sub_co_ci_u32_e64 v9, null, v3, v1, vcc_lo
	s_delay_alu instid0(VALU_DEP_3)
	v_add_co_u32 v12, vcc_lo, v8, 16
	v_mul_lo_u32 v20, s8, v3
	v_mad_co_u64_u32 v[16:17], null, s8, v2, 0
	s_wait_alu 0xfffd
	v_add_co_ci_u32_e64 v13, null, 0, v9, vcc_lo
	v_add_co_u32 v18, vcc_lo, 0x80, v10
	s_wait_alu 0xfffd
	v_add_co_ci_u32_e64 v19, null, 0, v11, vcc_lo
	s_cselect_b32 s48, -1, 0
	s_cmp_eq_u32 s28, 0x84
	v_mul_lo_u32 v23, s9, v18
	s_cselect_b32 s49, -1, 0
	s_lshl_b64 s[6:7], s[6:7], 3
	s_lshl_b64 s[14:15], s[14:15], 3
	v_mul_lo_u32 v22, s8, v19
	v_mad_co_u64_u32 v[18:19], null, s8, v18, s[6:7]
	v_add3_u32 v17, v17, v20, v21
	v_add_co_u32 v14, vcc_lo, v8, -16
	s_add_nc_u64 s[12:13], s[12:13], s[14:15]
	s_wait_alu 0xfffd
	v_add_co_ci_u32_e64 v15, null, -1, v9, vcc_lo
	v_add_co_u32 v24, vcc_lo, s12, v10
	v_lshlrev_b64_e32 v[20:21], 3, v[16:17]
	s_wait_alu 0xfffd
	v_add_co_ci_u32_e64 v25, null, s13, v11, vcc_lo
	v_add3_u32 v19, v23, v19, v22
	v_lshlrev_b64_e32 v[22:23], 3, v[0:1]
	v_add_co_u32 v16, vcc_lo, 0x80, v24
	s_wait_alu 0xfffd
	v_add_co_ci_u32_e64 v17, null, 0, v25, vcc_lo
	v_add_co_u32 v20, vcc_lo, v20, s6
	s_wait_alu 0xfffd
	v_add_co_ci_u32_e64 v21, null, s7, v21, vcc_lo
	;; [unrolled: 3-line block ×3, first 2 shown]
	v_add_co_u32 v20, vcc_lo, v20, v22
	v_add_nc_u32_e32 v4, 16, v2
	s_wait_alu 0xfffd
	v_add_co_ci_u32_e64 v21, null, v21, v23, vcc_lo
	v_add_co_u32 v18, vcc_lo, s4, v18
	s_ashr_i32 s41, s29, 31
	s_lshl_b64 s[2:3], s[22:23], 3
	s_wait_alu 0xfffd
	v_add_co_ci_u32_e64 v19, null, s5, v19, vcc_lo
	v_add_co_u32 v20, vcc_lo, s4, v20
	s_add_nc_u64 s[20:21], s[20:21], s[2:3]
	v_cmp_le_i64_e64 s3, s[40:41], v[6:7]
	v_cmp_le_i32_e64 s0, s29, v2
	v_cmp_gt_i32_e64 s1, s29, v2
	v_cmp_gt_i32_e64 s2, s29, v4
	v_ashrrev_i32_e32 v5, 31, v4
	s_wait_alu 0xfffd
	v_add_co_ci_u32_e64 v21, null, s5, v21, vcc_lo
	v_mov_b32_e32 v22, 0
	s_ashr_i32 s50, s30, 31
	s_add_nc_u64 s[22:23], s[40:41], -16
	s_lshl_b64 s[12:13], s[18:19], 3
	s_lshl_b64 s[14:15], s[16:17], 3
	;; [unrolled: 1-line block ×3, first 2 shown]
	s_branch .LBB41_4
.LBB41_3:                               ;   in Loop: Header=BB41_4 Depth=1
	s_add_co_i32 s34, s34, 0x10000
	s_wait_alu 0xfffe
	s_cmp_ge_u32 s34, s31
	s_cbranch_scc1 .LBB41_55
.LBB41_4:                               ; =>This Loop Header: Depth=1
                                        ;     Child Loop BB41_7 Depth 2
                                        ;       Child Loop BB41_10 Depth 3
	s_and_not1_b32 vcc_lo, exec_lo, s45
	s_wait_alu 0xfffe
	s_cbranch_vccnz .LBB41_3
; %bb.5:                                ;   in Loop: Header=BB41_4 Depth=1
	v_mad_co_u64_u32 v[24:25], null, s12, s34, v[16:17]
	s_load_b32 s9, s[38:39], 0x4
	v_mad_co_u64_u32 v[26:27], null, s10, s34, v[18:19]
	v_mad_co_u64_u32 v[28:29], null, s10, s34, v[20:21]
	s_mul_i32 s6, s11, s34
	v_mov_b32_e32 v23, v25
	s_mul_u64 s[4:5], s[26:27], s[34:35]
	s_mov_b32 s52, s33
	s_wait_alu 0xfffe
	v_add_nc_u32_e32 v27, s6, v27
	s_lshl_b64 s[4:5], s[4:5], 3
	v_mad_co_u64_u32 v[30:31], null, s13, s34, v[23:24]
	v_add_nc_u32_e32 v29, s6, v29
	s_wait_alu 0xfffe
	s_add_nc_u64 s[18:19], s[20:21], s[4:5]
	s_delay_alu instid0(VALU_DEP_2)
	v_dual_mov_b32 v25, v30 :: v_dual_mov_b32 v30, v55
	s_wait_kmcnt 0x0
	s_lshl_b32 s51, s9, 5
	s_branch .LBB41_7
.LBB41_6:                               ;   in Loop: Header=BB41_7 Depth=2
	s_wait_alu 0xfffe
	s_or_b32 exec_lo, exec_lo, s4
	v_add_nc_u32_e32 v30, s51, v30
	s_add_co_i32 s52, s9, s52
	s_wait_alu 0xfffe
	s_cmp_gt_i32 s52, s44
	s_cbranch_scc1 .LBB41_3
.LBB41_7:                               ;   Parent Loop BB41_4 Depth=1
                                        ; =>  This Loop Header: Depth=2
                                        ;       Child Loop BB41_10 Depth 3
	v_lshl_add_u32 v60, s52, 5, v50
	s_and_not1_b32 vcc_lo, exec_lo, s48
	s_delay_alu instid0(VALU_DEP_1)
	v_ashrrev_i32_e32 v61, 31, v60
	s_wait_alu 0xfffe
	s_cbranch_vccnz .LBB41_46
; %bb.8:                                ;   in Loop: Header=BB41_7 Depth=2
	v_ashrrev_i32_e32 v31, 31, v30
	v_mad_co_u64_u32 v[32:33], null, s14, v30, v[24:25]
	v_mul_lo_u32 v23, s15, v30
	v_mov_b32_e32 v40, 0
	s_delay_alu instid0(VALU_DEP_4) | instskip(SKIP_4) | instid1(VALU_DEP_4)
	v_lshlrev_b64_e32 v[34:35], 3, v[30:31]
	v_mul_lo_u32 v31, s14, v31
	v_dual_mov_b32 v41, 0 :: v_dual_mov_b32 v42, 0
	v_mov_b32_e32 v43, 0
	s_mov_b64 s[28:29], 0
	v_add_co_u32 v34, vcc_lo, 0x80, v34
	s_wait_alu 0xfffd
	v_add_co_ci_u32_e64 v35, null, 0, v35, vcc_lo
	v_sub_co_u32 v36, vcc_lo, s47, v60
	s_delay_alu instid0(VALU_DEP_3) | instskip(NEXT) | instid1(VALU_DEP_3)
	v_mul_lo_u32 v45, s17, v34
	v_mul_lo_u32 v44, s16, v35
	v_mad_co_u64_u32 v[34:35], null, s16, v34, v[24:25]
	s_wait_alu 0xfffd
	v_sub_co_ci_u32_e64 v37, null, s50, v61, vcc_lo
	v_mov_b32_e32 v38, 0
	v_add3_u32 v33, v23, v33, v31
	v_mov_b32_e32 v39, 0
	s_delay_alu instid0(VALU_DEP_4)
	v_cmp_lt_i64_e32 vcc_lo, 0, v[36:37]
	v_cmp_lt_i64_e64 s4, 16, v[36:37]
	v_mov_b32_e32 v36, 0
	v_mov_b32_e32 v37, 0
	v_add3_u32 v35, v45, v35, v44
	s_mov_b64 s[42:43], 0
	s_branch .LBB41_10
.LBB41_9:                               ;   in Loop: Header=BB41_10 Depth=3
	s_wait_alu 0xfffe
	s_or_b32 exec_lo, exec_lo, s5
	s_wait_dscnt 0x0
	s_barrier_signal -1
	s_barrier_wait -1
	global_inv scope:SCOPE_SE
	ds_load_b128 v[44:47], v52
	ds_load_2addr_b64 v[62:65], v51 offset1:16
	ds_load_b128 v[66:69], v52 offset:4096
	ds_load_b128 v[70:73], v52 offset:16
	;; [unrolled: 1-line block ×3, first 2 shown]
	s_add_nc_u64 s[42:43], s[42:43], 32
	s_add_nc_u64 s[28:29], s[28:29], 0x100
	s_wait_alu 0xfffe
	s_cmp_ge_i32 s42, s46
	s_wait_dscnt 0x3
	v_fma_f64 v[42:43], v[62:63], v[44:45], v[42:43]
	v_fma_f64 v[40:41], v[64:65], v[44:45], v[40:41]
	s_wait_dscnt 0x2
	v_fma_f64 v[44:45], v[62:63], v[66:67], v[38:39]
	v_fma_f64 v[48:49], v[64:65], v[66:67], v[36:37]
	ds_load_2addr_b64 v[36:39], v51 offset0:32 offset1:48
	s_wait_dscnt 0x0
	v_fma_f64 v[42:43], v[36:37], v[46:47], v[42:43]
	v_fma_f64 v[40:41], v[38:39], v[46:47], v[40:41]
	v_fma_f64 v[44:45], v[36:37], v[68:69], v[44:45]
	v_fma_f64 v[46:47], v[38:39], v[68:69], v[48:49]
	ds_load_2addr_b64 v[36:39], v51 offset0:64 offset1:80
	s_wait_dscnt 0x0
	v_fma_f64 v[42:43], v[36:37], v[70:71], v[42:43]
	v_fma_f64 v[40:41], v[38:39], v[70:71], v[40:41]
	v_fma_f64 v[44:45], v[36:37], v[74:75], v[44:45]
	v_fma_f64 v[46:47], v[38:39], v[74:75], v[46:47]
	ds_load_2addr_b64 v[36:39], v51 offset0:96 offset1:112
	s_wait_dscnt 0x0
	v_fma_f64 v[48:49], v[36:37], v[72:73], v[42:43]
	v_fma_f64 v[70:71], v[38:39], v[72:73], v[40:41]
	v_fma_f64 v[72:73], v[36:37], v[76:77], v[44:45]
	v_fma_f64 v[74:75], v[38:39], v[76:77], v[46:47]
	ds_load_b128 v[36:39], v52 offset:32
	ds_load_2addr_b64 v[40:43], v51 offset0:128 offset1:144
	ds_load_b128 v[44:47], v52 offset:4128
	ds_load_b128 v[62:65], v52 offset:48
	ds_load_b128 v[66:69], v52 offset:4144
	s_wait_dscnt 0x3
	v_fma_f64 v[48:49], v[40:41], v[36:37], v[48:49]
	v_fma_f64 v[36:37], v[42:43], v[36:37], v[70:71]
	s_wait_dscnt 0x2
	v_fma_f64 v[70:71], v[40:41], v[44:45], v[72:73]
	v_fma_f64 v[44:45], v[42:43], v[44:45], v[74:75]
	ds_load_2addr_b64 v[40:43], v51 offset0:160 offset1:176
	s_wait_dscnt 0x0
	v_fma_f64 v[48:49], v[40:41], v[38:39], v[48:49]
	v_fma_f64 v[72:73], v[42:43], v[38:39], v[36:37]
	v_fma_f64 v[40:41], v[40:41], v[46:47], v[70:71]
	v_fma_f64 v[42:43], v[42:43], v[46:47], v[44:45]
	ds_load_2addr_b64 v[36:39], v51 offset0:192 offset1:208
	s_wait_dscnt 0x0
	v_fma_f64 v[44:45], v[36:37], v[62:63], v[48:49]
	v_fma_f64 v[46:47], v[38:39], v[62:63], v[72:73]
	v_fma_f64 v[40:41], v[36:37], v[66:67], v[40:41]
	v_fma_f64 v[42:43], v[38:39], v[66:67], v[42:43]
	ds_load_2addr_b64 v[36:39], v51 offset0:224 offset1:240
	s_wait_dscnt 0x0
	v_fma_f64 v[48:49], v[36:37], v[64:65], v[44:45]
	v_fma_f64 v[70:71], v[38:39], v[64:65], v[46:47]
	v_fma_f64 v[72:73], v[36:37], v[68:69], v[40:41]
	v_fma_f64 v[74:75], v[38:39], v[68:69], v[42:43]
	ds_load_b128 v[36:39], v52 offset:64
	ds_load_2addr_b64 v[40:43], v57 offset1:16
	ds_load_b128 v[44:47], v52 offset:4160
	ds_load_b128 v[62:65], v52 offset:80
	ds_load_b128 v[66:69], v52 offset:4176
	s_wait_dscnt 0x3
	v_fma_f64 v[48:49], v[40:41], v[36:37], v[48:49]
	v_fma_f64 v[36:37], v[42:43], v[36:37], v[70:71]
	s_wait_dscnt 0x2
	v_fma_f64 v[70:71], v[40:41], v[44:45], v[72:73]
	v_fma_f64 v[44:45], v[42:43], v[44:45], v[74:75]
	ds_load_2addr_b64 v[40:43], v57 offset0:32 offset1:48
	s_wait_dscnt 0x0
	v_fma_f64 v[48:49], v[40:41], v[38:39], v[48:49]
	v_fma_f64 v[72:73], v[42:43], v[38:39], v[36:37]
	v_fma_f64 v[40:41], v[40:41], v[46:47], v[70:71]
	v_fma_f64 v[42:43], v[42:43], v[46:47], v[44:45]
	ds_load_2addr_b64 v[36:39], v57 offset0:64 offset1:80
	s_wait_dscnt 0x0
	v_fma_f64 v[44:45], v[36:37], v[62:63], v[48:49]
	v_fma_f64 v[46:47], v[38:39], v[62:63], v[72:73]
	v_fma_f64 v[40:41], v[36:37], v[66:67], v[40:41]
	v_fma_f64 v[42:43], v[38:39], v[66:67], v[42:43]
	ds_load_2addr_b64 v[36:39], v57 offset0:96 offset1:112
	s_wait_dscnt 0x0
	v_fma_f64 v[48:49], v[36:37], v[64:65], v[44:45]
	v_fma_f64 v[70:71], v[38:39], v[64:65], v[46:47]
	v_fma_f64 v[72:73], v[36:37], v[68:69], v[40:41]
	v_fma_f64 v[74:75], v[38:39], v[68:69], v[42:43]
	ds_load_b128 v[36:39], v52 offset:96
	ds_load_2addr_b64 v[40:43], v57 offset0:128 offset1:144
	ds_load_b128 v[44:47], v52 offset:4192
	ds_load_b128 v[62:65], v52 offset:112
	ds_load_b128 v[66:69], v52 offset:4208
	s_wait_dscnt 0x3
	v_fma_f64 v[48:49], v[40:41], v[36:37], v[48:49]
	v_fma_f64 v[36:37], v[42:43], v[36:37], v[70:71]
	s_wait_dscnt 0x2
	v_fma_f64 v[70:71], v[40:41], v[44:45], v[72:73]
	v_fma_f64 v[44:45], v[42:43], v[44:45], v[74:75]
	ds_load_2addr_b64 v[40:43], v57 offset0:160 offset1:176
	s_wait_dscnt 0x0
	v_fma_f64 v[48:49], v[40:41], v[38:39], v[48:49]
	v_fma_f64 v[72:73], v[42:43], v[38:39], v[36:37]
	v_fma_f64 v[40:41], v[40:41], v[46:47], v[70:71]
	v_fma_f64 v[42:43], v[42:43], v[46:47], v[44:45]
	ds_load_2addr_b64 v[36:39], v57 offset0:192 offset1:208
	s_wait_dscnt 0x0
	v_fma_f64 v[44:45], v[36:37], v[62:63], v[48:49]
	v_fma_f64 v[46:47], v[38:39], v[62:63], v[72:73]
	v_fma_f64 v[40:41], v[36:37], v[66:67], v[40:41]
	v_fma_f64 v[42:43], v[38:39], v[66:67], v[42:43]
	ds_load_2addr_b64 v[36:39], v57 offset0:224 offset1:240
	s_wait_dscnt 0x0
	v_fma_f64 v[48:49], v[36:37], v[64:65], v[44:45]
	v_fma_f64 v[70:71], v[38:39], v[64:65], v[46:47]
	v_fma_f64 v[72:73], v[36:37], v[68:69], v[40:41]
	v_fma_f64 v[74:75], v[38:39], v[68:69], v[42:43]
	ds_load_b128 v[36:39], v52 offset:128
	ds_load_2addr_b64 v[40:43], v58 offset1:16
	ds_load_b128 v[44:47], v52 offset:4224
	ds_load_b128 v[62:65], v52 offset:144
	ds_load_b128 v[66:69], v52 offset:4240
	;; [unrolled: 58-line block ×3, first 2 shown]
	s_wait_dscnt 0x3
	v_fma_f64 v[48:49], v[40:41], v[36:37], v[48:49]
	v_fma_f64 v[36:37], v[42:43], v[36:37], v[70:71]
	s_wait_dscnt 0x2
	v_fma_f64 v[70:71], v[40:41], v[44:45], v[72:73]
	v_fma_f64 v[44:45], v[42:43], v[44:45], v[74:75]
	ds_load_2addr_b64 v[40:43], v59 offset0:32 offset1:48
	s_wait_dscnt 0x0
	v_fma_f64 v[48:49], v[40:41], v[38:39], v[48:49]
	v_fma_f64 v[72:73], v[42:43], v[38:39], v[36:37]
	v_fma_f64 v[40:41], v[40:41], v[46:47], v[70:71]
	v_fma_f64 v[42:43], v[42:43], v[46:47], v[44:45]
	ds_load_2addr_b64 v[36:39], v59 offset0:64 offset1:80
	s_wait_dscnt 0x0
	v_fma_f64 v[44:45], v[36:37], v[62:63], v[48:49]
	v_fma_f64 v[46:47], v[38:39], v[62:63], v[72:73]
	;; [unrolled: 6-line block ×3, first 2 shown]
	v_fma_f64 v[72:73], v[36:37], v[68:69], v[40:41]
	v_fma_f64 v[74:75], v[38:39], v[68:69], v[42:43]
	ds_load_b128 v[36:39], v52 offset:224
	ds_load_2addr_b64 v[40:43], v59 offset0:128 offset1:144
	ds_load_b128 v[44:47], v52 offset:4320
	ds_load_b128 v[62:65], v52 offset:240
	;; [unrolled: 1-line block ×3, first 2 shown]
	s_wait_dscnt 0x3
	v_fma_f64 v[48:49], v[40:41], v[36:37], v[48:49]
	v_fma_f64 v[36:37], v[42:43], v[36:37], v[70:71]
	s_wait_dscnt 0x2
	v_fma_f64 v[70:71], v[40:41], v[44:45], v[72:73]
	v_fma_f64 v[44:45], v[42:43], v[44:45], v[74:75]
	ds_load_2addr_b64 v[40:43], v59 offset0:160 offset1:176
	s_wait_dscnt 0x0
	v_fma_f64 v[48:49], v[40:41], v[38:39], v[48:49]
	v_fma_f64 v[72:73], v[42:43], v[38:39], v[36:37]
	;; [unrolled: 1-line block ×4, first 2 shown]
	ds_load_2addr_b64 v[36:39], v59 offset0:192 offset1:208
	ds_load_2addr_b64 v[44:47], v59 offset0:224 offset1:240
	s_wait_loadcnt_dscnt 0x0
	s_barrier_signal -1
	s_barrier_wait -1
	global_inv scope:SCOPE_SE
	v_fma_f64 v[48:49], v[36:37], v[62:63], v[48:49]
	v_fma_f64 v[62:63], v[38:39], v[62:63], v[72:73]
	;; [unrolled: 1-line block ×4, first 2 shown]
	s_delay_alu instid0(VALU_DEP_4) | instskip(NEXT) | instid1(VALU_DEP_4)
	v_fma_f64 v[42:43], v[44:45], v[64:65], v[48:49]
	v_fma_f64 v[40:41], v[46:47], v[64:65], v[62:63]
	s_delay_alu instid0(VALU_DEP_4) | instskip(NEXT) | instid1(VALU_DEP_4)
	v_fma_f64 v[38:39], v[44:45], v[68:69], v[36:37]
	v_fma_f64 v[36:37], v[46:47], v[68:69], v[66:67]
	s_cbranch_scc1 .LBB41_47
.LBB41_10:                              ;   Parent Loop BB41_4 Depth=1
                                        ;     Parent Loop BB41_7 Depth=2
                                        ; =>    This Inner Loop Header: Depth=3
	s_wait_alu 0xfffe
	v_add_co_u32 v46, s5, v0, s42
	s_wait_alu 0xf1ff
	v_add_co_ci_u32_e64 v47, null, s43, v1, s5
	v_cmp_eq_u64_e64 s7, s[42:43], v[8:9]
                                        ; implicit-def: $vgpr48_vgpr49
	s_delay_alu instid0(VALU_DEP_2)
	v_cmp_le_i64_e64 s6, s[40:41], v[46:47]
	v_cmp_lt_i64_e64 s5, v[46:47], v[2:3]
	s_and_b32 s53, s49, s7
	v_add_co_u32 v44, s7, v28, s28
	s_wait_alu 0xf1ff
	v_add_co_ci_u32_e64 v45, null, s29, v29, s7
	s_or_b32 s8, s6, s5
	s_wait_alu 0xfffe
	s_or_b32 s7, s8, s53
	s_wait_alu 0xfffe
	s_nor_b32 s7, s0, s7
	s_wait_alu 0xfffe
	s_and_saveexec_b32 s8, s7
	s_wait_alu 0xfffe
	s_xor_b32 s7, exec_lo, s8
	s_cbranch_execz .LBB41_12
; %bb.11:                               ;   in Loop: Header=BB41_10 Depth=3
	global_load_b64 v[48:49], v[44:45], off
.LBB41_12:                              ;   in Loop: Header=BB41_10 Depth=3
	s_wait_alu 0xfffe
	s_and_not1_saveexec_b32 s7, s7
	s_cbranch_execz .LBB41_14
; %bb.13:                               ;   in Loop: Header=BB41_10 Depth=3
	v_cndmask_b32_e64 v23, 0, 0x3ff00000, s53
	s_wait_loadcnt 0x0
	s_delay_alu instid0(VALU_DEP_1)
	v_dual_mov_b32 v49, v23 :: v_dual_mov_b32 v48, v22
.LBB41_14:                              ;   in Loop: Header=BB41_10 Depth=3
	s_wait_alu 0xfffe
	s_or_b32 exec_lo, exec_lo, s7
	v_cmp_eq_u64_e64 s7, s[42:43], v[12:13]
	v_cmp_gt_i64_e64 s8, v[6:7], v[46:47]
	s_wait_loadcnt 0x0
	ds_store_b64 v53, v[48:49]
	s_and_b32 s7, s49, s7
	s_or_b32 s6, s6, s8
	s_wait_alu 0xfffe
	s_or_b32 s6, s6, s7
	s_wait_alu 0xfffe
	s_nor_b32 s6, s3, s6
	s_wait_alu 0xfffe
	s_and_saveexec_b32 s8, s6
	s_wait_alu 0xfffe
	s_xor_b32 s8, exec_lo, s8
	s_cbranch_execz .LBB41_16
; %bb.15:                               ;   in Loop: Header=BB41_10 Depth=3
	v_add_co_u32 v48, s6, v26, s28
	s_wait_alu 0xf1ff
	v_add_co_ci_u32_e64 v49, null, s29, v27, s6
	global_load_b64 v[48:49], v[48:49], off
	s_wait_loadcnt 0x0
	ds_store_b64 v53, v[48:49] offset:128
.LBB41_16:                              ;   in Loop: Header=BB41_10 Depth=3
	s_wait_alu 0xfffe
	s_and_not1_saveexec_b32 s6, s8
	s_cbranch_execz .LBB41_22
; %bb.17:                               ;   in Loop: Header=BB41_10 Depth=3
	s_xor_b32 s7, s7, -1
	s_wait_alu 0xfffe
	s_and_saveexec_b32 s8, s7
	s_wait_alu 0xfffe
	s_xor_b32 s7, exec_lo, s8
; %bb.18:                               ;   in Loop: Header=BB41_10 Depth=3
	v_mov_b32_e32 v23, v22
	ds_store_b64 v53, v[22:23] offset:128
; %bb.19:                               ;   in Loop: Header=BB41_10 Depth=3
	s_wait_alu 0xfffe
	s_and_not1_saveexec_b32 s7, s7
; %bb.20:                               ;   in Loop: Header=BB41_10 Depth=3
	v_mov_b32_e32 v23, v56
	ds_store_b64 v53, v[22:23] offset:128
; %bb.21:                               ;   in Loop: Header=BB41_10 Depth=3
	s_wait_alu 0xfffe
	s_or_b32 exec_lo, exec_lo, s7
.LBB41_22:                              ;   in Loop: Header=BB41_10 Depth=3
	s_wait_alu 0xfffe
	s_or_b32 exec_lo, exec_lo, s6
	v_add_co_u32 v46, s6, v46, 16
	s_wait_alu 0xf1ff
	v_add_co_ci_u32_e64 v47, null, 0, v47, s6
	v_cmp_eq_u64_e64 s7, s[42:43], v[14:15]
	s_delay_alu instid0(VALU_DEP_2)
	v_cmp_le_i64_e64 s6, s[40:41], v[46:47]
	v_cmp_lt_i64_e64 s8, v[46:47], v[2:3]
                                        ; implicit-def: $vgpr46_vgpr47
	s_and_b32 s7, s49, s7
	s_or_b32 s8, s6, s8
	s_wait_alu 0xfffe
	s_or_b32 s8, s8, s7
	s_wait_alu 0xfffe
	s_nor_b32 s8, s0, s8
	s_wait_alu 0xfffe
	s_and_saveexec_b32 s54, s8
	s_delay_alu instid0(SALU_CYCLE_1)
	s_xor_b32 s8, exec_lo, s54
	s_cbranch_execz .LBB41_24
; %bb.23:                               ;   in Loop: Header=BB41_10 Depth=3
	global_load_b64 v[46:47], v[44:45], off offset:128
.LBB41_24:                              ;   in Loop: Header=BB41_10 Depth=3
	s_wait_alu 0xfffe
	s_and_not1_saveexec_b32 s8, s8
	s_cbranch_execz .LBB41_26
; %bb.25:                               ;   in Loop: Header=BB41_10 Depth=3
	v_cndmask_b32_e64 v23, 0, 0x3ff00000, s7
	s_wait_loadcnt 0x0
	s_delay_alu instid0(VALU_DEP_1)
	v_dual_mov_b32 v47, v23 :: v_dual_mov_b32 v46, v22
.LBB41_26:                              ;   in Loop: Header=BB41_10 Depth=3
	s_wait_alu 0xfffe
	s_or_b32 exec_lo, exec_lo, s8
	s_or_b32 s5, s6, s5
	s_wait_loadcnt 0x0
	ds_store_b64 v53, v[46:47] offset:4096
	s_wait_alu 0xfffe
	s_or_b32 s5, s5, s53
	s_wait_alu 0xfffe
	s_nor_b32 s5, s3, s5
	s_wait_alu 0xfffe
	s_and_saveexec_b32 s6, s5
	s_wait_alu 0xfffe
	s_xor_b32 s6, exec_lo, s6
	s_cbranch_execz .LBB41_28
; %bb.27:                               ;   in Loop: Header=BB41_10 Depth=3
	v_add_co_u32 v44, s5, v26, s28
	s_wait_alu 0xf1ff
	v_add_co_ci_u32_e64 v45, null, s29, v27, s5
	global_load_b64 v[44:45], v[44:45], off offset:128
	s_wait_loadcnt 0x0
	ds_store_b64 v53, v[44:45] offset:4224
.LBB41_28:                              ;   in Loop: Header=BB41_10 Depth=3
	s_wait_alu 0xfffe
	s_and_not1_saveexec_b32 s5, s6
	s_cbranch_execz .LBB41_34
; %bb.29:                               ;   in Loop: Header=BB41_10 Depth=3
	s_xor_b32 s6, s53, -1
	s_wait_alu 0xfffe
	s_and_saveexec_b32 s7, s6
	s_wait_alu 0xfffe
	s_xor_b32 s6, exec_lo, s7
; %bb.30:                               ;   in Loop: Header=BB41_10 Depth=3
	v_mov_b32_e32 v23, v22
	ds_store_b64 v53, v[22:23] offset:4224
; %bb.31:                               ;   in Loop: Header=BB41_10 Depth=3
	s_wait_alu 0xfffe
	s_and_not1_saveexec_b32 s6, s6
; %bb.32:                               ;   in Loop: Header=BB41_10 Depth=3
	v_mov_b32_e32 v23, v56
	ds_store_b64 v53, v[22:23] offset:4224
; %bb.33:                               ;   in Loop: Header=BB41_10 Depth=3
	s_wait_alu 0xfffe
	s_or_b32 exec_lo, exec_lo, s6
.LBB41_34:                              ;   in Loop: Header=BB41_10 Depth=3
	s_wait_alu 0xfffe
	s_or_b32 exec_lo, exec_lo, s5
	v_add_co_u32 v46, s5, v2, s42
	s_wait_alu 0xf1ff
	v_add_co_ci_u32_e64 v47, null, s43, v3, s5
	v_add_co_u32 v44, s6, v32, s28
	v_mov_b32_e32 v48, 0
	s_delay_alu instid0(VALU_DEP_3)
	v_cmp_gt_i64_e64 s5, s[40:41], v[46:47]
	v_mov_b32_e32 v49, 0
	s_wait_alu 0xf1ff
	v_add_co_ci_u32_e64 v45, null, s29, v33, s6
	s_and_b32 s7, vcc_lo, s5
	s_wait_alu 0xfffe
	s_and_saveexec_b32 s6, s7
	s_cbranch_execz .LBB41_36
; %bb.35:                               ;   in Loop: Header=BB41_10 Depth=3
	global_load_b64 v[48:49], v[44:45], off offset:-128
.LBB41_36:                              ;   in Loop: Header=BB41_10 Depth=3
	s_wait_alu 0xfffe
	s_or_b32 exec_lo, exec_lo, s6
	v_cmp_gt_i64_e64 s6, s[22:23], v[46:47]
	s_wait_loadcnt 0x0
	ds_store_b64 v54, v[48:49]
	s_and_b32 s7, vcc_lo, s6
	s_wait_alu 0xfffe
	s_xor_b32 s7, s7, -1
	s_wait_alu 0xfffe
	s_and_saveexec_b32 s8, s7
	s_wait_alu 0xfffe
	s_xor_b32 s7, exec_lo, s8
; %bb.37:                               ;   in Loop: Header=BB41_10 Depth=3
	v_mov_b32_e32 v23, v22
                                        ; implicit-def: $vgpr44_vgpr45
	ds_store_b64 v54, v[22:23] offset:128
; %bb.38:                               ;   in Loop: Header=BB41_10 Depth=3
	s_wait_alu 0xfffe
	s_and_not1_saveexec_b32 s7, s7
	s_cbranch_execz .LBB41_40
; %bb.39:                               ;   in Loop: Header=BB41_10 Depth=3
	global_load_b64 v[44:45], v[44:45], off
	s_wait_loadcnt 0x0
	ds_store_b64 v54, v[44:45] offset:128
.LBB41_40:                              ;   in Loop: Header=BB41_10 Depth=3
	s_wait_alu 0xfffe
	s_or_b32 exec_lo, exec_lo, s7
	v_add_co_u32 v44, s7, v34, s28
	v_mov_b32_e32 v46, 0
	v_mov_b32_e32 v47, 0
	s_wait_alu 0xf1ff
	v_add_co_ci_u32_e64 v45, null, s29, v35, s7
	s_and_b32 s7, s4, s5
	s_wait_alu 0xfffe
	s_and_saveexec_b32 s5, s7
	s_cbranch_execz .LBB41_42
; %bb.41:                               ;   in Loop: Header=BB41_10 Depth=3
	global_load_b64 v[46:47], v[44:45], off offset:-128
.LBB41_42:                              ;   in Loop: Header=BB41_10 Depth=3
	s_wait_alu 0xfffe
	s_or_b32 exec_lo, exec_lo, s5
	s_and_b32 s5, s4, s6
	s_wait_loadcnt 0x0
	ds_store_b64 v54, v[46:47] offset:4096
	s_wait_alu 0xfffe
	s_xor_b32 s5, s5, -1
	s_wait_alu 0xfffe
	s_and_saveexec_b32 s6, s5
	s_wait_alu 0xfffe
	s_xor_b32 s5, exec_lo, s6
; %bb.43:                               ;   in Loop: Header=BB41_10 Depth=3
	v_mov_b32_e32 v23, v22
                                        ; implicit-def: $vgpr44_vgpr45
	ds_store_b64 v54, v[22:23] offset:4224
; %bb.44:                               ;   in Loop: Header=BB41_10 Depth=3
	s_wait_alu 0xfffe
	s_and_not1_saveexec_b32 s5, s5
	s_cbranch_execz .LBB41_9
; %bb.45:                               ;   in Loop: Header=BB41_10 Depth=3
	global_load_b64 v[44:45], v[44:45], off
	s_wait_loadcnt 0x0
	ds_store_b64 v54, v[44:45] offset:4224
	s_branch .LBB41_9
.LBB41_46:                              ;   in Loop: Header=BB41_7 Depth=2
	v_mov_b32_e32 v42, 0
	v_dual_mov_b32 v38, 0 :: v_dual_mov_b32 v43, 0
	v_dual_mov_b32 v40, 0 :: v_dual_mov_b32 v39, 0
	;; [unrolled: 1-line block ×3, first 2 shown]
	v_mov_b32_e32 v37, 0
.LBB41_47:                              ;   in Loop: Header=BB41_7 Depth=2
	v_mul_lo_u32 v23, s25, v60
	v_mul_lo_u32 v33, s24, v61
	v_mad_co_u64_u32 v[31:32], null, s24, v60, 0
	v_cmp_gt_i32_e32 vcc_lo, s30, v60
	s_delay_alu instid0(VALU_DEP_2) | instskip(NEXT) | instid1(VALU_DEP_1)
	v_add3_u32 v32, v32, v33, v23
	v_lshlrev_b64_e32 v[31:32], 3, v[31:32]
	s_delay_alu instid0(VALU_DEP_1) | instskip(SKIP_1) | instid1(VALU_DEP_2)
	v_add_co_u32 v23, s4, s18, v31
	s_wait_alu 0xf1ff
	v_add_co_ci_u32_e64 v31, null, s19, v32, s4
	s_and_b32 s4, s1, vcc_lo
	s_wait_alu 0xfffe
	s_and_saveexec_b32 s5, s4
	s_cbranch_execz .LBB41_49
; %bb.48:                               ;   in Loop: Header=BB41_7 Depth=2
	v_add_co_u32 v32, s4, v23, v10
	s_wait_alu 0xf1ff
	v_add_co_ci_u32_e64 v33, null, v31, v11, s4
	global_load_b64 v[34:35], v[32:33], off
	s_wait_loadcnt 0x0
	v_fma_f64 v[34:35], s[36:37], v[42:43], v[34:35]
	global_store_b64 v[32:33], v[34:35], off
.LBB41_49:                              ;   in Loop: Header=BB41_7 Depth=2
	s_wait_alu 0xfffe
	s_or_b32 exec_lo, exec_lo, s5
	s_and_b32 s5, s2, vcc_lo
	s_wait_alu 0xfffe
	s_and_saveexec_b32 s4, s5
	s_cbranch_execz .LBB41_51
; %bb.50:                               ;   in Loop: Header=BB41_7 Depth=2
	v_lshlrev_b64_e32 v[32:33], 3, v[4:5]
	s_delay_alu instid0(VALU_DEP_1) | instskip(SKIP_1) | instid1(VALU_DEP_2)
	v_add_co_u32 v32, vcc_lo, v23, v32
	s_wait_alu 0xfffd
	v_add_co_ci_u32_e64 v33, null, v31, v33, vcc_lo
	global_load_b64 v[34:35], v[32:33], off
	s_wait_loadcnt 0x0
	v_fma_f64 v[34:35], s[36:37], v[40:41], v[34:35]
	global_store_b64 v[32:33], v[34:35], off
.LBB41_51:                              ;   in Loop: Header=BB41_7 Depth=2
	s_wait_alu 0xfffe
	s_or_b32 exec_lo, exec_lo, s4
	v_add_nc_u32_e32 v23, 16, v60
	s_delay_alu instid0(VALU_DEP_1) | instskip(SKIP_3) | instid1(VALU_DEP_4)
	v_ashrrev_i32_e32 v33, 31, v23
	v_mul_lo_u32 v34, s25, v23
	v_mad_co_u64_u32 v[31:32], null, s24, v23, 0
	v_cmp_gt_i32_e32 vcc_lo, s30, v23
	v_mul_lo_u32 v33, s24, v33
	s_delay_alu instid0(VALU_DEP_1) | instskip(NEXT) | instid1(VALU_DEP_1)
	v_add3_u32 v32, v32, v33, v34
	v_lshlrev_b64_e32 v[31:32], 3, v[31:32]
	s_delay_alu instid0(VALU_DEP_1) | instskip(SKIP_1) | instid1(VALU_DEP_2)
	v_add_co_u32 v23, s4, s18, v31
	s_wait_alu 0xf1ff
	v_add_co_ci_u32_e64 v31, null, s19, v32, s4
	s_and_b32 s4, s1, vcc_lo
	s_wait_alu 0xfffe
	s_and_saveexec_b32 s5, s4
	s_cbranch_execz .LBB41_53
; %bb.52:                               ;   in Loop: Header=BB41_7 Depth=2
	v_add_co_u32 v32, s4, v23, v10
	s_wait_alu 0xf1ff
	v_add_co_ci_u32_e64 v33, null, v31, v11, s4
	global_load_b64 v[34:35], v[32:33], off
	s_wait_loadcnt 0x0
	v_fma_f64 v[34:35], s[36:37], v[38:39], v[34:35]
	global_store_b64 v[32:33], v[34:35], off
.LBB41_53:                              ;   in Loop: Header=BB41_7 Depth=2
	s_wait_alu 0xfffe
	s_or_b32 exec_lo, exec_lo, s5
	s_and_b32 s5, s2, vcc_lo
	s_wait_alu 0xfffe
	s_and_saveexec_b32 s4, s5
	s_cbranch_execz .LBB41_6
; %bb.54:                               ;   in Loop: Header=BB41_7 Depth=2
	v_lshlrev_b64_e32 v[32:33], 3, v[4:5]
	s_delay_alu instid0(VALU_DEP_1) | instskip(SKIP_1) | instid1(VALU_DEP_2)
	v_add_co_u32 v32, vcc_lo, v23, v32
	s_wait_alu 0xfffd
	v_add_co_ci_u32_e64 v33, null, v31, v33, vcc_lo
	global_load_b64 v[34:35], v[32:33], off
	s_wait_loadcnt 0x0
	v_fma_f64 v[34:35], s[36:37], v[36:37], v[34:35]
	global_store_b64 v[32:33], v[34:35], off
	s_branch .LBB41_6
.LBB41_55:
	s_endpgm
	.section	.rodata,"a",@progbits
	.p2align	6, 0x0
	.amdhsa_kernel _ZL30rocblas_trmm_outofplace_kernelIdLi32ELi2ELb1ELb0ELb1ELb0EdKddEv17rocblas_diagonal_iiT6_lPT7_lllS4_lllPT8_llli
		.amdhsa_group_segment_fixed_size 16384
		.amdhsa_private_segment_fixed_size 0
		.amdhsa_kernarg_size 392
		.amdhsa_user_sgpr_count 2
		.amdhsa_user_sgpr_dispatch_ptr 0
		.amdhsa_user_sgpr_queue_ptr 0
		.amdhsa_user_sgpr_kernarg_segment_ptr 1
		.amdhsa_user_sgpr_dispatch_id 0
		.amdhsa_user_sgpr_private_segment_size 0
		.amdhsa_wavefront_size32 1
		.amdhsa_uses_dynamic_stack 0
		.amdhsa_enable_private_segment 0
		.amdhsa_system_sgpr_workgroup_id_x 1
		.amdhsa_system_sgpr_workgroup_id_y 1
		.amdhsa_system_sgpr_workgroup_id_z 1
		.amdhsa_system_sgpr_workgroup_info 0
		.amdhsa_system_vgpr_workitem_id 1
		.amdhsa_next_free_vgpr 78
		.amdhsa_next_free_sgpr 55
		.amdhsa_reserve_vcc 1
		.amdhsa_float_round_mode_32 0
		.amdhsa_float_round_mode_16_64 0
		.amdhsa_float_denorm_mode_32 3
		.amdhsa_float_denorm_mode_16_64 3
		.amdhsa_fp16_overflow 0
		.amdhsa_workgroup_processor_mode 1
		.amdhsa_memory_ordered 1
		.amdhsa_forward_progress 1
		.amdhsa_inst_pref_size 35
		.amdhsa_round_robin_scheduling 0
		.amdhsa_exception_fp_ieee_invalid_op 0
		.amdhsa_exception_fp_denorm_src 0
		.amdhsa_exception_fp_ieee_div_zero 0
		.amdhsa_exception_fp_ieee_overflow 0
		.amdhsa_exception_fp_ieee_underflow 0
		.amdhsa_exception_fp_ieee_inexact 0
		.amdhsa_exception_int_div_zero 0
	.end_amdhsa_kernel
	.section	.text._ZL30rocblas_trmm_outofplace_kernelIdLi32ELi2ELb1ELb0ELb1ELb0EdKddEv17rocblas_diagonal_iiT6_lPT7_lllS4_lllPT8_llli,"axG",@progbits,_ZL30rocblas_trmm_outofplace_kernelIdLi32ELi2ELb1ELb0ELb1ELb0EdKddEv17rocblas_diagonal_iiT6_lPT7_lllS4_lllPT8_llli,comdat
.Lfunc_end41:
	.size	_ZL30rocblas_trmm_outofplace_kernelIdLi32ELi2ELb1ELb0ELb1ELb0EdKddEv17rocblas_diagonal_iiT6_lPT7_lllS4_lllPT8_llli, .Lfunc_end41-_ZL30rocblas_trmm_outofplace_kernelIdLi32ELi2ELb1ELb0ELb1ELb0EdKddEv17rocblas_diagonal_iiT6_lPT7_lllS4_lllPT8_llli
                                        ; -- End function
	.set _ZL30rocblas_trmm_outofplace_kernelIdLi32ELi2ELb1ELb0ELb1ELb0EdKddEv17rocblas_diagonal_iiT6_lPT7_lllS4_lllPT8_llli.num_vgpr, 78
	.set _ZL30rocblas_trmm_outofplace_kernelIdLi32ELi2ELb1ELb0ELb1ELb0EdKddEv17rocblas_diagonal_iiT6_lPT7_lllS4_lllPT8_llli.num_agpr, 0
	.set _ZL30rocblas_trmm_outofplace_kernelIdLi32ELi2ELb1ELb0ELb1ELb0EdKddEv17rocblas_diagonal_iiT6_lPT7_lllS4_lllPT8_llli.numbered_sgpr, 55
	.set _ZL30rocblas_trmm_outofplace_kernelIdLi32ELi2ELb1ELb0ELb1ELb0EdKddEv17rocblas_diagonal_iiT6_lPT7_lllS4_lllPT8_llli.num_named_barrier, 0
	.set _ZL30rocblas_trmm_outofplace_kernelIdLi32ELi2ELb1ELb0ELb1ELb0EdKddEv17rocblas_diagonal_iiT6_lPT7_lllS4_lllPT8_llli.private_seg_size, 0
	.set _ZL30rocblas_trmm_outofplace_kernelIdLi32ELi2ELb1ELb0ELb1ELb0EdKddEv17rocblas_diagonal_iiT6_lPT7_lllS4_lllPT8_llli.uses_vcc, 1
	.set _ZL30rocblas_trmm_outofplace_kernelIdLi32ELi2ELb1ELb0ELb1ELb0EdKddEv17rocblas_diagonal_iiT6_lPT7_lllS4_lllPT8_llli.uses_flat_scratch, 0
	.set _ZL30rocblas_trmm_outofplace_kernelIdLi32ELi2ELb1ELb0ELb1ELb0EdKddEv17rocblas_diagonal_iiT6_lPT7_lllS4_lllPT8_llli.has_dyn_sized_stack, 0
	.set _ZL30rocblas_trmm_outofplace_kernelIdLi32ELi2ELb1ELb0ELb1ELb0EdKddEv17rocblas_diagonal_iiT6_lPT7_lllS4_lllPT8_llli.has_recursion, 0
	.set _ZL30rocblas_trmm_outofplace_kernelIdLi32ELi2ELb1ELb0ELb1ELb0EdKddEv17rocblas_diagonal_iiT6_lPT7_lllS4_lllPT8_llli.has_indirect_call, 0
	.section	.AMDGPU.csdata,"",@progbits
; Kernel info:
; codeLenInByte = 4420
; TotalNumSgprs: 57
; NumVgprs: 78
; ScratchSize: 0
; MemoryBound: 0
; FloatMode: 240
; IeeeMode: 1
; LDSByteSize: 16384 bytes/workgroup (compile time only)
; SGPRBlocks: 0
; VGPRBlocks: 9
; NumSGPRsForWavesPerEU: 57
; NumVGPRsForWavesPerEU: 78
; Occupancy: 16
; WaveLimiterHint : 0
; COMPUTE_PGM_RSRC2:SCRATCH_EN: 0
; COMPUTE_PGM_RSRC2:USER_SGPR: 2
; COMPUTE_PGM_RSRC2:TRAP_HANDLER: 0
; COMPUTE_PGM_RSRC2:TGID_X_EN: 1
; COMPUTE_PGM_RSRC2:TGID_Y_EN: 1
; COMPUTE_PGM_RSRC2:TGID_Z_EN: 1
; COMPUTE_PGM_RSRC2:TIDIG_COMP_CNT: 1
	.section	.text._ZL30rocblas_trmm_outofplace_kernelIdLi32ELi2ELb1ELb1ELb1ELb0EPKdS0_dEv17rocblas_diagonal_iiT6_lPT7_lllS5_lllPT8_llli,"axG",@progbits,_ZL30rocblas_trmm_outofplace_kernelIdLi32ELi2ELb1ELb1ELb1ELb0EPKdS0_dEv17rocblas_diagonal_iiT6_lPT7_lllS5_lllPT8_llli,comdat
	.globl	_ZL30rocblas_trmm_outofplace_kernelIdLi32ELi2ELb1ELb1ELb1ELb0EPKdS0_dEv17rocblas_diagonal_iiT6_lPT7_lllS5_lllPT8_llli ; -- Begin function _ZL30rocblas_trmm_outofplace_kernelIdLi32ELi2ELb1ELb1ELb1ELb0EPKdS0_dEv17rocblas_diagonal_iiT6_lPT7_lllS5_lllPT8_llli
	.p2align	8
	.type	_ZL30rocblas_trmm_outofplace_kernelIdLi32ELi2ELb1ELb1ELb1ELb0EPKdS0_dEv17rocblas_diagonal_iiT6_lPT7_lllS5_lllPT8_llli,@function
_ZL30rocblas_trmm_outofplace_kernelIdLi32ELi2ELb1ELb1ELb1ELb0EPKdS0_dEv17rocblas_diagonal_iiT6_lPT7_lllS5_lllPT8_llli: ; @_ZL30rocblas_trmm_outofplace_kernelIdLi32ELi2ELb1ELb1ELb1ELb0EPKdS0_dEv17rocblas_diagonal_iiT6_lPT7_lllS5_lllPT8_llli
; %bb.0:
	s_load_b32 s11, s[0:1], 0x80
	s_lshr_b32 s34, ttmp7, 16
	s_wait_kmcnt 0x0
	s_cmp_ge_u32 s34, s11
	s_cbranch_scc1 .LBB42_55
; %bb.1:
	s_clause 0x3
	s_load_b96 s[8:10], s[0:1], 0x0
	s_load_b256 s[36:43], s[0:1], 0x50
	s_load_b512 s[12:27], s[0:1], 0x10
	s_load_b128 s[28:31], s[0:1], 0x70
	s_add_nc_u64 s[44:45], s[0:1], 0x88
	s_and_b32 s33, ttmp7, 0xffff
	v_and_b32_e32 v51, 0x3ff, v0
	v_bfe_u32 v50, v0, 10, 10
	v_dual_mov_b32 v0, 0 :: v_dual_mov_b32 v57, 0x3ff00000
	s_mov_b32 s35, 0
	s_delay_alu instid0(VALU_DEP_3) | instskip(NEXT) | instid1(VALU_DEP_3)
	v_lshlrev_b32_e32 v52, 3, v51
	v_lshlrev_b32_e32 v1, 8, v50
	v_lshl_add_u32 v56, s33, 5, v50
	s_delay_alu instid0(VALU_DEP_3) | instskip(NEXT) | instid1(VALU_DEP_3)
	v_add_nc_u32_e32 v58, 0x800, v52
	v_add_nc_u32_e32 v53, 0x2000, v1
	;; [unrolled: 1-line block ×4, first 2 shown]
	s_wait_kmcnt 0x0
	s_add_co_i32 s2, s10, -1
	v_add_nc_u32_e32 v60, 0x1800, v52
	s_ashr_i32 s0, s2, 31
	v_add_nc_u32_e32 v55, v53, v52
	s_lshr_b32 s0, s0, 27
	s_mov_b32 s49, s10
	s_add_co_i32 s2, s2, s0
	s_lshl_b64 s[0:1], s[42:43], 3
	s_ashr_i32 s48, s2, 5
	s_mov_b32 s42, s9
	s_cmp_le_i32 s33, s48
	s_add_nc_u64 s[40:41], s[40:41], s[0:1]
	s_cselect_b32 s50, -1, 0
	s_lshl_b32 s51, ttmp9, 5
	s_cmp_gt_i32 ttmp9, -1
	v_add_nc_u32_e32 v2, s51, v51
	s_cselect_b32 s52, -1, 0
	s_cmp_eq_u32 s8, 0x84
	s_cselect_b32 s53, -1, 0
	s_delay_alu instid0(VALU_DEP_1) | instskip(SKIP_3) | instid1(VALU_DEP_4)
	v_ashrrev_i32_e32 v3, 31, v2
	v_add_co_u32 v4, vcc_lo, v2, 16
	v_mul_lo_u32 v22, s21, v2
	v_mad_co_u64_u32 v[16:17], null, s20, v2, 0
	v_add_co_ci_u32_e64 v5, null, 0, v3, vcc_lo
	v_sub_co_u32 v6, vcc_lo, v2, v50
	s_wait_alu 0xfffd
	v_subrev_co_ci_u32_e64 v7, null, 0, v3, vcc_lo
	v_lshlrev_b64_e32 v[10:11], 3, v[2:3]
	s_delay_alu instid0(VALU_DEP_3) | instskip(SKIP_1) | instid1(VALU_DEP_3)
	v_add_co_u32 v8, vcc_lo, v6, 16
	s_wait_alu 0xfffd
	v_add_co_ci_u32_e64 v9, null, 0, v7, vcc_lo
	v_add_co_u32 v12, vcc_lo, v6, -16
	v_mul_lo_u32 v15, s20, v3
	s_lshl_b64 s[4:5], s[26:27], 3
	s_wait_alu 0xfffd
	v_add_co_ci_u32_e64 v13, null, -1, v7, vcc_lo
	v_add_co_u32 v1, vcc_lo, 0x80, v10
	s_add_nc_u64 s[4:5], s[24:25], s[4:5]
	s_wait_alu 0xfffd
	v_add_co_ci_u32_e64 v14, null, 0, v11, vcc_lo
	v_add_co_u32 v23, s4, s4, v52
	s_wait_alu 0xf1ff
	v_add_co_ci_u32_e64 v24, null, s5, 0, s4
	s_lshl_b64 s[4:5], s[18:19], 3
	v_add3_u32 v17, v17, v15, v22
	v_mul_lo_u32 v25, s20, v14
	v_mul_lo_u32 v26, s21, v1
	s_wait_alu 0xfffe
	v_mad_co_u64_u32 v[18:19], null, s20, v1, s[4:5]
	v_lshlrev_b64_e32 v[16:17], 3, v[16:17]
	v_add_co_u32 v14, vcc_lo, 0x80, v23
	s_wait_alu 0xfffd
	v_add_co_ci_u32_e64 v15, null, 0, v24, vcc_lo
	v_add_nc_u32_e32 v20, 16, v2
	v_add3_u32 v1, v26, v19, v25
	v_lshlrev_b32_e32 v19, 3, v50
	v_add_co_u32 v16, vcc_lo, v16, s4
	s_wait_alu 0xfffd
	v_add_co_ci_u32_e64 v17, null, s5, v17, vcc_lo
	s_delay_alu instid0(VALU_DEP_3)
	v_add_co_u32 v18, vcc_lo, v18, v19
	s_wait_alu 0xfffd
	v_add_co_ci_u32_e64 v1, null, 0, v1, vcc_lo
	v_add_co_u32 v19, vcc_lo, v16, v19
	v_ashrrev_i32_e32 v21, 31, v20
	s_wait_alu 0xfffd
	v_add_co_ci_u32_e64 v22, null, 0, v17, vcc_lo
	v_add_co_u32 v16, vcc_lo, s16, v18
	s_ashr_i32 s43, s9, 31
	s_wait_alu 0xfffd
	v_add_co_ci_u32_e64 v17, null, s17, v1, vcc_lo
	v_add_co_u32 v18, vcc_lo, s16, v19
	v_cmp_gt_i32_e64 s2, s9, v20
	v_cmp_le_i64_e64 s3, s[42:43], v[4:5]
	v_lshlrev_b64_e32 v[20:21], 3, v[20:21]
	v_cmp_le_i32_e64 s0, s9, v2
	v_cmp_gt_i32_e64 s1, s9, v2
	s_wait_alu 0xfffd
	v_add_co_ci_u32_e64 v19, null, s17, v22, vcc_lo
	s_ashr_i32 s54, s10, 31
	s_add_nc_u64 s[46:47], s[42:43], -16
	s_lshl_b64 s[18:19], s[38:39], 3
	s_lshl_b64 s[16:17], s[36:37], 3
	;; [unrolled: 1-line block ×3, first 2 shown]
	s_branch .LBB42_4
.LBB42_2:                               ;   in Loop: Header=BB42_4 Depth=1
	s_add_co_i32 s34, s34, 0x10000
	s_wait_alu 0xfffe
	s_cmp_ge_u32 s34, s11
	s_cselect_b32 s4, -1, 0
.LBB42_3:                               ;   in Loop: Header=BB42_4 Depth=1
	s_wait_alu 0xfffe
	s_and_b32 vcc_lo, exec_lo, s4
	s_wait_alu 0xfffe
	s_cbranch_vccnz .LBB42_55
.LBB42_4:                               ; =>This Loop Header: Depth=1
                                        ;     Child Loop BB42_8 Depth 2
                                        ;       Child Loop BB42_11 Depth 3
	s_mul_u64 s[4:5], s[14:15], s[34:35]
	s_wait_alu 0xfffe
	s_lshl_b64 s[4:5], s[4:5], 3
	s_wait_alu 0xfffe
	s_add_nc_u64 s[4:5], s[12:13], s[4:5]
	global_load_b64 v[22:23], v0, s[4:5]
	s_mov_b32 s4, -1
	s_wait_loadcnt 0x0
	v_cmp_eq_f64_e32 vcc_lo, 0, v[22:23]
	s_cbranch_vccnz .LBB42_3
; %bb.5:                                ;   in Loop: Header=BB42_4 Depth=1
	s_and_not1_b32 vcc_lo, exec_lo, s50
	s_wait_alu 0xfffe
	s_cbranch_vccnz .LBB42_2
; %bb.6:                                ;   in Loop: Header=BB42_4 Depth=1
	v_mad_co_u64_u32 v[24:25], null, s18, s34, v[14:15]
	s_load_b32 s9, s[44:45], 0x4
	v_mad_co_u64_u32 v[26:27], null, s20, s34, v[16:17]
	v_mad_co_u64_u32 v[28:29], null, s20, s34, v[18:19]
	s_mul_i32 s6, s21, s34
	v_mov_b32_e32 v1, v25
	s_mul_u64 s[4:5], s[30:31], s[34:35]
	s_mov_b32 s39, s33
	s_wait_alu 0xfffe
	v_add_nc_u32_e32 v27, s6, v27
	s_lshl_b64 s[4:5], s[4:5], 3
	v_mad_co_u64_u32 v[30:31], null, s19, s34, v[1:2]
	v_add_nc_u32_e32 v29, s6, v29
	s_wait_alu 0xfffe
	s_add_nc_u64 s[22:23], s[40:41], s[4:5]
	s_delay_alu instid0(VALU_DEP_2)
	v_dual_mov_b32 v25, v30 :: v_dual_mov_b32 v30, v56
	s_wait_kmcnt 0x0
	s_lshl_b32 s38, s9, 5
	s_branch .LBB42_8
.LBB42_7:                               ;   in Loop: Header=BB42_8 Depth=2
	s_wait_alu 0xfffe
	s_or_b32 exec_lo, exec_lo, s4
	v_add_nc_u32_e32 v30, s38, v30
	s_add_co_i32 s39, s9, s39
	s_wait_alu 0xfffe
	s_cmp_gt_i32 s39, s48
	s_cbranch_scc1 .LBB42_2
.LBB42_8:                               ;   Parent Loop BB42_4 Depth=1
                                        ; =>  This Loop Header: Depth=2
                                        ;       Child Loop BB42_11 Depth 3
	v_lshl_add_u32 v61, s39, 5, v50
	v_mov_b32_e32 v42, 0
	v_dual_mov_b32 v38, 0 :: v_dual_mov_b32 v43, 0
	v_dual_mov_b32 v40, 0 :: v_dual_mov_b32 v39, 0
	;; [unrolled: 1-line block ×3, first 2 shown]
	v_mov_b32_e32 v37, 0
	v_ashrrev_i32_e32 v62, 31, v61
	s_and_not1_b32 vcc_lo, exec_lo, s52
	s_wait_alu 0xfffe
	s_cbranch_vccnz .LBB42_47
; %bb.9:                                ;   in Loop: Header=BB42_8 Depth=2
	v_ashrrev_i32_e32 v31, 31, v30
	v_mad_co_u64_u32 v[32:33], null, s16, v30, v[24:25]
	v_mul_lo_u32 v1, s17, v30
	v_mov_b32_e32 v40, 0
	s_delay_alu instid0(VALU_DEP_4) | instskip(SKIP_4) | instid1(VALU_DEP_4)
	v_lshlrev_b64_e32 v[34:35], 3, v[30:31]
	v_mul_lo_u32 v31, s16, v31
	v_dual_mov_b32 v41, 0 :: v_dual_mov_b32 v42, 0
	v_mov_b32_e32 v43, 0
	s_mov_b64 s[24:25], 0
	v_add_co_u32 v34, vcc_lo, 0x80, v34
	s_wait_alu 0xfffd
	v_add_co_ci_u32_e64 v35, null, 0, v35, vcc_lo
	v_sub_co_u32 v36, vcc_lo, s49, v61
	s_delay_alu instid0(VALU_DEP_3) | instskip(NEXT) | instid1(VALU_DEP_3)
	v_mul_lo_u32 v45, s37, v34
	v_mul_lo_u32 v44, s36, v35
	v_mad_co_u64_u32 v[34:35], null, s36, v34, v[24:25]
	s_wait_alu 0xfffd
	v_sub_co_ci_u32_e64 v37, null, s54, v62, vcc_lo
	v_mov_b32_e32 v38, 0
	v_add3_u32 v33, v1, v33, v31
	v_mov_b32_e32 v39, 0
	s_delay_alu instid0(VALU_DEP_4)
	v_cmp_lt_i64_e32 vcc_lo, 0, v[36:37]
	v_cmp_lt_i64_e64 s4, 16, v[36:37]
	v_mov_b32_e32 v36, 0
	v_mov_b32_e32 v37, 0
	v_add3_u32 v35, v45, v35, v44
	s_mov_b64 s[26:27], 0
	s_branch .LBB42_11
.LBB42_10:                              ;   in Loop: Header=BB42_11 Depth=3
	s_wait_alu 0xfffe
	s_or_b32 exec_lo, exec_lo, s5
	s_wait_dscnt 0x0
	s_barrier_signal -1
	s_barrier_wait -1
	global_inv scope:SCOPE_SE
	ds_load_b128 v[44:47], v53
	ds_load_2addr_b64 v[63:66], v52 offset1:16
	ds_load_b128 v[67:70], v53 offset:4096
	ds_load_b128 v[71:74], v53 offset:16
	ds_load_b128 v[75:78], v53 offset:4112
	s_add_nc_u64 s[26:27], s[26:27], 32
	s_add_nc_u64 s[24:25], s[24:25], 0x100
	s_wait_alu 0xfffe
	s_sub_co_i32 s5, s26, 32
	s_wait_alu 0xfffe
	s_cmp_ge_i32 s5, s51
	s_wait_dscnt 0x3
	v_fma_f64 v[42:43], v[63:64], v[44:45], v[42:43]
	v_fma_f64 v[40:41], v[65:66], v[44:45], v[40:41]
	s_wait_dscnt 0x2
	v_fma_f64 v[44:45], v[63:64], v[67:68], v[38:39]
	v_fma_f64 v[48:49], v[65:66], v[67:68], v[36:37]
	ds_load_2addr_b64 v[36:39], v52 offset0:32 offset1:48
	s_wait_dscnt 0x0
	v_fma_f64 v[42:43], v[36:37], v[46:47], v[42:43]
	v_fma_f64 v[40:41], v[38:39], v[46:47], v[40:41]
	v_fma_f64 v[44:45], v[36:37], v[69:70], v[44:45]
	v_fma_f64 v[46:47], v[38:39], v[69:70], v[48:49]
	ds_load_2addr_b64 v[36:39], v52 offset0:64 offset1:80
	s_wait_dscnt 0x0
	v_fma_f64 v[42:43], v[36:37], v[71:72], v[42:43]
	v_fma_f64 v[40:41], v[38:39], v[71:72], v[40:41]
	v_fma_f64 v[44:45], v[36:37], v[75:76], v[44:45]
	v_fma_f64 v[46:47], v[38:39], v[75:76], v[46:47]
	ds_load_2addr_b64 v[36:39], v52 offset0:96 offset1:112
	s_wait_dscnt 0x0
	v_fma_f64 v[48:49], v[36:37], v[73:74], v[42:43]
	v_fma_f64 v[71:72], v[38:39], v[73:74], v[40:41]
	v_fma_f64 v[73:74], v[36:37], v[77:78], v[44:45]
	v_fma_f64 v[75:76], v[38:39], v[77:78], v[46:47]
	ds_load_b128 v[36:39], v53 offset:32
	ds_load_2addr_b64 v[40:43], v52 offset0:128 offset1:144
	ds_load_b128 v[44:47], v53 offset:4128
	ds_load_b128 v[63:66], v53 offset:48
	ds_load_b128 v[67:70], v53 offset:4144
	s_wait_dscnt 0x3
	v_fma_f64 v[48:49], v[40:41], v[36:37], v[48:49]
	v_fma_f64 v[36:37], v[42:43], v[36:37], v[71:72]
	s_wait_dscnt 0x2
	v_fma_f64 v[71:72], v[40:41], v[44:45], v[73:74]
	v_fma_f64 v[44:45], v[42:43], v[44:45], v[75:76]
	ds_load_2addr_b64 v[40:43], v52 offset0:160 offset1:176
	s_wait_dscnt 0x0
	v_fma_f64 v[48:49], v[40:41], v[38:39], v[48:49]
	v_fma_f64 v[73:74], v[42:43], v[38:39], v[36:37]
	v_fma_f64 v[40:41], v[40:41], v[46:47], v[71:72]
	v_fma_f64 v[42:43], v[42:43], v[46:47], v[44:45]
	ds_load_2addr_b64 v[36:39], v52 offset0:192 offset1:208
	s_wait_dscnt 0x0
	v_fma_f64 v[44:45], v[36:37], v[63:64], v[48:49]
	v_fma_f64 v[46:47], v[38:39], v[63:64], v[73:74]
	v_fma_f64 v[40:41], v[36:37], v[67:68], v[40:41]
	v_fma_f64 v[42:43], v[38:39], v[67:68], v[42:43]
	ds_load_2addr_b64 v[36:39], v52 offset0:224 offset1:240
	s_wait_dscnt 0x0
	v_fma_f64 v[48:49], v[36:37], v[65:66], v[44:45]
	v_fma_f64 v[71:72], v[38:39], v[65:66], v[46:47]
	v_fma_f64 v[73:74], v[36:37], v[69:70], v[40:41]
	v_fma_f64 v[75:76], v[38:39], v[69:70], v[42:43]
	ds_load_b128 v[36:39], v53 offset:64
	ds_load_2addr_b64 v[40:43], v58 offset1:16
	ds_load_b128 v[44:47], v53 offset:4160
	ds_load_b128 v[63:66], v53 offset:80
	ds_load_b128 v[67:70], v53 offset:4176
	s_wait_dscnt 0x3
	v_fma_f64 v[48:49], v[40:41], v[36:37], v[48:49]
	v_fma_f64 v[36:37], v[42:43], v[36:37], v[71:72]
	s_wait_dscnt 0x2
	v_fma_f64 v[71:72], v[40:41], v[44:45], v[73:74]
	v_fma_f64 v[44:45], v[42:43], v[44:45], v[75:76]
	ds_load_2addr_b64 v[40:43], v58 offset0:32 offset1:48
	s_wait_dscnt 0x0
	v_fma_f64 v[48:49], v[40:41], v[38:39], v[48:49]
	v_fma_f64 v[73:74], v[42:43], v[38:39], v[36:37]
	v_fma_f64 v[40:41], v[40:41], v[46:47], v[71:72]
	v_fma_f64 v[42:43], v[42:43], v[46:47], v[44:45]
	ds_load_2addr_b64 v[36:39], v58 offset0:64 offset1:80
	s_wait_dscnt 0x0
	v_fma_f64 v[44:45], v[36:37], v[63:64], v[48:49]
	v_fma_f64 v[46:47], v[38:39], v[63:64], v[73:74]
	v_fma_f64 v[40:41], v[36:37], v[67:68], v[40:41]
	v_fma_f64 v[42:43], v[38:39], v[67:68], v[42:43]
	ds_load_2addr_b64 v[36:39], v58 offset0:96 offset1:112
	s_wait_dscnt 0x0
	v_fma_f64 v[48:49], v[36:37], v[65:66], v[44:45]
	v_fma_f64 v[71:72], v[38:39], v[65:66], v[46:47]
	v_fma_f64 v[73:74], v[36:37], v[69:70], v[40:41]
	v_fma_f64 v[75:76], v[38:39], v[69:70], v[42:43]
	ds_load_b128 v[36:39], v53 offset:96
	ds_load_2addr_b64 v[40:43], v58 offset0:128 offset1:144
	ds_load_b128 v[44:47], v53 offset:4192
	ds_load_b128 v[63:66], v53 offset:112
	ds_load_b128 v[67:70], v53 offset:4208
	s_wait_dscnt 0x3
	v_fma_f64 v[48:49], v[40:41], v[36:37], v[48:49]
	v_fma_f64 v[36:37], v[42:43], v[36:37], v[71:72]
	s_wait_dscnt 0x2
	v_fma_f64 v[71:72], v[40:41], v[44:45], v[73:74]
	v_fma_f64 v[44:45], v[42:43], v[44:45], v[75:76]
	ds_load_2addr_b64 v[40:43], v58 offset0:160 offset1:176
	s_wait_dscnt 0x0
	v_fma_f64 v[48:49], v[40:41], v[38:39], v[48:49]
	v_fma_f64 v[73:74], v[42:43], v[38:39], v[36:37]
	v_fma_f64 v[40:41], v[40:41], v[46:47], v[71:72]
	v_fma_f64 v[42:43], v[42:43], v[46:47], v[44:45]
	ds_load_2addr_b64 v[36:39], v58 offset0:192 offset1:208
	s_wait_dscnt 0x0
	v_fma_f64 v[44:45], v[36:37], v[63:64], v[48:49]
	v_fma_f64 v[46:47], v[38:39], v[63:64], v[73:74]
	v_fma_f64 v[40:41], v[36:37], v[67:68], v[40:41]
	v_fma_f64 v[42:43], v[38:39], v[67:68], v[42:43]
	ds_load_2addr_b64 v[36:39], v58 offset0:224 offset1:240
	s_wait_dscnt 0x0
	v_fma_f64 v[48:49], v[36:37], v[65:66], v[44:45]
	v_fma_f64 v[71:72], v[38:39], v[65:66], v[46:47]
	v_fma_f64 v[73:74], v[36:37], v[69:70], v[40:41]
	v_fma_f64 v[75:76], v[38:39], v[69:70], v[42:43]
	ds_load_b128 v[36:39], v53 offset:128
	ds_load_2addr_b64 v[40:43], v59 offset1:16
	ds_load_b128 v[44:47], v53 offset:4224
	ds_load_b128 v[63:66], v53 offset:144
	ds_load_b128 v[67:70], v53 offset:4240
	;; [unrolled: 58-line block ×3, first 2 shown]
	s_wait_dscnt 0x3
	v_fma_f64 v[48:49], v[40:41], v[36:37], v[48:49]
	v_fma_f64 v[36:37], v[42:43], v[36:37], v[71:72]
	s_wait_dscnt 0x2
	v_fma_f64 v[71:72], v[40:41], v[44:45], v[73:74]
	v_fma_f64 v[44:45], v[42:43], v[44:45], v[75:76]
	ds_load_2addr_b64 v[40:43], v60 offset0:32 offset1:48
	s_wait_dscnt 0x0
	v_fma_f64 v[48:49], v[40:41], v[38:39], v[48:49]
	v_fma_f64 v[73:74], v[42:43], v[38:39], v[36:37]
	v_fma_f64 v[40:41], v[40:41], v[46:47], v[71:72]
	v_fma_f64 v[42:43], v[42:43], v[46:47], v[44:45]
	ds_load_2addr_b64 v[36:39], v60 offset0:64 offset1:80
	s_wait_dscnt 0x0
	v_fma_f64 v[44:45], v[36:37], v[63:64], v[48:49]
	v_fma_f64 v[46:47], v[38:39], v[63:64], v[73:74]
	;; [unrolled: 6-line block ×3, first 2 shown]
	v_fma_f64 v[73:74], v[36:37], v[69:70], v[40:41]
	v_fma_f64 v[75:76], v[38:39], v[69:70], v[42:43]
	ds_load_b128 v[36:39], v53 offset:224
	ds_load_2addr_b64 v[40:43], v60 offset0:128 offset1:144
	ds_load_b128 v[44:47], v53 offset:4320
	ds_load_b128 v[63:66], v53 offset:240
	;; [unrolled: 1-line block ×3, first 2 shown]
	s_wait_dscnt 0x3
	v_fma_f64 v[48:49], v[40:41], v[36:37], v[48:49]
	v_fma_f64 v[36:37], v[42:43], v[36:37], v[71:72]
	s_wait_dscnt 0x2
	v_fma_f64 v[71:72], v[40:41], v[44:45], v[73:74]
	v_fma_f64 v[44:45], v[42:43], v[44:45], v[75:76]
	ds_load_2addr_b64 v[40:43], v60 offset0:160 offset1:176
	s_wait_dscnt 0x0
	v_fma_f64 v[48:49], v[40:41], v[38:39], v[48:49]
	v_fma_f64 v[73:74], v[42:43], v[38:39], v[36:37]
	;; [unrolled: 1-line block ×4, first 2 shown]
	ds_load_2addr_b64 v[36:39], v60 offset0:192 offset1:208
	ds_load_2addr_b64 v[44:47], v60 offset0:224 offset1:240
	s_wait_loadcnt_dscnt 0x0
	s_barrier_signal -1
	s_barrier_wait -1
	global_inv scope:SCOPE_SE
	v_fma_f64 v[48:49], v[36:37], v[63:64], v[48:49]
	v_fma_f64 v[63:64], v[38:39], v[63:64], v[73:74]
	;; [unrolled: 1-line block ×4, first 2 shown]
	s_delay_alu instid0(VALU_DEP_4) | instskip(NEXT) | instid1(VALU_DEP_4)
	v_fma_f64 v[42:43], v[44:45], v[65:66], v[48:49]
	v_fma_f64 v[40:41], v[46:47], v[65:66], v[63:64]
	s_delay_alu instid0(VALU_DEP_4) | instskip(NEXT) | instid1(VALU_DEP_4)
	v_fma_f64 v[38:39], v[44:45], v[69:70], v[36:37]
	v_fma_f64 v[36:37], v[46:47], v[69:70], v[67:68]
	s_cbranch_scc1 .LBB42_47
.LBB42_11:                              ;   Parent Loop BB42_4 Depth=1
                                        ;     Parent Loop BB42_8 Depth=2
                                        ; =>    This Inner Loop Header: Depth=3
	s_wait_alu 0xfffe
	v_add_co_u32 v46, s5, v50, s26
	s_wait_alu 0xf1ff
	v_add_co_ci_u32_e64 v47, null, 0, s27, s5
	v_cmp_eq_u64_e64 s7, s[26:27], v[6:7]
                                        ; implicit-def: $vgpr48_vgpr49
	s_delay_alu instid0(VALU_DEP_2)
	v_cmp_le_i64_e64 s6, s[42:43], v[46:47]
	v_cmp_gt_i64_e64 s5, v[46:47], v[2:3]
	s_and_b32 s55, s53, s7
	v_add_co_u32 v44, s7, v28, s24
	s_wait_alu 0xf1ff
	v_add_co_ci_u32_e64 v45, null, s25, v29, s7
	s_or_b32 s8, s6, s5
	s_wait_alu 0xfffe
	s_or_b32 s7, s8, s55
	s_wait_alu 0xfffe
	s_nor_b32 s7, s0, s7
	s_wait_alu 0xfffe
	s_and_saveexec_b32 s8, s7
	s_wait_alu 0xfffe
	s_xor_b32 s7, exec_lo, s8
	s_cbranch_execz .LBB42_13
; %bb.12:                               ;   in Loop: Header=BB42_11 Depth=3
	global_load_b64 v[48:49], v[44:45], off
.LBB42_13:                              ;   in Loop: Header=BB42_11 Depth=3
	s_wait_alu 0xfffe
	s_and_not1_saveexec_b32 s7, s7
	s_cbranch_execz .LBB42_15
; %bb.14:                               ;   in Loop: Header=BB42_11 Depth=3
	v_cndmask_b32_e64 v1, 0, 0x3ff00000, s55
	s_wait_loadcnt 0x0
	s_delay_alu instid0(VALU_DEP_1)
	v_dual_mov_b32 v49, v1 :: v_dual_mov_b32 v48, v0
.LBB42_15:                              ;   in Loop: Header=BB42_11 Depth=3
	s_wait_alu 0xfffe
	s_or_b32 exec_lo, exec_lo, s7
	v_cmp_eq_u64_e64 s7, s[26:27], v[8:9]
	v_cmp_lt_i64_e64 s8, v[4:5], v[46:47]
	s_wait_loadcnt 0x0
	ds_store_b64 v54, v[48:49]
	s_and_b32 s7, s53, s7
	s_or_b32 s6, s6, s8
	s_wait_alu 0xfffe
	s_or_b32 s6, s6, s7
	s_wait_alu 0xfffe
	s_nor_b32 s6, s3, s6
	s_wait_alu 0xfffe
	s_and_saveexec_b32 s8, s6
	s_wait_alu 0xfffe
	s_xor_b32 s8, exec_lo, s8
	s_cbranch_execz .LBB42_17
; %bb.16:                               ;   in Loop: Header=BB42_11 Depth=3
	v_add_co_u32 v48, s6, v26, s24
	s_wait_alu 0xf1ff
	v_add_co_ci_u32_e64 v49, null, s25, v27, s6
	global_load_b64 v[48:49], v[48:49], off
	s_wait_loadcnt 0x0
	ds_store_b64 v54, v[48:49] offset:128
.LBB42_17:                              ;   in Loop: Header=BB42_11 Depth=3
	s_wait_alu 0xfffe
	s_and_not1_saveexec_b32 s6, s8
	s_cbranch_execz .LBB42_23
; %bb.18:                               ;   in Loop: Header=BB42_11 Depth=3
	s_xor_b32 s7, s7, -1
	s_wait_alu 0xfffe
	s_and_saveexec_b32 s8, s7
	s_wait_alu 0xfffe
	s_xor_b32 s7, exec_lo, s8
; %bb.19:                               ;   in Loop: Header=BB42_11 Depth=3
	v_mov_b32_e32 v1, v0
	ds_store_b64 v54, v[0:1] offset:128
; %bb.20:                               ;   in Loop: Header=BB42_11 Depth=3
	s_wait_alu 0xfffe
	s_and_not1_saveexec_b32 s7, s7
; %bb.21:                               ;   in Loop: Header=BB42_11 Depth=3
	v_mov_b32_e32 v1, v57
	ds_store_b64 v54, v[0:1] offset:128
; %bb.22:                               ;   in Loop: Header=BB42_11 Depth=3
	s_wait_alu 0xfffe
	s_or_b32 exec_lo, exec_lo, s7
.LBB42_23:                              ;   in Loop: Header=BB42_11 Depth=3
	s_wait_alu 0xfffe
	s_or_b32 exec_lo, exec_lo, s6
	v_add_co_u32 v46, s6, v46, 16
	s_wait_alu 0xf1ff
	v_add_co_ci_u32_e64 v47, null, 0, v47, s6
	v_cmp_eq_u64_e64 s7, s[26:27], v[12:13]
	s_delay_alu instid0(VALU_DEP_2)
	v_cmp_le_i64_e64 s6, s[42:43], v[46:47]
	v_cmp_gt_i64_e64 s8, v[46:47], v[2:3]
                                        ; implicit-def: $vgpr46_vgpr47
	s_and_b32 s7, s53, s7
	s_or_b32 s8, s6, s8
	s_wait_alu 0xfffe
	s_or_b32 s8, s8, s7
	s_wait_alu 0xfffe
	s_nor_b32 s8, s0, s8
	s_wait_alu 0xfffe
	s_and_saveexec_b32 s56, s8
	s_delay_alu instid0(SALU_CYCLE_1)
	s_xor_b32 s8, exec_lo, s56
	s_cbranch_execz .LBB42_25
; %bb.24:                               ;   in Loop: Header=BB42_11 Depth=3
	global_load_b64 v[46:47], v[44:45], off offset:128
.LBB42_25:                              ;   in Loop: Header=BB42_11 Depth=3
	s_wait_alu 0xfffe
	s_and_not1_saveexec_b32 s8, s8
	s_cbranch_execz .LBB42_27
; %bb.26:                               ;   in Loop: Header=BB42_11 Depth=3
	v_cndmask_b32_e64 v1, 0, 0x3ff00000, s7
	s_wait_loadcnt 0x0
	s_delay_alu instid0(VALU_DEP_1)
	v_dual_mov_b32 v47, v1 :: v_dual_mov_b32 v46, v0
.LBB42_27:                              ;   in Loop: Header=BB42_11 Depth=3
	s_wait_alu 0xfffe
	s_or_b32 exec_lo, exec_lo, s8
	s_or_b32 s5, s6, s5
	s_wait_loadcnt 0x0
	ds_store_b64 v54, v[46:47] offset:4096
	s_wait_alu 0xfffe
	s_or_b32 s5, s5, s55
	s_wait_alu 0xfffe
	s_nor_b32 s5, s3, s5
	s_wait_alu 0xfffe
	s_and_saveexec_b32 s6, s5
	s_wait_alu 0xfffe
	s_xor_b32 s6, exec_lo, s6
	s_cbranch_execz .LBB42_29
; %bb.28:                               ;   in Loop: Header=BB42_11 Depth=3
	v_add_co_u32 v44, s5, v26, s24
	s_wait_alu 0xf1ff
	v_add_co_ci_u32_e64 v45, null, s25, v27, s5
	global_load_b64 v[44:45], v[44:45], off offset:128
	s_wait_loadcnt 0x0
	ds_store_b64 v54, v[44:45] offset:4224
.LBB42_29:                              ;   in Loop: Header=BB42_11 Depth=3
	s_wait_alu 0xfffe
	s_and_not1_saveexec_b32 s5, s6
	s_cbranch_execz .LBB42_35
; %bb.30:                               ;   in Loop: Header=BB42_11 Depth=3
	s_xor_b32 s6, s55, -1
	s_wait_alu 0xfffe
	s_and_saveexec_b32 s7, s6
	s_wait_alu 0xfffe
	s_xor_b32 s6, exec_lo, s7
; %bb.31:                               ;   in Loop: Header=BB42_11 Depth=3
	v_mov_b32_e32 v1, v0
	ds_store_b64 v54, v[0:1] offset:4224
; %bb.32:                               ;   in Loop: Header=BB42_11 Depth=3
	s_wait_alu 0xfffe
	s_and_not1_saveexec_b32 s6, s6
; %bb.33:                               ;   in Loop: Header=BB42_11 Depth=3
	v_mov_b32_e32 v1, v57
	ds_store_b64 v54, v[0:1] offset:4224
; %bb.34:                               ;   in Loop: Header=BB42_11 Depth=3
	s_wait_alu 0xfffe
	s_or_b32 exec_lo, exec_lo, s6
.LBB42_35:                              ;   in Loop: Header=BB42_11 Depth=3
	s_wait_alu 0xfffe
	s_or_b32 exec_lo, exec_lo, s5
	v_add_co_u32 v46, s5, v51, s26
	s_wait_alu 0xf1ff
	v_add_co_ci_u32_e64 v47, null, 0, s27, s5
	v_add_co_u32 v44, s6, v32, s24
	v_mov_b32_e32 v48, 0
	s_delay_alu instid0(VALU_DEP_3)
	v_cmp_gt_i64_e64 s5, s[42:43], v[46:47]
	v_mov_b32_e32 v49, 0
	s_wait_alu 0xf1ff
	v_add_co_ci_u32_e64 v45, null, s25, v33, s6
	s_and_b32 s7, vcc_lo, s5
	s_wait_alu 0xfffe
	s_and_saveexec_b32 s6, s7
	s_cbranch_execz .LBB42_37
; %bb.36:                               ;   in Loop: Header=BB42_11 Depth=3
	global_load_b64 v[48:49], v[44:45], off offset:-128
.LBB42_37:                              ;   in Loop: Header=BB42_11 Depth=3
	s_wait_alu 0xfffe
	s_or_b32 exec_lo, exec_lo, s6
	v_cmp_gt_i64_e64 s6, s[46:47], v[46:47]
	s_wait_loadcnt 0x0
	ds_store_b64 v55, v[48:49]
	s_and_b32 s7, vcc_lo, s6
	s_wait_alu 0xfffe
	s_xor_b32 s7, s7, -1
	s_wait_alu 0xfffe
	s_and_saveexec_b32 s8, s7
	s_wait_alu 0xfffe
	s_xor_b32 s7, exec_lo, s8
; %bb.38:                               ;   in Loop: Header=BB42_11 Depth=3
	v_mov_b32_e32 v1, v0
                                        ; implicit-def: $vgpr44_vgpr45
	ds_store_b64 v55, v[0:1] offset:128
; %bb.39:                               ;   in Loop: Header=BB42_11 Depth=3
	s_wait_alu 0xfffe
	s_and_not1_saveexec_b32 s7, s7
	s_cbranch_execz .LBB42_41
; %bb.40:                               ;   in Loop: Header=BB42_11 Depth=3
	global_load_b64 v[44:45], v[44:45], off
	s_wait_loadcnt 0x0
	ds_store_b64 v55, v[44:45] offset:128
.LBB42_41:                              ;   in Loop: Header=BB42_11 Depth=3
	s_wait_alu 0xfffe
	s_or_b32 exec_lo, exec_lo, s7
	v_add_co_u32 v44, s7, v34, s24
	v_mov_b32_e32 v46, 0
	v_mov_b32_e32 v47, 0
	s_wait_alu 0xf1ff
	v_add_co_ci_u32_e64 v45, null, s25, v35, s7
	s_and_b32 s7, s4, s5
	s_wait_alu 0xfffe
	s_and_saveexec_b32 s5, s7
	s_cbranch_execz .LBB42_43
; %bb.42:                               ;   in Loop: Header=BB42_11 Depth=3
	global_load_b64 v[46:47], v[44:45], off offset:-128
.LBB42_43:                              ;   in Loop: Header=BB42_11 Depth=3
	s_wait_alu 0xfffe
	s_or_b32 exec_lo, exec_lo, s5
	s_and_b32 s5, s4, s6
	s_wait_loadcnt 0x0
	ds_store_b64 v55, v[46:47] offset:4096
	s_wait_alu 0xfffe
	s_xor_b32 s5, s5, -1
	s_wait_alu 0xfffe
	s_and_saveexec_b32 s6, s5
	s_wait_alu 0xfffe
	s_xor_b32 s5, exec_lo, s6
; %bb.44:                               ;   in Loop: Header=BB42_11 Depth=3
	v_mov_b32_e32 v1, v0
                                        ; implicit-def: $vgpr44_vgpr45
	ds_store_b64 v55, v[0:1] offset:4224
; %bb.45:                               ;   in Loop: Header=BB42_11 Depth=3
	s_wait_alu 0xfffe
	s_and_not1_saveexec_b32 s5, s5
	s_cbranch_execz .LBB42_10
; %bb.46:                               ;   in Loop: Header=BB42_11 Depth=3
	global_load_b64 v[44:45], v[44:45], off
	s_wait_loadcnt 0x0
	ds_store_b64 v55, v[44:45] offset:4224
	s_branch .LBB42_10
.LBB42_47:                              ;   in Loop: Header=BB42_8 Depth=2
	v_mul_lo_u32 v1, s29, v61
	v_mul_lo_u32 v33, s28, v62
	v_mad_co_u64_u32 v[31:32], null, s28, v61, 0
	v_cmp_gt_i32_e32 vcc_lo, s10, v61
	s_delay_alu instid0(VALU_DEP_2) | instskip(NEXT) | instid1(VALU_DEP_1)
	v_add3_u32 v32, v32, v33, v1
	v_lshlrev_b64_e32 v[31:32], 3, v[31:32]
	s_delay_alu instid0(VALU_DEP_1) | instskip(SKIP_1) | instid1(VALU_DEP_2)
	v_add_co_u32 v1, s4, s22, v31
	s_wait_alu 0xf1ff
	v_add_co_ci_u32_e64 v31, null, s23, v32, s4
	s_and_b32 s4, s1, vcc_lo
	s_wait_alu 0xfffe
	s_and_saveexec_b32 s5, s4
	s_cbranch_execz .LBB42_49
; %bb.48:                               ;   in Loop: Header=BB42_8 Depth=2
	v_add_co_u32 v32, s4, v1, v10
	s_wait_alu 0xf1ff
	v_add_co_ci_u32_e64 v33, null, v31, v11, s4
	global_load_b64 v[34:35], v[32:33], off
	s_wait_loadcnt 0x0
	v_fma_f64 v[34:35], v[22:23], v[42:43], v[34:35]
	global_store_b64 v[32:33], v[34:35], off
.LBB42_49:                              ;   in Loop: Header=BB42_8 Depth=2
	s_wait_alu 0xfffe
	s_or_b32 exec_lo, exec_lo, s5
	s_and_b32 s5, s2, vcc_lo
	s_wait_alu 0xfffe
	s_and_saveexec_b32 s4, s5
	s_cbranch_execz .LBB42_51
; %bb.50:                               ;   in Loop: Header=BB42_8 Depth=2
	v_add_co_u32 v32, vcc_lo, v1, v20
	s_wait_alu 0xfffd
	v_add_co_ci_u32_e64 v33, null, v31, v21, vcc_lo
	global_load_b64 v[34:35], v[32:33], off
	s_wait_loadcnt 0x0
	v_fma_f64 v[34:35], v[22:23], v[40:41], v[34:35]
	global_store_b64 v[32:33], v[34:35], off
.LBB42_51:                              ;   in Loop: Header=BB42_8 Depth=2
	s_wait_alu 0xfffe
	s_or_b32 exec_lo, exec_lo, s4
	v_add_nc_u32_e32 v1, 16, v61
	s_delay_alu instid0(VALU_DEP_1) | instskip(SKIP_3) | instid1(VALU_DEP_4)
	v_ashrrev_i32_e32 v33, 31, v1
	v_mul_lo_u32 v34, s29, v1
	v_mad_co_u64_u32 v[31:32], null, s28, v1, 0
	v_cmp_gt_i32_e32 vcc_lo, s10, v1
	v_mul_lo_u32 v33, s28, v33
	s_delay_alu instid0(VALU_DEP_1) | instskip(NEXT) | instid1(VALU_DEP_1)
	v_add3_u32 v32, v32, v33, v34
	v_lshlrev_b64_e32 v[31:32], 3, v[31:32]
	s_delay_alu instid0(VALU_DEP_1) | instskip(SKIP_1) | instid1(VALU_DEP_2)
	v_add_co_u32 v1, s4, s22, v31
	s_wait_alu 0xf1ff
	v_add_co_ci_u32_e64 v31, null, s23, v32, s4
	s_and_b32 s4, s1, vcc_lo
	s_wait_alu 0xfffe
	s_and_saveexec_b32 s5, s4
	s_cbranch_execz .LBB42_53
; %bb.52:                               ;   in Loop: Header=BB42_8 Depth=2
	v_add_co_u32 v32, s4, v1, v10
	s_wait_alu 0xf1ff
	v_add_co_ci_u32_e64 v33, null, v31, v11, s4
	global_load_b64 v[34:35], v[32:33], off
	s_wait_loadcnt 0x0
	v_fma_f64 v[34:35], v[22:23], v[38:39], v[34:35]
	global_store_b64 v[32:33], v[34:35], off
.LBB42_53:                              ;   in Loop: Header=BB42_8 Depth=2
	s_wait_alu 0xfffe
	s_or_b32 exec_lo, exec_lo, s5
	s_and_b32 s5, s2, vcc_lo
	s_wait_alu 0xfffe
	s_and_saveexec_b32 s4, s5
	s_cbranch_execz .LBB42_7
; %bb.54:                               ;   in Loop: Header=BB42_8 Depth=2
	v_add_co_u32 v32, vcc_lo, v1, v20
	s_wait_alu 0xfffd
	v_add_co_ci_u32_e64 v33, null, v31, v21, vcc_lo
	global_load_b64 v[34:35], v[32:33], off
	s_wait_loadcnt 0x0
	v_fma_f64 v[34:35], v[22:23], v[36:37], v[34:35]
	global_store_b64 v[32:33], v[34:35], off
	s_branch .LBB42_7
.LBB42_55:
	s_endpgm
	.section	.rodata,"a",@progbits
	.p2align	6, 0x0
	.amdhsa_kernel _ZL30rocblas_trmm_outofplace_kernelIdLi32ELi2ELb1ELb1ELb1ELb0EPKdS0_dEv17rocblas_diagonal_iiT6_lPT7_lllS5_lllPT8_llli
		.amdhsa_group_segment_fixed_size 16384
		.amdhsa_private_segment_fixed_size 0
		.amdhsa_kernarg_size 392
		.amdhsa_user_sgpr_count 2
		.amdhsa_user_sgpr_dispatch_ptr 0
		.amdhsa_user_sgpr_queue_ptr 0
		.amdhsa_user_sgpr_kernarg_segment_ptr 1
		.amdhsa_user_sgpr_dispatch_id 0
		.amdhsa_user_sgpr_private_segment_size 0
		.amdhsa_wavefront_size32 1
		.amdhsa_uses_dynamic_stack 0
		.amdhsa_enable_private_segment 0
		.amdhsa_system_sgpr_workgroup_id_x 1
		.amdhsa_system_sgpr_workgroup_id_y 1
		.amdhsa_system_sgpr_workgroup_id_z 1
		.amdhsa_system_sgpr_workgroup_info 0
		.amdhsa_system_vgpr_workitem_id 1
		.amdhsa_next_free_vgpr 79
		.amdhsa_next_free_sgpr 57
		.amdhsa_reserve_vcc 1
		.amdhsa_float_round_mode_32 0
		.amdhsa_float_round_mode_16_64 0
		.amdhsa_float_denorm_mode_32 3
		.amdhsa_float_denorm_mode_16_64 3
		.amdhsa_fp16_overflow 0
		.amdhsa_workgroup_processor_mode 1
		.amdhsa_memory_ordered 1
		.amdhsa_forward_progress 1
		.amdhsa_inst_pref_size 35
		.amdhsa_round_robin_scheduling 0
		.amdhsa_exception_fp_ieee_invalid_op 0
		.amdhsa_exception_fp_denorm_src 0
		.amdhsa_exception_fp_ieee_div_zero 0
		.amdhsa_exception_fp_ieee_overflow 0
		.amdhsa_exception_fp_ieee_underflow 0
		.amdhsa_exception_fp_ieee_inexact 0
		.amdhsa_exception_int_div_zero 0
	.end_amdhsa_kernel
	.section	.text._ZL30rocblas_trmm_outofplace_kernelIdLi32ELi2ELb1ELb1ELb1ELb0EPKdS0_dEv17rocblas_diagonal_iiT6_lPT7_lllS5_lllPT8_llli,"axG",@progbits,_ZL30rocblas_trmm_outofplace_kernelIdLi32ELi2ELb1ELb1ELb1ELb0EPKdS0_dEv17rocblas_diagonal_iiT6_lPT7_lllS5_lllPT8_llli,comdat
.Lfunc_end42:
	.size	_ZL30rocblas_trmm_outofplace_kernelIdLi32ELi2ELb1ELb1ELb1ELb0EPKdS0_dEv17rocblas_diagonal_iiT6_lPT7_lllS5_lllPT8_llli, .Lfunc_end42-_ZL30rocblas_trmm_outofplace_kernelIdLi32ELi2ELb1ELb1ELb1ELb0EPKdS0_dEv17rocblas_diagonal_iiT6_lPT7_lllS5_lllPT8_llli
                                        ; -- End function
	.set _ZL30rocblas_trmm_outofplace_kernelIdLi32ELi2ELb1ELb1ELb1ELb0EPKdS0_dEv17rocblas_diagonal_iiT6_lPT7_lllS5_lllPT8_llli.num_vgpr, 79
	.set _ZL30rocblas_trmm_outofplace_kernelIdLi32ELi2ELb1ELb1ELb1ELb0EPKdS0_dEv17rocblas_diagonal_iiT6_lPT7_lllS5_lllPT8_llli.num_agpr, 0
	.set _ZL30rocblas_trmm_outofplace_kernelIdLi32ELi2ELb1ELb1ELb1ELb0EPKdS0_dEv17rocblas_diagonal_iiT6_lPT7_lllS5_lllPT8_llli.numbered_sgpr, 57
	.set _ZL30rocblas_trmm_outofplace_kernelIdLi32ELi2ELb1ELb1ELb1ELb0EPKdS0_dEv17rocblas_diagonal_iiT6_lPT7_lllS5_lllPT8_llli.num_named_barrier, 0
	.set _ZL30rocblas_trmm_outofplace_kernelIdLi32ELi2ELb1ELb1ELb1ELb0EPKdS0_dEv17rocblas_diagonal_iiT6_lPT7_lllS5_lllPT8_llli.private_seg_size, 0
	.set _ZL30rocblas_trmm_outofplace_kernelIdLi32ELi2ELb1ELb1ELb1ELb0EPKdS0_dEv17rocblas_diagonal_iiT6_lPT7_lllS5_lllPT8_llli.uses_vcc, 1
	.set _ZL30rocblas_trmm_outofplace_kernelIdLi32ELi2ELb1ELb1ELb1ELb0EPKdS0_dEv17rocblas_diagonal_iiT6_lPT7_lllS5_lllPT8_llli.uses_flat_scratch, 0
	.set _ZL30rocblas_trmm_outofplace_kernelIdLi32ELi2ELb1ELb1ELb1ELb0EPKdS0_dEv17rocblas_diagonal_iiT6_lPT7_lllS5_lllPT8_llli.has_dyn_sized_stack, 0
	.set _ZL30rocblas_trmm_outofplace_kernelIdLi32ELi2ELb1ELb1ELb1ELb0EPKdS0_dEv17rocblas_diagonal_iiT6_lPT7_lllS5_lllPT8_llli.has_recursion, 0
	.set _ZL30rocblas_trmm_outofplace_kernelIdLi32ELi2ELb1ELb1ELb1ELb0EPKdS0_dEv17rocblas_diagonal_iiT6_lPT7_lllS5_lllPT8_llli.has_indirect_call, 0
	.section	.AMDGPU.csdata,"",@progbits
; Kernel info:
; codeLenInByte = 4448
; TotalNumSgprs: 59
; NumVgprs: 79
; ScratchSize: 0
; MemoryBound: 0
; FloatMode: 240
; IeeeMode: 1
; LDSByteSize: 16384 bytes/workgroup (compile time only)
; SGPRBlocks: 0
; VGPRBlocks: 9
; NumSGPRsForWavesPerEU: 59
; NumVGPRsForWavesPerEU: 79
; Occupancy: 16
; WaveLimiterHint : 0
; COMPUTE_PGM_RSRC2:SCRATCH_EN: 0
; COMPUTE_PGM_RSRC2:USER_SGPR: 2
; COMPUTE_PGM_RSRC2:TRAP_HANDLER: 0
; COMPUTE_PGM_RSRC2:TGID_X_EN: 1
; COMPUTE_PGM_RSRC2:TGID_Y_EN: 1
; COMPUTE_PGM_RSRC2:TGID_Z_EN: 1
; COMPUTE_PGM_RSRC2:TIDIG_COMP_CNT: 1
	.section	.text._ZL30rocblas_trmm_outofplace_kernelIdLi32ELi2ELb1ELb1ELb1ELb0EdKddEv17rocblas_diagonal_iiT6_lPT7_lllS4_lllPT8_llli,"axG",@progbits,_ZL30rocblas_trmm_outofplace_kernelIdLi32ELi2ELb1ELb1ELb1ELb0EdKddEv17rocblas_diagonal_iiT6_lPT7_lllS4_lllPT8_llli,comdat
	.globl	_ZL30rocblas_trmm_outofplace_kernelIdLi32ELi2ELb1ELb1ELb1ELb0EdKddEv17rocblas_diagonal_iiT6_lPT7_lllS4_lllPT8_llli ; -- Begin function _ZL30rocblas_trmm_outofplace_kernelIdLi32ELi2ELb1ELb1ELb1ELb0EdKddEv17rocblas_diagonal_iiT6_lPT7_lllS4_lllPT8_llli
	.p2align	8
	.type	_ZL30rocblas_trmm_outofplace_kernelIdLi32ELi2ELb1ELb1ELb1ELb0EdKddEv17rocblas_diagonal_iiT6_lPT7_lllS4_lllPT8_llli,@function
_ZL30rocblas_trmm_outofplace_kernelIdLi32ELi2ELb1ELb1ELb1ELb0EdKddEv17rocblas_diagonal_iiT6_lPT7_lllS4_lllPT8_llli: ; @_ZL30rocblas_trmm_outofplace_kernelIdLi32ELi2ELb1ELb1ELb1ELb0EdKddEv17rocblas_diagonal_iiT6_lPT7_lllS4_lllPT8_llli
; %bb.0:
	s_load_b32 s31, s[0:1], 0x80
	s_lshr_b32 s34, ttmp7, 16
	s_wait_kmcnt 0x0
	s_cmp_ge_u32 s34, s31
	s_cbranch_scc1 .LBB43_54
; %bb.1:
	s_load_b64 s[36:37], s[0:1], 0x10
	s_wait_kmcnt 0x0
	v_cmp_eq_f64_e64 s2, s[36:37], 0
	s_and_b32 vcc_lo, exec_lo, s2
	s_cbranch_vccnz .LBB43_54
; %bb.2:
	s_load_b96 s[28:30], s[0:1], 0x0
	s_and_b32 s33, ttmp7, 0xffff
	v_and_b32_e32 v49, 0x3ff, v0
	s_load_b512 s[4:19], s[0:1], 0x20
	v_bfe_u32 v48, v0, 10, 10
	v_dual_mov_b32 v0, 0 :: v_dual_mov_b32 v55, 0x3ff00000
	s_delay_alu instid0(VALU_DEP_3) | instskip(SKIP_1) | instid1(VALU_DEP_3)
	v_lshlrev_b32_e32 v50, 3, v49
	s_load_b256 s[20:27], s[0:1], 0x60
	v_lshlrev_b32_e32 v1, 8, v48
	s_add_nc_u64 s[38:39], s[0:1], 0x88
	v_lshl_add_u32 v54, s33, 5, v48
	v_add_nc_u32_e32 v56, 0x800, v50
	v_add_nc_u32_e32 v57, 0x1000, v50
	;; [unrolled: 1-line block ×5, first 2 shown]
	s_mov_b32 s35, 0
	s_delay_alu instid0(VALU_DEP_3)
	v_add_nc_u32_e32 v53, v51, v50
	s_wait_kmcnt 0x0
	s_add_co_i32 s2, s30, -1
	s_mov_b32 s40, s29
	s_ashr_i32 s3, s2, 31
	s_mov_b32 s47, s30
	s_lshr_b32 s3, s3, 27
	s_delay_alu instid0(SALU_CYCLE_1) | instskip(NEXT) | instid1(SALU_CYCLE_1)
	s_add_co_i32 s2, s2, s3
	s_ashr_i32 s44, s2, 5
	s_delay_alu instid0(SALU_CYCLE_1)
	s_cmp_le_i32 s33, s44
	s_cselect_b32 s45, -1, 0
	s_lshl_b32 s46, ttmp9, 5
	s_cmp_gt_i32 ttmp9, -1
	v_add_nc_u32_e32 v2, s46, v49
	s_cselect_b32 s48, -1, 0
	s_cmp_eq_u32 s28, 0x84
	s_cselect_b32 s49, -1, 0
	s_delay_alu instid0(VALU_DEP_1) | instskip(SKIP_3) | instid1(VALU_DEP_4)
	v_ashrrev_i32_e32 v3, 31, v2
	v_add_co_u32 v4, vcc_lo, v2, 16
	v_mul_lo_u32 v22, s9, v2
	v_mad_co_u64_u32 v[16:17], null, s8, v2, 0
	v_add_co_ci_u32_e64 v5, null, 0, v3, vcc_lo
	v_sub_co_u32 v6, vcc_lo, v2, v48
	s_wait_alu 0xfffd
	v_subrev_co_ci_u32_e64 v7, null, 0, v3, vcc_lo
	v_lshlrev_b64_e32 v[10:11], 3, v[2:3]
	s_delay_alu instid0(VALU_DEP_3) | instskip(SKIP_1) | instid1(VALU_DEP_3)
	v_add_co_u32 v8, vcc_lo, v6, 16
	s_wait_alu 0xfffd
	v_add_co_ci_u32_e64 v9, null, 0, v7, vcc_lo
	v_add_co_u32 v12, vcc_lo, v6, -16
	v_mul_lo_u32 v15, s8, v3
	s_wait_alu 0xfffd
	v_add_co_ci_u32_e64 v13, null, -1, v7, vcc_lo
	v_add_co_u32 v1, vcc_lo, 0x80, v10
	s_wait_alu 0xfffd
	v_add_co_ci_u32_e64 v14, null, 0, v11, vcc_lo
	s_lshl_b64 s[6:7], s[6:7], 3
	s_lshl_b64 s[14:15], s[14:15], 3
	v_add3_u32 v17, v17, v15, v22
	v_mul_lo_u32 v25, s8, v14
	v_mul_lo_u32 v26, s9, v1
	v_mad_co_u64_u32 v[18:19], null, s8, v1, s[6:7]
	s_add_nc_u64 s[12:13], s[12:13], s[14:15]
	v_lshlrev_b64_e32 v[16:17], 3, v[16:17]
	v_add_co_u32 v23, s12, s12, v50
	s_wait_alu 0xf1ff
	v_add_co_ci_u32_e64 v24, null, s13, 0, s12
	v_add3_u32 v1, v26, v19, v25
	s_delay_alu instid0(VALU_DEP_3)
	v_add_co_u32 v14, vcc_lo, 0x80, v23
	v_lshlrev_b32_e32 v19, 3, v48
	s_wait_alu 0xfffd
	v_add_co_ci_u32_e64 v15, null, 0, v24, vcc_lo
	v_add_co_u32 v16, vcc_lo, v16, s6
	v_add_nc_u32_e32 v20, 16, v2
	s_wait_alu 0xfffd
	v_add_co_ci_u32_e64 v17, null, s7, v17, vcc_lo
	v_add_co_u32 v18, vcc_lo, v18, v19
	s_wait_alu 0xfffd
	v_add_co_ci_u32_e64 v1, null, 0, v1, vcc_lo
	v_add_co_u32 v19, vcc_lo, v16, v19
	v_ashrrev_i32_e32 v21, 31, v20
	s_wait_alu 0xfffd
	v_add_co_ci_u32_e64 v22, null, 0, v17, vcc_lo
	v_add_co_u32 v16, vcc_lo, s4, v18
	s_ashr_i32 s41, s29, 31
	s_lshl_b64 s[0:1], s[22:23], 3
	s_wait_alu 0xfffd
	v_add_co_ci_u32_e64 v17, null, s5, v1, vcc_lo
	v_add_co_u32 v18, vcc_lo, s4, v19
	v_cmp_gt_i32_e64 s2, s29, v20
	v_cmp_le_i64_e64 s3, s[40:41], v[4:5]
	v_lshlrev_b64_e32 v[20:21], 3, v[20:21]
	s_add_nc_u64 s[20:21], s[20:21], s[0:1]
	v_cmp_le_i32_e64 s0, s29, v2
	v_cmp_gt_i32_e64 s1, s29, v2
	s_wait_alu 0xfffd
	v_add_co_ci_u32_e64 v19, null, s5, v22, vcc_lo
	s_ashr_i32 s50, s30, 31
	s_add_nc_u64 s[22:23], s[40:41], -16
	s_lshl_b64 s[12:13], s[18:19], 3
	s_lshl_b64 s[14:15], s[16:17], 3
	s_lshl_b64 s[10:11], s[10:11], 3
	s_branch .LBB43_4
.LBB43_3:                               ;   in Loop: Header=BB43_4 Depth=1
	s_add_co_i32 s34, s34, 0x10000
	s_wait_alu 0xfffe
	s_cmp_ge_u32 s34, s31
	s_cbranch_scc1 .LBB43_54
.LBB43_4:                               ; =>This Loop Header: Depth=1
                                        ;     Child Loop BB43_7 Depth 2
                                        ;       Child Loop BB43_10 Depth 3
	s_and_not1_b32 vcc_lo, exec_lo, s45
	s_wait_alu 0xfffe
	s_cbranch_vccnz .LBB43_3
; %bb.5:                                ;   in Loop: Header=BB43_4 Depth=1
	v_mad_co_u64_u32 v[22:23], null, s12, s34, v[14:15]
	s_load_b32 s9, s[38:39], 0x4
	v_mad_co_u64_u32 v[24:25], null, s10, s34, v[16:17]
	v_mad_co_u64_u32 v[26:27], null, s10, s34, v[18:19]
	s_mul_i32 s6, s11, s34
	v_mov_b32_e32 v1, v23
	s_mul_u64 s[4:5], s[26:27], s[34:35]
	s_mov_b32 s52, s33
	s_wait_alu 0xfffe
	v_add_nc_u32_e32 v25, s6, v25
	s_lshl_b64 s[4:5], s[4:5], 3
	v_mad_co_u64_u32 v[28:29], null, s13, s34, v[1:2]
	v_add_nc_u32_e32 v27, s6, v27
	s_wait_alu 0xfffe
	s_add_nc_u64 s[18:19], s[20:21], s[4:5]
	s_delay_alu instid0(VALU_DEP_2)
	v_dual_mov_b32 v23, v28 :: v_dual_mov_b32 v28, v54
	s_wait_kmcnt 0x0
	s_lshl_b32 s51, s9, 5
	s_branch .LBB43_7
.LBB43_6:                               ;   in Loop: Header=BB43_7 Depth=2
	s_wait_alu 0xfffe
	s_or_b32 exec_lo, exec_lo, s4
	v_add_nc_u32_e32 v28, s51, v28
	s_add_co_i32 s52, s9, s52
	s_wait_alu 0xfffe
	s_cmp_gt_i32 s52, s44
	s_cbranch_scc1 .LBB43_3
.LBB43_7:                               ;   Parent Loop BB43_4 Depth=1
                                        ; =>  This Loop Header: Depth=2
                                        ;       Child Loop BB43_10 Depth 3
	v_lshl_add_u32 v59, s52, 5, v48
	v_mov_b32_e32 v40, 0
	v_dual_mov_b32 v36, 0 :: v_dual_mov_b32 v41, 0
	v_dual_mov_b32 v38, 0 :: v_dual_mov_b32 v37, 0
	;; [unrolled: 1-line block ×3, first 2 shown]
	v_mov_b32_e32 v35, 0
	v_ashrrev_i32_e32 v60, 31, v59
	s_and_not1_b32 vcc_lo, exec_lo, s48
	s_wait_alu 0xfffe
	s_cbranch_vccnz .LBB43_46
; %bb.8:                                ;   in Loop: Header=BB43_7 Depth=2
	v_ashrrev_i32_e32 v29, 31, v28
	v_mad_co_u64_u32 v[30:31], null, s14, v28, v[22:23]
	v_mul_lo_u32 v1, s15, v28
	v_mov_b32_e32 v38, 0
	s_delay_alu instid0(VALU_DEP_4) | instskip(SKIP_4) | instid1(VALU_DEP_4)
	v_lshlrev_b64_e32 v[32:33], 3, v[28:29]
	v_mul_lo_u32 v29, s14, v29
	v_dual_mov_b32 v39, 0 :: v_dual_mov_b32 v40, 0
	v_mov_b32_e32 v41, 0
	s_mov_b64 s[28:29], 0
	v_add_co_u32 v32, vcc_lo, 0x80, v32
	s_wait_alu 0xfffd
	v_add_co_ci_u32_e64 v33, null, 0, v33, vcc_lo
	v_sub_co_u32 v34, vcc_lo, s47, v59
	s_delay_alu instid0(VALU_DEP_3) | instskip(NEXT) | instid1(VALU_DEP_3)
	v_mul_lo_u32 v43, s17, v32
	v_mul_lo_u32 v42, s16, v33
	v_mad_co_u64_u32 v[32:33], null, s16, v32, v[22:23]
	s_wait_alu 0xfffd
	v_sub_co_ci_u32_e64 v35, null, s50, v60, vcc_lo
	v_mov_b32_e32 v36, 0
	v_add3_u32 v31, v1, v31, v29
	v_mov_b32_e32 v37, 0
	s_delay_alu instid0(VALU_DEP_4)
	v_cmp_lt_i64_e32 vcc_lo, 0, v[34:35]
	v_cmp_lt_i64_e64 s4, 16, v[34:35]
	v_mov_b32_e32 v34, 0
	v_mov_b32_e32 v35, 0
	v_add3_u32 v33, v43, v33, v42
	s_mov_b64 s[42:43], 0
	s_branch .LBB43_10
.LBB43_9:                               ;   in Loop: Header=BB43_10 Depth=3
	s_wait_alu 0xfffe
	s_or_b32 exec_lo, exec_lo, s5
	s_wait_dscnt 0x0
	s_barrier_signal -1
	s_barrier_wait -1
	global_inv scope:SCOPE_SE
	ds_load_b128 v[42:45], v51
	ds_load_2addr_b64 v[61:64], v50 offset1:16
	ds_load_b128 v[65:68], v51 offset:4096
	ds_load_b128 v[69:72], v51 offset:16
	;; [unrolled: 1-line block ×3, first 2 shown]
	s_add_nc_u64 s[42:43], s[42:43], 32
	s_add_nc_u64 s[28:29], s[28:29], 0x100
	s_wait_alu 0xfffe
	s_sub_co_i32 s5, s42, 32
	s_wait_alu 0xfffe
	s_cmp_ge_i32 s5, s46
	s_wait_dscnt 0x3
	v_fma_f64 v[40:41], v[61:62], v[42:43], v[40:41]
	v_fma_f64 v[38:39], v[63:64], v[42:43], v[38:39]
	s_wait_dscnt 0x2
	v_fma_f64 v[42:43], v[61:62], v[65:66], v[36:37]
	v_fma_f64 v[46:47], v[63:64], v[65:66], v[34:35]
	ds_load_2addr_b64 v[34:37], v50 offset0:32 offset1:48
	s_wait_dscnt 0x0
	v_fma_f64 v[40:41], v[34:35], v[44:45], v[40:41]
	v_fma_f64 v[38:39], v[36:37], v[44:45], v[38:39]
	v_fma_f64 v[42:43], v[34:35], v[67:68], v[42:43]
	v_fma_f64 v[44:45], v[36:37], v[67:68], v[46:47]
	ds_load_2addr_b64 v[34:37], v50 offset0:64 offset1:80
	s_wait_dscnt 0x0
	v_fma_f64 v[40:41], v[34:35], v[69:70], v[40:41]
	v_fma_f64 v[38:39], v[36:37], v[69:70], v[38:39]
	v_fma_f64 v[42:43], v[34:35], v[73:74], v[42:43]
	v_fma_f64 v[44:45], v[36:37], v[73:74], v[44:45]
	ds_load_2addr_b64 v[34:37], v50 offset0:96 offset1:112
	s_wait_dscnt 0x0
	v_fma_f64 v[46:47], v[34:35], v[71:72], v[40:41]
	v_fma_f64 v[69:70], v[36:37], v[71:72], v[38:39]
	v_fma_f64 v[71:72], v[34:35], v[75:76], v[42:43]
	v_fma_f64 v[73:74], v[36:37], v[75:76], v[44:45]
	ds_load_b128 v[34:37], v51 offset:32
	ds_load_2addr_b64 v[38:41], v50 offset0:128 offset1:144
	ds_load_b128 v[42:45], v51 offset:4128
	ds_load_b128 v[61:64], v51 offset:48
	ds_load_b128 v[65:68], v51 offset:4144
	s_wait_dscnt 0x3
	v_fma_f64 v[46:47], v[38:39], v[34:35], v[46:47]
	v_fma_f64 v[34:35], v[40:41], v[34:35], v[69:70]
	s_wait_dscnt 0x2
	v_fma_f64 v[69:70], v[38:39], v[42:43], v[71:72]
	v_fma_f64 v[42:43], v[40:41], v[42:43], v[73:74]
	ds_load_2addr_b64 v[38:41], v50 offset0:160 offset1:176
	s_wait_dscnt 0x0
	v_fma_f64 v[46:47], v[38:39], v[36:37], v[46:47]
	v_fma_f64 v[71:72], v[40:41], v[36:37], v[34:35]
	v_fma_f64 v[38:39], v[38:39], v[44:45], v[69:70]
	v_fma_f64 v[40:41], v[40:41], v[44:45], v[42:43]
	ds_load_2addr_b64 v[34:37], v50 offset0:192 offset1:208
	s_wait_dscnt 0x0
	v_fma_f64 v[42:43], v[34:35], v[61:62], v[46:47]
	v_fma_f64 v[44:45], v[36:37], v[61:62], v[71:72]
	v_fma_f64 v[38:39], v[34:35], v[65:66], v[38:39]
	v_fma_f64 v[40:41], v[36:37], v[65:66], v[40:41]
	ds_load_2addr_b64 v[34:37], v50 offset0:224 offset1:240
	s_wait_dscnt 0x0
	v_fma_f64 v[46:47], v[34:35], v[63:64], v[42:43]
	v_fma_f64 v[69:70], v[36:37], v[63:64], v[44:45]
	v_fma_f64 v[71:72], v[34:35], v[67:68], v[38:39]
	v_fma_f64 v[73:74], v[36:37], v[67:68], v[40:41]
	ds_load_b128 v[34:37], v51 offset:64
	ds_load_2addr_b64 v[38:41], v56 offset1:16
	ds_load_b128 v[42:45], v51 offset:4160
	ds_load_b128 v[61:64], v51 offset:80
	ds_load_b128 v[65:68], v51 offset:4176
	s_wait_dscnt 0x3
	v_fma_f64 v[46:47], v[38:39], v[34:35], v[46:47]
	v_fma_f64 v[34:35], v[40:41], v[34:35], v[69:70]
	s_wait_dscnt 0x2
	v_fma_f64 v[69:70], v[38:39], v[42:43], v[71:72]
	v_fma_f64 v[42:43], v[40:41], v[42:43], v[73:74]
	ds_load_2addr_b64 v[38:41], v56 offset0:32 offset1:48
	s_wait_dscnt 0x0
	v_fma_f64 v[46:47], v[38:39], v[36:37], v[46:47]
	v_fma_f64 v[71:72], v[40:41], v[36:37], v[34:35]
	v_fma_f64 v[38:39], v[38:39], v[44:45], v[69:70]
	v_fma_f64 v[40:41], v[40:41], v[44:45], v[42:43]
	ds_load_2addr_b64 v[34:37], v56 offset0:64 offset1:80
	s_wait_dscnt 0x0
	v_fma_f64 v[42:43], v[34:35], v[61:62], v[46:47]
	v_fma_f64 v[44:45], v[36:37], v[61:62], v[71:72]
	v_fma_f64 v[38:39], v[34:35], v[65:66], v[38:39]
	v_fma_f64 v[40:41], v[36:37], v[65:66], v[40:41]
	ds_load_2addr_b64 v[34:37], v56 offset0:96 offset1:112
	s_wait_dscnt 0x0
	v_fma_f64 v[46:47], v[34:35], v[63:64], v[42:43]
	v_fma_f64 v[69:70], v[36:37], v[63:64], v[44:45]
	v_fma_f64 v[71:72], v[34:35], v[67:68], v[38:39]
	v_fma_f64 v[73:74], v[36:37], v[67:68], v[40:41]
	ds_load_b128 v[34:37], v51 offset:96
	ds_load_2addr_b64 v[38:41], v56 offset0:128 offset1:144
	ds_load_b128 v[42:45], v51 offset:4192
	ds_load_b128 v[61:64], v51 offset:112
	ds_load_b128 v[65:68], v51 offset:4208
	s_wait_dscnt 0x3
	v_fma_f64 v[46:47], v[38:39], v[34:35], v[46:47]
	v_fma_f64 v[34:35], v[40:41], v[34:35], v[69:70]
	s_wait_dscnt 0x2
	v_fma_f64 v[69:70], v[38:39], v[42:43], v[71:72]
	v_fma_f64 v[42:43], v[40:41], v[42:43], v[73:74]
	ds_load_2addr_b64 v[38:41], v56 offset0:160 offset1:176
	s_wait_dscnt 0x0
	v_fma_f64 v[46:47], v[38:39], v[36:37], v[46:47]
	v_fma_f64 v[71:72], v[40:41], v[36:37], v[34:35]
	v_fma_f64 v[38:39], v[38:39], v[44:45], v[69:70]
	v_fma_f64 v[40:41], v[40:41], v[44:45], v[42:43]
	ds_load_2addr_b64 v[34:37], v56 offset0:192 offset1:208
	s_wait_dscnt 0x0
	v_fma_f64 v[42:43], v[34:35], v[61:62], v[46:47]
	v_fma_f64 v[44:45], v[36:37], v[61:62], v[71:72]
	v_fma_f64 v[38:39], v[34:35], v[65:66], v[38:39]
	v_fma_f64 v[40:41], v[36:37], v[65:66], v[40:41]
	ds_load_2addr_b64 v[34:37], v56 offset0:224 offset1:240
	s_wait_dscnt 0x0
	v_fma_f64 v[46:47], v[34:35], v[63:64], v[42:43]
	v_fma_f64 v[69:70], v[36:37], v[63:64], v[44:45]
	v_fma_f64 v[71:72], v[34:35], v[67:68], v[38:39]
	v_fma_f64 v[73:74], v[36:37], v[67:68], v[40:41]
	ds_load_b128 v[34:37], v51 offset:128
	ds_load_2addr_b64 v[38:41], v57 offset1:16
	ds_load_b128 v[42:45], v51 offset:4224
	ds_load_b128 v[61:64], v51 offset:144
	ds_load_b128 v[65:68], v51 offset:4240
	;; [unrolled: 58-line block ×3, first 2 shown]
	s_wait_dscnt 0x3
	v_fma_f64 v[46:47], v[38:39], v[34:35], v[46:47]
	v_fma_f64 v[34:35], v[40:41], v[34:35], v[69:70]
	s_wait_dscnt 0x2
	v_fma_f64 v[69:70], v[38:39], v[42:43], v[71:72]
	v_fma_f64 v[42:43], v[40:41], v[42:43], v[73:74]
	ds_load_2addr_b64 v[38:41], v58 offset0:32 offset1:48
	s_wait_dscnt 0x0
	v_fma_f64 v[46:47], v[38:39], v[36:37], v[46:47]
	v_fma_f64 v[71:72], v[40:41], v[36:37], v[34:35]
	v_fma_f64 v[38:39], v[38:39], v[44:45], v[69:70]
	v_fma_f64 v[40:41], v[40:41], v[44:45], v[42:43]
	ds_load_2addr_b64 v[34:37], v58 offset0:64 offset1:80
	s_wait_dscnt 0x0
	v_fma_f64 v[42:43], v[34:35], v[61:62], v[46:47]
	v_fma_f64 v[44:45], v[36:37], v[61:62], v[71:72]
	;; [unrolled: 6-line block ×3, first 2 shown]
	v_fma_f64 v[71:72], v[34:35], v[67:68], v[38:39]
	v_fma_f64 v[73:74], v[36:37], v[67:68], v[40:41]
	ds_load_b128 v[34:37], v51 offset:224
	ds_load_2addr_b64 v[38:41], v58 offset0:128 offset1:144
	ds_load_b128 v[42:45], v51 offset:4320
	ds_load_b128 v[61:64], v51 offset:240
	;; [unrolled: 1-line block ×3, first 2 shown]
	s_wait_dscnt 0x3
	v_fma_f64 v[46:47], v[38:39], v[34:35], v[46:47]
	v_fma_f64 v[34:35], v[40:41], v[34:35], v[69:70]
	s_wait_dscnt 0x2
	v_fma_f64 v[69:70], v[38:39], v[42:43], v[71:72]
	v_fma_f64 v[42:43], v[40:41], v[42:43], v[73:74]
	ds_load_2addr_b64 v[38:41], v58 offset0:160 offset1:176
	s_wait_dscnt 0x0
	v_fma_f64 v[46:47], v[38:39], v[36:37], v[46:47]
	v_fma_f64 v[71:72], v[40:41], v[36:37], v[34:35]
	;; [unrolled: 1-line block ×4, first 2 shown]
	ds_load_2addr_b64 v[34:37], v58 offset0:192 offset1:208
	ds_load_2addr_b64 v[42:45], v58 offset0:224 offset1:240
	s_wait_loadcnt_dscnt 0x0
	s_barrier_signal -1
	s_barrier_wait -1
	global_inv scope:SCOPE_SE
	v_fma_f64 v[46:47], v[34:35], v[61:62], v[46:47]
	v_fma_f64 v[61:62], v[36:37], v[61:62], v[71:72]
	;; [unrolled: 1-line block ×4, first 2 shown]
	s_delay_alu instid0(VALU_DEP_4) | instskip(NEXT) | instid1(VALU_DEP_4)
	v_fma_f64 v[40:41], v[42:43], v[63:64], v[46:47]
	v_fma_f64 v[38:39], v[44:45], v[63:64], v[61:62]
	s_delay_alu instid0(VALU_DEP_4) | instskip(NEXT) | instid1(VALU_DEP_4)
	v_fma_f64 v[36:37], v[42:43], v[67:68], v[34:35]
	v_fma_f64 v[34:35], v[44:45], v[67:68], v[65:66]
	s_cbranch_scc1 .LBB43_46
.LBB43_10:                              ;   Parent Loop BB43_4 Depth=1
                                        ;     Parent Loop BB43_7 Depth=2
                                        ; =>    This Inner Loop Header: Depth=3
	s_wait_alu 0xfffe
	v_add_co_u32 v44, s5, v48, s42
	s_wait_alu 0xf1ff
	v_add_co_ci_u32_e64 v45, null, 0, s43, s5
	v_cmp_eq_u64_e64 s7, s[42:43], v[6:7]
                                        ; implicit-def: $vgpr46_vgpr47
	s_delay_alu instid0(VALU_DEP_2)
	v_cmp_le_i64_e64 s6, s[40:41], v[44:45]
	v_cmp_gt_i64_e64 s5, v[44:45], v[2:3]
	s_and_b32 s53, s49, s7
	v_add_co_u32 v42, s7, v26, s28
	s_wait_alu 0xf1ff
	v_add_co_ci_u32_e64 v43, null, s29, v27, s7
	s_or_b32 s8, s6, s5
	s_wait_alu 0xfffe
	s_or_b32 s7, s8, s53
	s_wait_alu 0xfffe
	s_nor_b32 s7, s0, s7
	s_wait_alu 0xfffe
	s_and_saveexec_b32 s8, s7
	s_wait_alu 0xfffe
	s_xor_b32 s7, exec_lo, s8
	s_cbranch_execz .LBB43_12
; %bb.11:                               ;   in Loop: Header=BB43_10 Depth=3
	global_load_b64 v[46:47], v[42:43], off
.LBB43_12:                              ;   in Loop: Header=BB43_10 Depth=3
	s_wait_alu 0xfffe
	s_and_not1_saveexec_b32 s7, s7
	s_cbranch_execz .LBB43_14
; %bb.13:                               ;   in Loop: Header=BB43_10 Depth=3
	v_cndmask_b32_e64 v1, 0, 0x3ff00000, s53
	s_wait_loadcnt 0x0
	s_delay_alu instid0(VALU_DEP_1)
	v_dual_mov_b32 v47, v1 :: v_dual_mov_b32 v46, v0
.LBB43_14:                              ;   in Loop: Header=BB43_10 Depth=3
	s_wait_alu 0xfffe
	s_or_b32 exec_lo, exec_lo, s7
	v_cmp_eq_u64_e64 s7, s[42:43], v[8:9]
	v_cmp_lt_i64_e64 s8, v[4:5], v[44:45]
	s_wait_loadcnt 0x0
	ds_store_b64 v52, v[46:47]
	s_and_b32 s7, s49, s7
	s_or_b32 s6, s6, s8
	s_wait_alu 0xfffe
	s_or_b32 s6, s6, s7
	s_wait_alu 0xfffe
	s_nor_b32 s6, s3, s6
	s_wait_alu 0xfffe
	s_and_saveexec_b32 s8, s6
	s_wait_alu 0xfffe
	s_xor_b32 s8, exec_lo, s8
	s_cbranch_execz .LBB43_16
; %bb.15:                               ;   in Loop: Header=BB43_10 Depth=3
	v_add_co_u32 v46, s6, v24, s28
	s_wait_alu 0xf1ff
	v_add_co_ci_u32_e64 v47, null, s29, v25, s6
	global_load_b64 v[46:47], v[46:47], off
	s_wait_loadcnt 0x0
	ds_store_b64 v52, v[46:47] offset:128
.LBB43_16:                              ;   in Loop: Header=BB43_10 Depth=3
	s_wait_alu 0xfffe
	s_and_not1_saveexec_b32 s6, s8
	s_cbranch_execz .LBB43_22
; %bb.17:                               ;   in Loop: Header=BB43_10 Depth=3
	s_xor_b32 s7, s7, -1
	s_wait_alu 0xfffe
	s_and_saveexec_b32 s8, s7
	s_wait_alu 0xfffe
	s_xor_b32 s7, exec_lo, s8
; %bb.18:                               ;   in Loop: Header=BB43_10 Depth=3
	v_mov_b32_e32 v1, v0
	ds_store_b64 v52, v[0:1] offset:128
; %bb.19:                               ;   in Loop: Header=BB43_10 Depth=3
	s_wait_alu 0xfffe
	s_and_not1_saveexec_b32 s7, s7
; %bb.20:                               ;   in Loop: Header=BB43_10 Depth=3
	v_mov_b32_e32 v1, v55
	ds_store_b64 v52, v[0:1] offset:128
; %bb.21:                               ;   in Loop: Header=BB43_10 Depth=3
	s_wait_alu 0xfffe
	s_or_b32 exec_lo, exec_lo, s7
.LBB43_22:                              ;   in Loop: Header=BB43_10 Depth=3
	s_wait_alu 0xfffe
	s_or_b32 exec_lo, exec_lo, s6
	v_add_co_u32 v44, s6, v44, 16
	s_wait_alu 0xf1ff
	v_add_co_ci_u32_e64 v45, null, 0, v45, s6
	v_cmp_eq_u64_e64 s7, s[42:43], v[12:13]
	s_delay_alu instid0(VALU_DEP_2)
	v_cmp_le_i64_e64 s6, s[40:41], v[44:45]
	v_cmp_gt_i64_e64 s8, v[44:45], v[2:3]
                                        ; implicit-def: $vgpr44_vgpr45
	s_and_b32 s7, s49, s7
	s_or_b32 s8, s6, s8
	s_wait_alu 0xfffe
	s_or_b32 s8, s8, s7
	s_wait_alu 0xfffe
	s_nor_b32 s8, s0, s8
	s_wait_alu 0xfffe
	s_and_saveexec_b32 s54, s8
	s_delay_alu instid0(SALU_CYCLE_1)
	s_xor_b32 s8, exec_lo, s54
	s_cbranch_execz .LBB43_24
; %bb.23:                               ;   in Loop: Header=BB43_10 Depth=3
	global_load_b64 v[44:45], v[42:43], off offset:128
.LBB43_24:                              ;   in Loop: Header=BB43_10 Depth=3
	s_wait_alu 0xfffe
	s_and_not1_saveexec_b32 s8, s8
	s_cbranch_execz .LBB43_26
; %bb.25:                               ;   in Loop: Header=BB43_10 Depth=3
	v_cndmask_b32_e64 v1, 0, 0x3ff00000, s7
	s_wait_loadcnt 0x0
	s_delay_alu instid0(VALU_DEP_1)
	v_dual_mov_b32 v45, v1 :: v_dual_mov_b32 v44, v0
.LBB43_26:                              ;   in Loop: Header=BB43_10 Depth=3
	s_wait_alu 0xfffe
	s_or_b32 exec_lo, exec_lo, s8
	s_or_b32 s5, s6, s5
	s_wait_loadcnt 0x0
	ds_store_b64 v52, v[44:45] offset:4096
	s_wait_alu 0xfffe
	s_or_b32 s5, s5, s53
	s_wait_alu 0xfffe
	s_nor_b32 s5, s3, s5
	s_wait_alu 0xfffe
	s_and_saveexec_b32 s6, s5
	s_wait_alu 0xfffe
	s_xor_b32 s6, exec_lo, s6
	s_cbranch_execz .LBB43_28
; %bb.27:                               ;   in Loop: Header=BB43_10 Depth=3
	v_add_co_u32 v42, s5, v24, s28
	s_wait_alu 0xf1ff
	v_add_co_ci_u32_e64 v43, null, s29, v25, s5
	global_load_b64 v[42:43], v[42:43], off offset:128
	s_wait_loadcnt 0x0
	ds_store_b64 v52, v[42:43] offset:4224
.LBB43_28:                              ;   in Loop: Header=BB43_10 Depth=3
	s_wait_alu 0xfffe
	s_and_not1_saveexec_b32 s5, s6
	s_cbranch_execz .LBB43_34
; %bb.29:                               ;   in Loop: Header=BB43_10 Depth=3
	s_xor_b32 s6, s53, -1
	s_wait_alu 0xfffe
	s_and_saveexec_b32 s7, s6
	s_wait_alu 0xfffe
	s_xor_b32 s6, exec_lo, s7
; %bb.30:                               ;   in Loop: Header=BB43_10 Depth=3
	v_mov_b32_e32 v1, v0
	ds_store_b64 v52, v[0:1] offset:4224
; %bb.31:                               ;   in Loop: Header=BB43_10 Depth=3
	s_wait_alu 0xfffe
	s_and_not1_saveexec_b32 s6, s6
; %bb.32:                               ;   in Loop: Header=BB43_10 Depth=3
	v_mov_b32_e32 v1, v55
	ds_store_b64 v52, v[0:1] offset:4224
; %bb.33:                               ;   in Loop: Header=BB43_10 Depth=3
	s_wait_alu 0xfffe
	s_or_b32 exec_lo, exec_lo, s6
.LBB43_34:                              ;   in Loop: Header=BB43_10 Depth=3
	s_wait_alu 0xfffe
	s_or_b32 exec_lo, exec_lo, s5
	v_add_co_u32 v44, s5, v49, s42
	s_wait_alu 0xf1ff
	v_add_co_ci_u32_e64 v45, null, 0, s43, s5
	v_add_co_u32 v42, s6, v30, s28
	v_mov_b32_e32 v46, 0
	s_delay_alu instid0(VALU_DEP_3)
	v_cmp_gt_i64_e64 s5, s[40:41], v[44:45]
	v_mov_b32_e32 v47, 0
	s_wait_alu 0xf1ff
	v_add_co_ci_u32_e64 v43, null, s29, v31, s6
	s_and_b32 s7, vcc_lo, s5
	s_wait_alu 0xfffe
	s_and_saveexec_b32 s6, s7
	s_cbranch_execz .LBB43_36
; %bb.35:                               ;   in Loop: Header=BB43_10 Depth=3
	global_load_b64 v[46:47], v[42:43], off offset:-128
.LBB43_36:                              ;   in Loop: Header=BB43_10 Depth=3
	s_wait_alu 0xfffe
	s_or_b32 exec_lo, exec_lo, s6
	v_cmp_gt_i64_e64 s6, s[22:23], v[44:45]
	s_wait_loadcnt 0x0
	ds_store_b64 v53, v[46:47]
	s_and_b32 s7, vcc_lo, s6
	s_wait_alu 0xfffe
	s_xor_b32 s7, s7, -1
	s_wait_alu 0xfffe
	s_and_saveexec_b32 s8, s7
	s_wait_alu 0xfffe
	s_xor_b32 s7, exec_lo, s8
; %bb.37:                               ;   in Loop: Header=BB43_10 Depth=3
	v_mov_b32_e32 v1, v0
                                        ; implicit-def: $vgpr42_vgpr43
	ds_store_b64 v53, v[0:1] offset:128
; %bb.38:                               ;   in Loop: Header=BB43_10 Depth=3
	s_wait_alu 0xfffe
	s_and_not1_saveexec_b32 s7, s7
	s_cbranch_execz .LBB43_40
; %bb.39:                               ;   in Loop: Header=BB43_10 Depth=3
	global_load_b64 v[42:43], v[42:43], off
	s_wait_loadcnt 0x0
	ds_store_b64 v53, v[42:43] offset:128
.LBB43_40:                              ;   in Loop: Header=BB43_10 Depth=3
	s_wait_alu 0xfffe
	s_or_b32 exec_lo, exec_lo, s7
	v_add_co_u32 v42, s7, v32, s28
	v_mov_b32_e32 v44, 0
	v_mov_b32_e32 v45, 0
	s_wait_alu 0xf1ff
	v_add_co_ci_u32_e64 v43, null, s29, v33, s7
	s_and_b32 s7, s4, s5
	s_wait_alu 0xfffe
	s_and_saveexec_b32 s5, s7
	s_cbranch_execz .LBB43_42
; %bb.41:                               ;   in Loop: Header=BB43_10 Depth=3
	global_load_b64 v[44:45], v[42:43], off offset:-128
.LBB43_42:                              ;   in Loop: Header=BB43_10 Depth=3
	s_wait_alu 0xfffe
	s_or_b32 exec_lo, exec_lo, s5
	s_and_b32 s5, s4, s6
	s_wait_loadcnt 0x0
	ds_store_b64 v53, v[44:45] offset:4096
	s_wait_alu 0xfffe
	s_xor_b32 s5, s5, -1
	s_wait_alu 0xfffe
	s_and_saveexec_b32 s6, s5
	s_wait_alu 0xfffe
	s_xor_b32 s5, exec_lo, s6
; %bb.43:                               ;   in Loop: Header=BB43_10 Depth=3
	v_mov_b32_e32 v1, v0
                                        ; implicit-def: $vgpr42_vgpr43
	ds_store_b64 v53, v[0:1] offset:4224
; %bb.44:                               ;   in Loop: Header=BB43_10 Depth=3
	s_wait_alu 0xfffe
	s_and_not1_saveexec_b32 s5, s5
	s_cbranch_execz .LBB43_9
; %bb.45:                               ;   in Loop: Header=BB43_10 Depth=3
	global_load_b64 v[42:43], v[42:43], off
	s_wait_loadcnt 0x0
	ds_store_b64 v53, v[42:43] offset:4224
	s_branch .LBB43_9
.LBB43_46:                              ;   in Loop: Header=BB43_7 Depth=2
	v_mul_lo_u32 v1, s25, v59
	v_mul_lo_u32 v31, s24, v60
	v_mad_co_u64_u32 v[29:30], null, s24, v59, 0
	v_cmp_gt_i32_e32 vcc_lo, s30, v59
	s_delay_alu instid0(VALU_DEP_2) | instskip(NEXT) | instid1(VALU_DEP_1)
	v_add3_u32 v30, v30, v31, v1
	v_lshlrev_b64_e32 v[29:30], 3, v[29:30]
	s_delay_alu instid0(VALU_DEP_1) | instskip(SKIP_1) | instid1(VALU_DEP_2)
	v_add_co_u32 v1, s4, s18, v29
	s_wait_alu 0xf1ff
	v_add_co_ci_u32_e64 v29, null, s19, v30, s4
	s_and_b32 s4, s1, vcc_lo
	s_wait_alu 0xfffe
	s_and_saveexec_b32 s5, s4
	s_cbranch_execz .LBB43_48
; %bb.47:                               ;   in Loop: Header=BB43_7 Depth=2
	v_add_co_u32 v30, s4, v1, v10
	s_wait_alu 0xf1ff
	v_add_co_ci_u32_e64 v31, null, v29, v11, s4
	global_load_b64 v[32:33], v[30:31], off
	s_wait_loadcnt 0x0
	v_fma_f64 v[32:33], s[36:37], v[40:41], v[32:33]
	global_store_b64 v[30:31], v[32:33], off
.LBB43_48:                              ;   in Loop: Header=BB43_7 Depth=2
	s_wait_alu 0xfffe
	s_or_b32 exec_lo, exec_lo, s5
	s_and_b32 s5, s2, vcc_lo
	s_wait_alu 0xfffe
	s_and_saveexec_b32 s4, s5
	s_cbranch_execz .LBB43_50
; %bb.49:                               ;   in Loop: Header=BB43_7 Depth=2
	v_add_co_u32 v30, vcc_lo, v1, v20
	s_wait_alu 0xfffd
	v_add_co_ci_u32_e64 v31, null, v29, v21, vcc_lo
	global_load_b64 v[32:33], v[30:31], off
	s_wait_loadcnt 0x0
	v_fma_f64 v[32:33], s[36:37], v[38:39], v[32:33]
	global_store_b64 v[30:31], v[32:33], off
.LBB43_50:                              ;   in Loop: Header=BB43_7 Depth=2
	s_wait_alu 0xfffe
	s_or_b32 exec_lo, exec_lo, s4
	v_add_nc_u32_e32 v1, 16, v59
	s_delay_alu instid0(VALU_DEP_1) | instskip(SKIP_3) | instid1(VALU_DEP_4)
	v_ashrrev_i32_e32 v31, 31, v1
	v_mul_lo_u32 v32, s25, v1
	v_mad_co_u64_u32 v[29:30], null, s24, v1, 0
	v_cmp_gt_i32_e32 vcc_lo, s30, v1
	v_mul_lo_u32 v31, s24, v31
	s_delay_alu instid0(VALU_DEP_1) | instskip(NEXT) | instid1(VALU_DEP_1)
	v_add3_u32 v30, v30, v31, v32
	v_lshlrev_b64_e32 v[29:30], 3, v[29:30]
	s_delay_alu instid0(VALU_DEP_1) | instskip(SKIP_1) | instid1(VALU_DEP_2)
	v_add_co_u32 v1, s4, s18, v29
	s_wait_alu 0xf1ff
	v_add_co_ci_u32_e64 v29, null, s19, v30, s4
	s_and_b32 s4, s1, vcc_lo
	s_wait_alu 0xfffe
	s_and_saveexec_b32 s5, s4
	s_cbranch_execz .LBB43_52
; %bb.51:                               ;   in Loop: Header=BB43_7 Depth=2
	v_add_co_u32 v30, s4, v1, v10
	s_wait_alu 0xf1ff
	v_add_co_ci_u32_e64 v31, null, v29, v11, s4
	global_load_b64 v[32:33], v[30:31], off
	s_wait_loadcnt 0x0
	v_fma_f64 v[32:33], s[36:37], v[36:37], v[32:33]
	global_store_b64 v[30:31], v[32:33], off
.LBB43_52:                              ;   in Loop: Header=BB43_7 Depth=2
	s_wait_alu 0xfffe
	s_or_b32 exec_lo, exec_lo, s5
	s_and_b32 s5, s2, vcc_lo
	s_wait_alu 0xfffe
	s_and_saveexec_b32 s4, s5
	s_cbranch_execz .LBB43_6
; %bb.53:                               ;   in Loop: Header=BB43_7 Depth=2
	v_add_co_u32 v30, vcc_lo, v1, v20
	s_wait_alu 0xfffd
	v_add_co_ci_u32_e64 v31, null, v29, v21, vcc_lo
	global_load_b64 v[32:33], v[30:31], off
	s_wait_loadcnt 0x0
	v_fma_f64 v[32:33], s[36:37], v[34:35], v[32:33]
	global_store_b64 v[30:31], v[32:33], off
	s_branch .LBB43_6
.LBB43_54:
	s_endpgm
	.section	.rodata,"a",@progbits
	.p2align	6, 0x0
	.amdhsa_kernel _ZL30rocblas_trmm_outofplace_kernelIdLi32ELi2ELb1ELb1ELb1ELb0EdKddEv17rocblas_diagonal_iiT6_lPT7_lllS4_lllPT8_llli
		.amdhsa_group_segment_fixed_size 16384
		.amdhsa_private_segment_fixed_size 0
		.amdhsa_kernarg_size 392
		.amdhsa_user_sgpr_count 2
		.amdhsa_user_sgpr_dispatch_ptr 0
		.amdhsa_user_sgpr_queue_ptr 0
		.amdhsa_user_sgpr_kernarg_segment_ptr 1
		.amdhsa_user_sgpr_dispatch_id 0
		.amdhsa_user_sgpr_private_segment_size 0
		.amdhsa_wavefront_size32 1
		.amdhsa_uses_dynamic_stack 0
		.amdhsa_enable_private_segment 0
		.amdhsa_system_sgpr_workgroup_id_x 1
		.amdhsa_system_sgpr_workgroup_id_y 1
		.amdhsa_system_sgpr_workgroup_id_z 1
		.amdhsa_system_sgpr_workgroup_info 0
		.amdhsa_system_vgpr_workitem_id 1
		.amdhsa_next_free_vgpr 77
		.amdhsa_next_free_sgpr 55
		.amdhsa_reserve_vcc 1
		.amdhsa_float_round_mode_32 0
		.amdhsa_float_round_mode_16_64 0
		.amdhsa_float_denorm_mode_32 3
		.amdhsa_float_denorm_mode_16_64 3
		.amdhsa_fp16_overflow 0
		.amdhsa_workgroup_processor_mode 1
		.amdhsa_memory_ordered 1
		.amdhsa_forward_progress 1
		.amdhsa_inst_pref_size 35
		.amdhsa_round_robin_scheduling 0
		.amdhsa_exception_fp_ieee_invalid_op 0
		.amdhsa_exception_fp_denorm_src 0
		.amdhsa_exception_fp_ieee_div_zero 0
		.amdhsa_exception_fp_ieee_overflow 0
		.amdhsa_exception_fp_ieee_underflow 0
		.amdhsa_exception_fp_ieee_inexact 0
		.amdhsa_exception_int_div_zero 0
	.end_amdhsa_kernel
	.section	.text._ZL30rocblas_trmm_outofplace_kernelIdLi32ELi2ELb1ELb1ELb1ELb0EdKddEv17rocblas_diagonal_iiT6_lPT7_lllS4_lllPT8_llli,"axG",@progbits,_ZL30rocblas_trmm_outofplace_kernelIdLi32ELi2ELb1ELb1ELb1ELb0EdKddEv17rocblas_diagonal_iiT6_lPT7_lllS4_lllPT8_llli,comdat
.Lfunc_end43:
	.size	_ZL30rocblas_trmm_outofplace_kernelIdLi32ELi2ELb1ELb1ELb1ELb0EdKddEv17rocblas_diagonal_iiT6_lPT7_lllS4_lllPT8_llli, .Lfunc_end43-_ZL30rocblas_trmm_outofplace_kernelIdLi32ELi2ELb1ELb1ELb1ELb0EdKddEv17rocblas_diagonal_iiT6_lPT7_lllS4_lllPT8_llli
                                        ; -- End function
	.set _ZL30rocblas_trmm_outofplace_kernelIdLi32ELi2ELb1ELb1ELb1ELb0EdKddEv17rocblas_diagonal_iiT6_lPT7_lllS4_lllPT8_llli.num_vgpr, 77
	.set _ZL30rocblas_trmm_outofplace_kernelIdLi32ELi2ELb1ELb1ELb1ELb0EdKddEv17rocblas_diagonal_iiT6_lPT7_lllS4_lllPT8_llli.num_agpr, 0
	.set _ZL30rocblas_trmm_outofplace_kernelIdLi32ELi2ELb1ELb1ELb1ELb0EdKddEv17rocblas_diagonal_iiT6_lPT7_lllS4_lllPT8_llli.numbered_sgpr, 55
	.set _ZL30rocblas_trmm_outofplace_kernelIdLi32ELi2ELb1ELb1ELb1ELb0EdKddEv17rocblas_diagonal_iiT6_lPT7_lllS4_lllPT8_llli.num_named_barrier, 0
	.set _ZL30rocblas_trmm_outofplace_kernelIdLi32ELi2ELb1ELb1ELb1ELb0EdKddEv17rocblas_diagonal_iiT6_lPT7_lllS4_lllPT8_llli.private_seg_size, 0
	.set _ZL30rocblas_trmm_outofplace_kernelIdLi32ELi2ELb1ELb1ELb1ELb0EdKddEv17rocblas_diagonal_iiT6_lPT7_lllS4_lllPT8_llli.uses_vcc, 1
	.set _ZL30rocblas_trmm_outofplace_kernelIdLi32ELi2ELb1ELb1ELb1ELb0EdKddEv17rocblas_diagonal_iiT6_lPT7_lllS4_lllPT8_llli.uses_flat_scratch, 0
	.set _ZL30rocblas_trmm_outofplace_kernelIdLi32ELi2ELb1ELb1ELb1ELb0EdKddEv17rocblas_diagonal_iiT6_lPT7_lllS4_lllPT8_llli.has_dyn_sized_stack, 0
	.set _ZL30rocblas_trmm_outofplace_kernelIdLi32ELi2ELb1ELb1ELb1ELb0EdKddEv17rocblas_diagonal_iiT6_lPT7_lllS4_lllPT8_llli.has_recursion, 0
	.set _ZL30rocblas_trmm_outofplace_kernelIdLi32ELi2ELb1ELb1ELb1ELb0EdKddEv17rocblas_diagonal_iiT6_lPT7_lllS4_lllPT8_llli.has_indirect_call, 0
	.section	.AMDGPU.csdata,"",@progbits
; Kernel info:
; codeLenInByte = 4404
; TotalNumSgprs: 57
; NumVgprs: 77
; ScratchSize: 0
; MemoryBound: 0
; FloatMode: 240
; IeeeMode: 1
; LDSByteSize: 16384 bytes/workgroup (compile time only)
; SGPRBlocks: 0
; VGPRBlocks: 9
; NumSGPRsForWavesPerEU: 57
; NumVGPRsForWavesPerEU: 77
; Occupancy: 16
; WaveLimiterHint : 0
; COMPUTE_PGM_RSRC2:SCRATCH_EN: 0
; COMPUTE_PGM_RSRC2:USER_SGPR: 2
; COMPUTE_PGM_RSRC2:TRAP_HANDLER: 0
; COMPUTE_PGM_RSRC2:TGID_X_EN: 1
; COMPUTE_PGM_RSRC2:TGID_Y_EN: 1
; COMPUTE_PGM_RSRC2:TGID_Z_EN: 1
; COMPUTE_PGM_RSRC2:TIDIG_COMP_CNT: 1
	.section	.text._ZL30rocblas_trmm_outofplace_kernelIdLi32ELi2ELb1ELb0ELb1ELb1EPKdS0_dEv17rocblas_diagonal_iiT6_lPT7_lllS5_lllPT8_llli,"axG",@progbits,_ZL30rocblas_trmm_outofplace_kernelIdLi32ELi2ELb1ELb0ELb1ELb1EPKdS0_dEv17rocblas_diagonal_iiT6_lPT7_lllS5_lllPT8_llli,comdat
	.globl	_ZL30rocblas_trmm_outofplace_kernelIdLi32ELi2ELb1ELb0ELb1ELb1EPKdS0_dEv17rocblas_diagonal_iiT6_lPT7_lllS5_lllPT8_llli ; -- Begin function _ZL30rocblas_trmm_outofplace_kernelIdLi32ELi2ELb1ELb0ELb1ELb1EPKdS0_dEv17rocblas_diagonal_iiT6_lPT7_lllS5_lllPT8_llli
	.p2align	8
	.type	_ZL30rocblas_trmm_outofplace_kernelIdLi32ELi2ELb1ELb0ELb1ELb1EPKdS0_dEv17rocblas_diagonal_iiT6_lPT7_lllS5_lllPT8_llli,@function
_ZL30rocblas_trmm_outofplace_kernelIdLi32ELi2ELb1ELb0ELb1ELb1EPKdS0_dEv17rocblas_diagonal_iiT6_lPT7_lllS5_lllPT8_llli: ; @_ZL30rocblas_trmm_outofplace_kernelIdLi32ELi2ELb1ELb0ELb1ELb1EPKdS0_dEv17rocblas_diagonal_iiT6_lPT7_lllS5_lllPT8_llli
; %bb.0:
	s_load_b32 s11, s[0:1], 0x80
	s_lshr_b32 s34, ttmp7, 16
	s_wait_kmcnt 0x0
	s_cmp_ge_u32 s34, s11
	s_cbranch_scc1 .LBB44_56
; %bb.1:
	s_clause 0x3
	s_load_b96 s[8:10], s[0:1], 0x0
	s_load_b256 s[36:43], s[0:1], 0x50
	s_load_b512 s[12:27], s[0:1], 0x10
	s_load_b128 s[28:31], s[0:1], 0x70
	s_add_nc_u64 s[44:45], s[0:1], 0x88
	v_bfe_u32 v52, v0, 10, 10
	v_and_b32_e32 v1, 0x3ff, v0
	s_and_b32 s33, ttmp7, 0xffff
	v_mov_b32_e32 v58, 0x3ff00000
	s_mov_b32 s35, 0
	v_lshlrev_b32_e32 v0, 8, v52
	v_lshlrev_b32_e32 v53, 3, v1
	v_lshl_add_u32 v57, s33, 5, v52
	s_delay_alu instid0(VALU_DEP_3) | instskip(NEXT) | instid1(VALU_DEP_3)
	v_add_nc_u32_e32 v54, 0x2000, v0
	v_add_nc_u32_e32 v55, v53, v0
	;; [unrolled: 1-line block ×5, first 2 shown]
	s_wait_kmcnt 0x0
	s_add_co_i32 s2, s10, -1
	v_add_nc_u32_e32 v56, v54, v53
	s_ashr_i32 s3, s2, 31
	s_mov_b32 s50, s10
	s_lshr_b32 s0, s3, 27
	s_delay_alu instid0(SALU_CYCLE_1)
	s_add_co_i32 s2, s2, s0
	s_lshl_b64 s[0:1], s[42:43], 3
	s_ashr_i32 s48, s2, 5
	s_mov_b32 s42, s9
	s_cmp_le_i32 s33, s48
	s_add_nc_u64 s[40:41], s[40:41], s[0:1]
	s_cselect_b32 s49, -1, 0
	s_lshl_b32 s2, ttmp9, 5
	s_delay_alu instid0(SALU_CYCLE_1) | instskip(SKIP_2) | instid1(SALU_CYCLE_1)
	v_add_nc_u32_e32 v2, s2, v1
	v_add_nc_u32_e32 v0, s2, v52
	s_sub_co_i32 s51, s9, s2
	s_cmp_gt_i32 s51, 0
	s_delay_alu instid0(VALU_DEP_2) | instskip(NEXT) | instid1(VALU_DEP_2)
	v_ashrrev_i32_e32 v3, 31, v2
	v_ashrrev_i32_e32 v1, 31, v0
	v_add_co_u32 v6, vcc_lo, v2, 16
	v_mul_lo_u32 v21, s21, v2
	s_delay_alu instid0(VALU_DEP_4) | instskip(SKIP_4) | instid1(VALU_DEP_3)
	v_add_co_ci_u32_e64 v7, null, 0, v3, vcc_lo
	v_sub_co_u32 v8, vcc_lo, v2, v0
	v_lshlrev_b64_e32 v[10:11], 3, v[2:3]
	s_wait_alu 0xfffd
	v_sub_co_ci_u32_e64 v9, null, v3, v1, vcc_lo
	v_add_co_u32 v12, vcc_lo, v8, 16
	v_mul_lo_u32 v20, s20, v3
	v_mad_co_u64_u32 v[16:17], null, s20, v2, 0
	s_wait_alu 0xfffd
	v_add_co_ci_u32_e64 v13, null, 0, v9, vcc_lo
	v_add_co_u32 v18, vcc_lo, 0x80, v10
	s_wait_alu 0xfffd
	v_add_co_ci_u32_e64 v19, null, 0, v11, vcc_lo
	s_cselect_b32 s52, -1, 0
	s_cmp_eq_u32 s8, 0x84
	v_mul_lo_u32 v23, s21, v18
	s_cselect_b32 s53, -1, 0
	s_lshl_b64 s[6:7], s[18:19], 3
	s_lshl_b64 s[4:5], s[26:27], 3
	v_mul_lo_u32 v22, s20, v19
	v_mad_co_u64_u32 v[18:19], null, s20, v18, s[6:7]
	v_add3_u32 v17, v17, v20, v21
	v_add_co_u32 v14, vcc_lo, v8, -16
	s_add_nc_u64 s[4:5], s[24:25], s[4:5]
	s_wait_alu 0xfffd
	v_add_co_ci_u32_e64 v15, null, -1, v9, vcc_lo
	v_add_co_u32 v24, vcc_lo, s4, v10
	v_lshlrev_b64_e32 v[20:21], 3, v[16:17]
	s_wait_alu 0xfffd
	v_add_co_ci_u32_e64 v25, null, s5, v11, vcc_lo
	v_add3_u32 v19, v23, v19, v22
	v_lshlrev_b64_e32 v[22:23], 3, v[0:1]
	v_add_co_u32 v16, vcc_lo, 0x80, v24
	s_wait_alu 0xfffd
	v_add_co_ci_u32_e64 v17, null, 0, v25, vcc_lo
	v_add_co_u32 v20, vcc_lo, v20, s6
	s_wait_alu 0xfffd
	v_add_co_ci_u32_e64 v21, null, s7, v21, vcc_lo
	;; [unrolled: 3-line block ×3, first 2 shown]
	v_add_co_u32 v20, vcc_lo, v20, v22
	v_add_nc_u32_e32 v4, 16, v2
	s_wait_alu 0xfffd
	v_add_co_ci_u32_e64 v21, null, v21, v23, vcc_lo
	v_add_co_u32 v18, vcc_lo, s16, v18
	s_ashr_i32 s43, s9, 31
	s_wait_alu 0xfffd
	v_add_co_ci_u32_e64 v19, null, s17, v19, vcc_lo
	v_add_co_u32 v20, vcc_lo, s16, v20
	v_cmp_le_i64_e64 s3, s[42:43], v[6:7]
	v_cmp_le_i32_e64 s0, s9, v2
	v_cmp_gt_i32_e64 s1, s9, v2
	v_cmp_gt_i32_e64 s2, s9, v4
	v_ashrrev_i32_e32 v5, 31, v4
	s_wait_alu 0xfffd
	v_add_co_ci_u32_e64 v21, null, s17, v21, vcc_lo
	v_mov_b32_e32 v22, 0
	s_ashr_i32 s54, s10, 31
	s_add_nc_u64 s[46:47], s[42:43], -16
	s_lshl_b64 s[16:17], s[38:39], 3
	s_lshl_b64 s[18:19], s[36:37], 3
	s_lshl_b64 s[20:21], s[22:23], 3
	s_branch .LBB44_4
.LBB44_2:                               ;   in Loop: Header=BB44_4 Depth=1
	s_add_co_i32 s34, s34, 0x10000
	s_wait_alu 0xfffe
	s_cmp_ge_u32 s34, s11
	s_cselect_b32 s4, -1, 0
.LBB44_3:                               ;   in Loop: Header=BB44_4 Depth=1
	s_wait_alu 0xfffe
	s_and_b32 vcc_lo, exec_lo, s4
	s_wait_alu 0xfffe
	s_cbranch_vccnz .LBB44_56
.LBB44_4:                               ; =>This Loop Header: Depth=1
                                        ;     Child Loop BB44_8 Depth 2
                                        ;       Child Loop BB44_11 Depth 3
	s_mul_u64 s[4:5], s[14:15], s[34:35]
	s_wait_alu 0xfffe
	s_lshl_b64 s[4:5], s[4:5], 3
	s_wait_alu 0xfffe
	s_add_nc_u64 s[4:5], s[12:13], s[4:5]
	global_load_b64 v[24:25], v22, s[4:5]
	s_mov_b32 s4, -1
	s_wait_loadcnt 0x0
	v_cmp_eq_f64_e32 vcc_lo, 0, v[24:25]
	s_cbranch_vccnz .LBB44_3
; %bb.5:                                ;   in Loop: Header=BB44_4 Depth=1
	s_and_not1_b32 vcc_lo, exec_lo, s49
	s_wait_alu 0xfffe
	s_cbranch_vccnz .LBB44_2
; %bb.6:                                ;   in Loop: Header=BB44_4 Depth=1
	v_mad_co_u64_u32 v[26:27], null, s16, s34, v[16:17]
	s_load_b32 s9, s[44:45], 0x4
	v_mad_co_u64_u32 v[28:29], null, s20, s34, v[18:19]
	v_mad_co_u64_u32 v[30:31], null, s20, s34, v[20:21]
	s_mul_i32 s6, s21, s34
	v_mov_b32_e32 v23, v27
	s_mul_u64 s[4:5], s[30:31], s[34:35]
	s_mov_b32 s39, s33
	s_wait_alu 0xfffe
	v_add_nc_u32_e32 v29, s6, v29
	s_lshl_b64 s[4:5], s[4:5], 3
	v_mad_co_u64_u32 v[32:33], null, s17, s34, v[23:24]
	v_add_nc_u32_e32 v31, s6, v31
	s_wait_alu 0xfffe
	s_add_nc_u64 s[22:23], s[40:41], s[4:5]
	s_delay_alu instid0(VALU_DEP_2)
	v_dual_mov_b32 v27, v32 :: v_dual_mov_b32 v32, v57
	s_wait_kmcnt 0x0
	s_lshl_b32 s38, s9, 5
	s_branch .LBB44_8
.LBB44_7:                               ;   in Loop: Header=BB44_8 Depth=2
	s_wait_alu 0xfffe
	s_or_b32 exec_lo, exec_lo, s4
	v_add_nc_u32_e32 v32, s38, v32
	s_add_co_i32 s39, s9, s39
	s_wait_alu 0xfffe
	s_cmp_gt_i32 s39, s48
	s_cbranch_scc1 .LBB44_2
.LBB44_8:                               ;   Parent Loop BB44_4 Depth=1
                                        ; =>  This Loop Header: Depth=2
                                        ;       Child Loop BB44_11 Depth 3
	v_lshl_add_u32 v62, s39, 5, v52
	s_and_not1_b32 vcc_lo, exec_lo, s52
	s_delay_alu instid0(VALU_DEP_1)
	v_ashrrev_i32_e32 v63, 31, v62
	s_wait_alu 0xfffe
	s_cbranch_vccnz .LBB44_47
; %bb.9:                                ;   in Loop: Header=BB44_8 Depth=2
	v_ashrrev_i32_e32 v33, 31, v32
	v_mad_co_u64_u32 v[34:35], null, s18, v32, v[26:27]
	v_mul_lo_u32 v23, s19, v32
	v_mov_b32_e32 v42, 0
	s_delay_alu instid0(VALU_DEP_4) | instskip(SKIP_4) | instid1(VALU_DEP_4)
	v_lshlrev_b64_e32 v[36:37], 3, v[32:33]
	v_mul_lo_u32 v33, s18, v33
	v_dual_mov_b32 v43, 0 :: v_dual_mov_b32 v44, 0
	v_mov_b32_e32 v45, 0
	s_mov_b64 s[24:25], 0
	v_add_co_u32 v36, vcc_lo, 0x80, v36
	s_wait_alu 0xfffd
	v_add_co_ci_u32_e64 v37, null, 0, v37, vcc_lo
	v_sub_co_u32 v38, vcc_lo, s50, v62
	s_delay_alu instid0(VALU_DEP_3) | instskip(NEXT) | instid1(VALU_DEP_3)
	v_mul_lo_u32 v47, s37, v36
	v_mul_lo_u32 v46, s36, v37
	v_mad_co_u64_u32 v[36:37], null, s36, v36, v[26:27]
	s_wait_alu 0xfffd
	v_sub_co_ci_u32_e64 v39, null, s54, v63, vcc_lo
	v_mov_b32_e32 v40, 0
	v_add3_u32 v35, v23, v35, v33
	v_mov_b32_e32 v41, 0
	s_delay_alu instid0(VALU_DEP_4)
	v_cmp_lt_i64_e32 vcc_lo, 0, v[38:39]
	v_cmp_lt_i64_e64 s4, 16, v[38:39]
	v_mov_b32_e32 v38, 0
	v_mov_b32_e32 v39, 0
	v_add3_u32 v37, v47, v37, v46
	s_mov_b64 s[26:27], 0
	s_branch .LBB44_11
.LBB44_10:                              ;   in Loop: Header=BB44_11 Depth=3
	s_wait_alu 0xfffe
	s_or_b32 exec_lo, exec_lo, s5
	s_wait_dscnt 0x0
	s_barrier_signal -1
	s_barrier_wait -1
	global_inv scope:SCOPE_SE
	ds_load_b128 v[46:49], v54
	ds_load_2addr_b64 v[64:67], v53 offset1:16
	ds_load_b128 v[68:71], v54 offset:4096
	ds_load_b128 v[72:75], v54 offset:16
	;; [unrolled: 1-line block ×3, first 2 shown]
	s_add_nc_u64 s[26:27], s[26:27], 32
	s_add_nc_u64 s[24:25], s[24:25], 0x100
	s_wait_alu 0xfffe
	s_cmp_ge_i32 s26, s51
	s_wait_dscnt 0x3
	v_fma_f64 v[44:45], v[64:65], v[46:47], v[44:45]
	v_fma_f64 v[42:43], v[66:67], v[46:47], v[42:43]
	s_wait_dscnt 0x2
	v_fma_f64 v[46:47], v[64:65], v[68:69], v[40:41]
	v_fma_f64 v[50:51], v[66:67], v[68:69], v[38:39]
	ds_load_2addr_b64 v[38:41], v53 offset0:32 offset1:48
	s_wait_dscnt 0x0
	v_fma_f64 v[44:45], v[38:39], v[48:49], v[44:45]
	v_fma_f64 v[42:43], v[40:41], v[48:49], v[42:43]
	v_fma_f64 v[46:47], v[38:39], v[70:71], v[46:47]
	v_fma_f64 v[48:49], v[40:41], v[70:71], v[50:51]
	ds_load_2addr_b64 v[38:41], v53 offset0:64 offset1:80
	s_wait_dscnt 0x0
	v_fma_f64 v[44:45], v[38:39], v[72:73], v[44:45]
	v_fma_f64 v[42:43], v[40:41], v[72:73], v[42:43]
	v_fma_f64 v[46:47], v[38:39], v[76:77], v[46:47]
	v_fma_f64 v[48:49], v[40:41], v[76:77], v[48:49]
	ds_load_2addr_b64 v[38:41], v53 offset0:96 offset1:112
	s_wait_dscnt 0x0
	v_fma_f64 v[50:51], v[38:39], v[74:75], v[44:45]
	v_fma_f64 v[72:73], v[40:41], v[74:75], v[42:43]
	v_fma_f64 v[74:75], v[38:39], v[78:79], v[46:47]
	v_fma_f64 v[76:77], v[40:41], v[78:79], v[48:49]
	ds_load_b128 v[38:41], v54 offset:32
	ds_load_2addr_b64 v[42:45], v53 offset0:128 offset1:144
	ds_load_b128 v[46:49], v54 offset:4128
	ds_load_b128 v[64:67], v54 offset:48
	ds_load_b128 v[68:71], v54 offset:4144
	s_wait_dscnt 0x3
	v_fma_f64 v[50:51], v[42:43], v[38:39], v[50:51]
	v_fma_f64 v[38:39], v[44:45], v[38:39], v[72:73]
	s_wait_dscnt 0x2
	v_fma_f64 v[72:73], v[42:43], v[46:47], v[74:75]
	v_fma_f64 v[46:47], v[44:45], v[46:47], v[76:77]
	ds_load_2addr_b64 v[42:45], v53 offset0:160 offset1:176
	s_wait_dscnt 0x0
	v_fma_f64 v[50:51], v[42:43], v[40:41], v[50:51]
	v_fma_f64 v[74:75], v[44:45], v[40:41], v[38:39]
	v_fma_f64 v[42:43], v[42:43], v[48:49], v[72:73]
	v_fma_f64 v[44:45], v[44:45], v[48:49], v[46:47]
	ds_load_2addr_b64 v[38:41], v53 offset0:192 offset1:208
	s_wait_dscnt 0x0
	v_fma_f64 v[46:47], v[38:39], v[64:65], v[50:51]
	v_fma_f64 v[48:49], v[40:41], v[64:65], v[74:75]
	v_fma_f64 v[42:43], v[38:39], v[68:69], v[42:43]
	v_fma_f64 v[44:45], v[40:41], v[68:69], v[44:45]
	ds_load_2addr_b64 v[38:41], v53 offset0:224 offset1:240
	s_wait_dscnt 0x0
	v_fma_f64 v[50:51], v[38:39], v[66:67], v[46:47]
	v_fma_f64 v[72:73], v[40:41], v[66:67], v[48:49]
	v_fma_f64 v[74:75], v[38:39], v[70:71], v[42:43]
	v_fma_f64 v[76:77], v[40:41], v[70:71], v[44:45]
	ds_load_b128 v[38:41], v54 offset:64
	ds_load_2addr_b64 v[42:45], v59 offset1:16
	ds_load_b128 v[46:49], v54 offset:4160
	ds_load_b128 v[64:67], v54 offset:80
	ds_load_b128 v[68:71], v54 offset:4176
	s_wait_dscnt 0x3
	v_fma_f64 v[50:51], v[42:43], v[38:39], v[50:51]
	v_fma_f64 v[38:39], v[44:45], v[38:39], v[72:73]
	s_wait_dscnt 0x2
	v_fma_f64 v[72:73], v[42:43], v[46:47], v[74:75]
	v_fma_f64 v[46:47], v[44:45], v[46:47], v[76:77]
	ds_load_2addr_b64 v[42:45], v59 offset0:32 offset1:48
	s_wait_dscnt 0x0
	v_fma_f64 v[50:51], v[42:43], v[40:41], v[50:51]
	v_fma_f64 v[74:75], v[44:45], v[40:41], v[38:39]
	v_fma_f64 v[42:43], v[42:43], v[48:49], v[72:73]
	v_fma_f64 v[44:45], v[44:45], v[48:49], v[46:47]
	ds_load_2addr_b64 v[38:41], v59 offset0:64 offset1:80
	s_wait_dscnt 0x0
	v_fma_f64 v[46:47], v[38:39], v[64:65], v[50:51]
	v_fma_f64 v[48:49], v[40:41], v[64:65], v[74:75]
	v_fma_f64 v[42:43], v[38:39], v[68:69], v[42:43]
	v_fma_f64 v[44:45], v[40:41], v[68:69], v[44:45]
	ds_load_2addr_b64 v[38:41], v59 offset0:96 offset1:112
	s_wait_dscnt 0x0
	v_fma_f64 v[50:51], v[38:39], v[66:67], v[46:47]
	v_fma_f64 v[72:73], v[40:41], v[66:67], v[48:49]
	v_fma_f64 v[74:75], v[38:39], v[70:71], v[42:43]
	v_fma_f64 v[76:77], v[40:41], v[70:71], v[44:45]
	ds_load_b128 v[38:41], v54 offset:96
	ds_load_2addr_b64 v[42:45], v59 offset0:128 offset1:144
	ds_load_b128 v[46:49], v54 offset:4192
	ds_load_b128 v[64:67], v54 offset:112
	ds_load_b128 v[68:71], v54 offset:4208
	s_wait_dscnt 0x3
	v_fma_f64 v[50:51], v[42:43], v[38:39], v[50:51]
	v_fma_f64 v[38:39], v[44:45], v[38:39], v[72:73]
	s_wait_dscnt 0x2
	v_fma_f64 v[72:73], v[42:43], v[46:47], v[74:75]
	v_fma_f64 v[46:47], v[44:45], v[46:47], v[76:77]
	ds_load_2addr_b64 v[42:45], v59 offset0:160 offset1:176
	s_wait_dscnt 0x0
	v_fma_f64 v[50:51], v[42:43], v[40:41], v[50:51]
	v_fma_f64 v[74:75], v[44:45], v[40:41], v[38:39]
	v_fma_f64 v[42:43], v[42:43], v[48:49], v[72:73]
	v_fma_f64 v[44:45], v[44:45], v[48:49], v[46:47]
	ds_load_2addr_b64 v[38:41], v59 offset0:192 offset1:208
	s_wait_dscnt 0x0
	v_fma_f64 v[46:47], v[38:39], v[64:65], v[50:51]
	v_fma_f64 v[48:49], v[40:41], v[64:65], v[74:75]
	v_fma_f64 v[42:43], v[38:39], v[68:69], v[42:43]
	v_fma_f64 v[44:45], v[40:41], v[68:69], v[44:45]
	ds_load_2addr_b64 v[38:41], v59 offset0:224 offset1:240
	s_wait_dscnt 0x0
	v_fma_f64 v[50:51], v[38:39], v[66:67], v[46:47]
	v_fma_f64 v[72:73], v[40:41], v[66:67], v[48:49]
	v_fma_f64 v[74:75], v[38:39], v[70:71], v[42:43]
	v_fma_f64 v[76:77], v[40:41], v[70:71], v[44:45]
	ds_load_b128 v[38:41], v54 offset:128
	ds_load_2addr_b64 v[42:45], v60 offset1:16
	ds_load_b128 v[46:49], v54 offset:4224
	ds_load_b128 v[64:67], v54 offset:144
	ds_load_b128 v[68:71], v54 offset:4240
	;; [unrolled: 58-line block ×3, first 2 shown]
	s_wait_dscnt 0x3
	v_fma_f64 v[50:51], v[42:43], v[38:39], v[50:51]
	v_fma_f64 v[38:39], v[44:45], v[38:39], v[72:73]
	s_wait_dscnt 0x2
	v_fma_f64 v[72:73], v[42:43], v[46:47], v[74:75]
	v_fma_f64 v[46:47], v[44:45], v[46:47], v[76:77]
	ds_load_2addr_b64 v[42:45], v61 offset0:32 offset1:48
	s_wait_dscnt 0x0
	v_fma_f64 v[50:51], v[42:43], v[40:41], v[50:51]
	v_fma_f64 v[74:75], v[44:45], v[40:41], v[38:39]
	v_fma_f64 v[42:43], v[42:43], v[48:49], v[72:73]
	v_fma_f64 v[44:45], v[44:45], v[48:49], v[46:47]
	ds_load_2addr_b64 v[38:41], v61 offset0:64 offset1:80
	s_wait_dscnt 0x0
	v_fma_f64 v[46:47], v[38:39], v[64:65], v[50:51]
	v_fma_f64 v[48:49], v[40:41], v[64:65], v[74:75]
	;; [unrolled: 6-line block ×3, first 2 shown]
	v_fma_f64 v[74:75], v[38:39], v[70:71], v[42:43]
	v_fma_f64 v[76:77], v[40:41], v[70:71], v[44:45]
	ds_load_b128 v[38:41], v54 offset:224
	ds_load_2addr_b64 v[42:45], v61 offset0:128 offset1:144
	ds_load_b128 v[46:49], v54 offset:4320
	ds_load_b128 v[64:67], v54 offset:240
	;; [unrolled: 1-line block ×3, first 2 shown]
	s_wait_dscnt 0x3
	v_fma_f64 v[50:51], v[42:43], v[38:39], v[50:51]
	v_fma_f64 v[38:39], v[44:45], v[38:39], v[72:73]
	s_wait_dscnt 0x2
	v_fma_f64 v[72:73], v[42:43], v[46:47], v[74:75]
	v_fma_f64 v[46:47], v[44:45], v[46:47], v[76:77]
	ds_load_2addr_b64 v[42:45], v61 offset0:160 offset1:176
	s_wait_dscnt 0x0
	v_fma_f64 v[50:51], v[42:43], v[40:41], v[50:51]
	v_fma_f64 v[74:75], v[44:45], v[40:41], v[38:39]
	;; [unrolled: 1-line block ×4, first 2 shown]
	ds_load_2addr_b64 v[38:41], v61 offset0:192 offset1:208
	ds_load_2addr_b64 v[46:49], v61 offset0:224 offset1:240
	s_wait_loadcnt_dscnt 0x0
	s_barrier_signal -1
	s_barrier_wait -1
	global_inv scope:SCOPE_SE
	v_fma_f64 v[50:51], v[38:39], v[64:65], v[50:51]
	v_fma_f64 v[64:65], v[40:41], v[64:65], v[74:75]
	v_fma_f64 v[38:39], v[38:39], v[68:69], v[42:43]
	v_fma_f64 v[68:69], v[40:41], v[68:69], v[44:45]
	s_delay_alu instid0(VALU_DEP_4) | instskip(NEXT) | instid1(VALU_DEP_4)
	v_fma_f64 v[44:45], v[46:47], v[66:67], v[50:51]
	v_fma_f64 v[42:43], v[48:49], v[66:67], v[64:65]
	s_delay_alu instid0(VALU_DEP_4) | instskip(NEXT) | instid1(VALU_DEP_4)
	v_fma_f64 v[40:41], v[46:47], v[70:71], v[38:39]
	v_fma_f64 v[38:39], v[48:49], v[70:71], v[68:69]
	s_cbranch_scc1 .LBB44_48
.LBB44_11:                              ;   Parent Loop BB44_4 Depth=1
                                        ;     Parent Loop BB44_8 Depth=2
                                        ; =>    This Inner Loop Header: Depth=3
	s_wait_alu 0xfffe
	v_add_co_u32 v48, s5, v0, s26
	s_wait_alu 0xf1ff
	v_add_co_ci_u32_e64 v49, null, s27, v1, s5
	v_cmp_eq_u64_e64 s7, s[26:27], v[8:9]
                                        ; implicit-def: $vgpr50_vgpr51
	s_delay_alu instid0(VALU_DEP_2)
	v_cmp_le_i64_e64 s6, s[42:43], v[48:49]
	v_cmp_lt_i64_e64 s5, v[48:49], v[2:3]
	s_and_b32 s55, s53, s7
	v_add_co_u32 v46, s7, v30, s24
	s_wait_alu 0xf1ff
	v_add_co_ci_u32_e64 v47, null, s25, v31, s7
	s_or_b32 s8, s6, s5
	s_wait_alu 0xfffe
	s_or_b32 s7, s8, s55
	s_wait_alu 0xfffe
	s_nor_b32 s7, s0, s7
	s_wait_alu 0xfffe
	s_and_saveexec_b32 s8, s7
	s_wait_alu 0xfffe
	s_xor_b32 s7, exec_lo, s8
	s_cbranch_execz .LBB44_13
; %bb.12:                               ;   in Loop: Header=BB44_11 Depth=3
	global_load_b64 v[50:51], v[46:47], off
.LBB44_13:                              ;   in Loop: Header=BB44_11 Depth=3
	s_wait_alu 0xfffe
	s_and_not1_saveexec_b32 s7, s7
	s_cbranch_execz .LBB44_15
; %bb.14:                               ;   in Loop: Header=BB44_11 Depth=3
	v_cndmask_b32_e64 v23, 0, 0x3ff00000, s55
	s_wait_loadcnt 0x0
	s_delay_alu instid0(VALU_DEP_1)
	v_dual_mov_b32 v51, v23 :: v_dual_mov_b32 v50, v22
.LBB44_15:                              ;   in Loop: Header=BB44_11 Depth=3
	s_wait_alu 0xfffe
	s_or_b32 exec_lo, exec_lo, s7
	v_cmp_eq_u64_e64 s7, s[26:27], v[12:13]
	v_cmp_gt_i64_e64 s8, v[6:7], v[48:49]
	s_wait_loadcnt 0x0
	ds_store_b64 v55, v[50:51]
	s_and_b32 s7, s53, s7
	s_or_b32 s6, s6, s8
	s_wait_alu 0xfffe
	s_or_b32 s6, s6, s7
	s_wait_alu 0xfffe
	s_nor_b32 s6, s3, s6
	s_wait_alu 0xfffe
	s_and_saveexec_b32 s8, s6
	s_wait_alu 0xfffe
	s_xor_b32 s8, exec_lo, s8
	s_cbranch_execz .LBB44_17
; %bb.16:                               ;   in Loop: Header=BB44_11 Depth=3
	v_add_co_u32 v50, s6, v28, s24
	s_wait_alu 0xf1ff
	v_add_co_ci_u32_e64 v51, null, s25, v29, s6
	global_load_b64 v[50:51], v[50:51], off
	s_wait_loadcnt 0x0
	ds_store_b64 v55, v[50:51] offset:128
.LBB44_17:                              ;   in Loop: Header=BB44_11 Depth=3
	s_wait_alu 0xfffe
	s_and_not1_saveexec_b32 s6, s8
	s_cbranch_execz .LBB44_23
; %bb.18:                               ;   in Loop: Header=BB44_11 Depth=3
	s_xor_b32 s7, s7, -1
	s_wait_alu 0xfffe
	s_and_saveexec_b32 s8, s7
	s_wait_alu 0xfffe
	s_xor_b32 s7, exec_lo, s8
; %bb.19:                               ;   in Loop: Header=BB44_11 Depth=3
	v_mov_b32_e32 v23, v22
	ds_store_b64 v55, v[22:23] offset:128
; %bb.20:                               ;   in Loop: Header=BB44_11 Depth=3
	s_wait_alu 0xfffe
	s_and_not1_saveexec_b32 s7, s7
; %bb.21:                               ;   in Loop: Header=BB44_11 Depth=3
	v_mov_b32_e32 v23, v58
	ds_store_b64 v55, v[22:23] offset:128
; %bb.22:                               ;   in Loop: Header=BB44_11 Depth=3
	s_wait_alu 0xfffe
	s_or_b32 exec_lo, exec_lo, s7
.LBB44_23:                              ;   in Loop: Header=BB44_11 Depth=3
	s_wait_alu 0xfffe
	s_or_b32 exec_lo, exec_lo, s6
	v_add_co_u32 v48, s6, v48, 16
	s_wait_alu 0xf1ff
	v_add_co_ci_u32_e64 v49, null, 0, v49, s6
	v_cmp_eq_u64_e64 s7, s[26:27], v[14:15]
	s_delay_alu instid0(VALU_DEP_2)
	v_cmp_le_i64_e64 s6, s[42:43], v[48:49]
	v_cmp_lt_i64_e64 s8, v[48:49], v[2:3]
                                        ; implicit-def: $vgpr48_vgpr49
	s_and_b32 s7, s53, s7
	s_or_b32 s8, s6, s8
	s_wait_alu 0xfffe
	s_or_b32 s8, s8, s7
	s_wait_alu 0xfffe
	s_nor_b32 s8, s0, s8
	s_wait_alu 0xfffe
	s_and_saveexec_b32 s56, s8
	s_delay_alu instid0(SALU_CYCLE_1)
	s_xor_b32 s8, exec_lo, s56
	s_cbranch_execz .LBB44_25
; %bb.24:                               ;   in Loop: Header=BB44_11 Depth=3
	global_load_b64 v[48:49], v[46:47], off offset:128
.LBB44_25:                              ;   in Loop: Header=BB44_11 Depth=3
	s_wait_alu 0xfffe
	s_and_not1_saveexec_b32 s8, s8
	s_cbranch_execz .LBB44_27
; %bb.26:                               ;   in Loop: Header=BB44_11 Depth=3
	v_cndmask_b32_e64 v23, 0, 0x3ff00000, s7
	s_wait_loadcnt 0x0
	s_delay_alu instid0(VALU_DEP_1)
	v_dual_mov_b32 v49, v23 :: v_dual_mov_b32 v48, v22
.LBB44_27:                              ;   in Loop: Header=BB44_11 Depth=3
	s_wait_alu 0xfffe
	s_or_b32 exec_lo, exec_lo, s8
	s_or_b32 s5, s6, s5
	s_wait_loadcnt 0x0
	ds_store_b64 v55, v[48:49] offset:4096
	s_wait_alu 0xfffe
	s_or_b32 s5, s5, s55
	s_wait_alu 0xfffe
	s_nor_b32 s5, s3, s5
	s_wait_alu 0xfffe
	s_and_saveexec_b32 s6, s5
	s_wait_alu 0xfffe
	s_xor_b32 s6, exec_lo, s6
	s_cbranch_execz .LBB44_29
; %bb.28:                               ;   in Loop: Header=BB44_11 Depth=3
	v_add_co_u32 v46, s5, v28, s24
	s_wait_alu 0xf1ff
	v_add_co_ci_u32_e64 v47, null, s25, v29, s5
	global_load_b64 v[46:47], v[46:47], off offset:128
	s_wait_loadcnt 0x0
	ds_store_b64 v55, v[46:47] offset:4224
.LBB44_29:                              ;   in Loop: Header=BB44_11 Depth=3
	s_wait_alu 0xfffe
	s_and_not1_saveexec_b32 s5, s6
	s_cbranch_execz .LBB44_35
; %bb.30:                               ;   in Loop: Header=BB44_11 Depth=3
	s_xor_b32 s6, s55, -1
	s_wait_alu 0xfffe
	s_and_saveexec_b32 s7, s6
	s_wait_alu 0xfffe
	s_xor_b32 s6, exec_lo, s7
; %bb.31:                               ;   in Loop: Header=BB44_11 Depth=3
	v_mov_b32_e32 v23, v22
	ds_store_b64 v55, v[22:23] offset:4224
; %bb.32:                               ;   in Loop: Header=BB44_11 Depth=3
	s_wait_alu 0xfffe
	s_and_not1_saveexec_b32 s6, s6
; %bb.33:                               ;   in Loop: Header=BB44_11 Depth=3
	v_mov_b32_e32 v23, v58
	ds_store_b64 v55, v[22:23] offset:4224
; %bb.34:                               ;   in Loop: Header=BB44_11 Depth=3
	s_wait_alu 0xfffe
	s_or_b32 exec_lo, exec_lo, s6
.LBB44_35:                              ;   in Loop: Header=BB44_11 Depth=3
	s_wait_alu 0xfffe
	s_or_b32 exec_lo, exec_lo, s5
	v_add_co_u32 v48, s5, v2, s26
	s_wait_alu 0xf1ff
	v_add_co_ci_u32_e64 v49, null, s27, v3, s5
	v_add_co_u32 v46, s6, v34, s24
	v_mov_b32_e32 v50, 0
	s_delay_alu instid0(VALU_DEP_3)
	v_cmp_gt_i64_e64 s5, s[42:43], v[48:49]
	v_mov_b32_e32 v51, 0
	s_wait_alu 0xf1ff
	v_add_co_ci_u32_e64 v47, null, s25, v35, s6
	s_and_b32 s7, vcc_lo, s5
	s_wait_alu 0xfffe
	s_and_saveexec_b32 s6, s7
	s_cbranch_execz .LBB44_37
; %bb.36:                               ;   in Loop: Header=BB44_11 Depth=3
	global_load_b64 v[50:51], v[46:47], off offset:-128
.LBB44_37:                              ;   in Loop: Header=BB44_11 Depth=3
	s_wait_alu 0xfffe
	s_or_b32 exec_lo, exec_lo, s6
	v_cmp_gt_i64_e64 s6, s[46:47], v[48:49]
	s_wait_loadcnt 0x0
	ds_store_b64 v56, v[50:51]
	s_and_b32 s7, vcc_lo, s6
	s_wait_alu 0xfffe
	s_xor_b32 s7, s7, -1
	s_wait_alu 0xfffe
	s_and_saveexec_b32 s8, s7
	s_wait_alu 0xfffe
	s_xor_b32 s7, exec_lo, s8
; %bb.38:                               ;   in Loop: Header=BB44_11 Depth=3
	v_mov_b32_e32 v23, v22
                                        ; implicit-def: $vgpr46_vgpr47
	ds_store_b64 v56, v[22:23] offset:128
; %bb.39:                               ;   in Loop: Header=BB44_11 Depth=3
	s_wait_alu 0xfffe
	s_and_not1_saveexec_b32 s7, s7
	s_cbranch_execz .LBB44_41
; %bb.40:                               ;   in Loop: Header=BB44_11 Depth=3
	global_load_b64 v[46:47], v[46:47], off
	s_wait_loadcnt 0x0
	ds_store_b64 v56, v[46:47] offset:128
.LBB44_41:                              ;   in Loop: Header=BB44_11 Depth=3
	s_wait_alu 0xfffe
	s_or_b32 exec_lo, exec_lo, s7
	v_add_co_u32 v46, s7, v36, s24
	v_mov_b32_e32 v48, 0
	v_mov_b32_e32 v49, 0
	s_wait_alu 0xf1ff
	v_add_co_ci_u32_e64 v47, null, s25, v37, s7
	s_and_b32 s7, s4, s5
	s_wait_alu 0xfffe
	s_and_saveexec_b32 s5, s7
	s_cbranch_execz .LBB44_43
; %bb.42:                               ;   in Loop: Header=BB44_11 Depth=3
	global_load_b64 v[48:49], v[46:47], off offset:-128
.LBB44_43:                              ;   in Loop: Header=BB44_11 Depth=3
	s_wait_alu 0xfffe
	s_or_b32 exec_lo, exec_lo, s5
	s_and_b32 s5, s4, s6
	s_wait_loadcnt 0x0
	ds_store_b64 v56, v[48:49] offset:4096
	s_wait_alu 0xfffe
	s_xor_b32 s5, s5, -1
	s_wait_alu 0xfffe
	s_and_saveexec_b32 s6, s5
	s_wait_alu 0xfffe
	s_xor_b32 s5, exec_lo, s6
; %bb.44:                               ;   in Loop: Header=BB44_11 Depth=3
	v_mov_b32_e32 v23, v22
                                        ; implicit-def: $vgpr46_vgpr47
	ds_store_b64 v56, v[22:23] offset:4224
; %bb.45:                               ;   in Loop: Header=BB44_11 Depth=3
	s_wait_alu 0xfffe
	s_and_not1_saveexec_b32 s5, s5
	s_cbranch_execz .LBB44_10
; %bb.46:                               ;   in Loop: Header=BB44_11 Depth=3
	global_load_b64 v[46:47], v[46:47], off
	s_wait_loadcnt 0x0
	ds_store_b64 v56, v[46:47] offset:4224
	s_branch .LBB44_10
.LBB44_47:                              ;   in Loop: Header=BB44_8 Depth=2
	v_mov_b32_e32 v44, 0
	v_dual_mov_b32 v40, 0 :: v_dual_mov_b32 v45, 0
	v_dual_mov_b32 v42, 0 :: v_dual_mov_b32 v41, 0
	;; [unrolled: 1-line block ×3, first 2 shown]
	v_mov_b32_e32 v39, 0
.LBB44_48:                              ;   in Loop: Header=BB44_8 Depth=2
	v_mul_lo_u32 v23, s29, v62
	v_mul_lo_u32 v35, s28, v63
	v_mad_co_u64_u32 v[33:34], null, s28, v62, 0
	v_cmp_gt_i32_e32 vcc_lo, s10, v62
	s_delay_alu instid0(VALU_DEP_2) | instskip(NEXT) | instid1(VALU_DEP_1)
	v_add3_u32 v34, v34, v35, v23
	v_lshlrev_b64_e32 v[33:34], 3, v[33:34]
	s_delay_alu instid0(VALU_DEP_1) | instskip(SKIP_1) | instid1(VALU_DEP_2)
	v_add_co_u32 v23, s4, s22, v33
	s_wait_alu 0xf1ff
	v_add_co_ci_u32_e64 v33, null, s23, v34, s4
	s_and_b32 s4, s1, vcc_lo
	s_wait_alu 0xfffe
	s_and_saveexec_b32 s5, s4
	s_cbranch_execz .LBB44_50
; %bb.49:                               ;   in Loop: Header=BB44_8 Depth=2
	v_add_co_u32 v34, s4, v23, v10
	s_wait_alu 0xf1ff
	v_add_co_ci_u32_e64 v35, null, v33, v11, s4
	global_load_b64 v[36:37], v[34:35], off
	s_wait_loadcnt 0x0
	v_fma_f64 v[36:37], v[24:25], v[44:45], v[36:37]
	global_store_b64 v[34:35], v[36:37], off
.LBB44_50:                              ;   in Loop: Header=BB44_8 Depth=2
	s_wait_alu 0xfffe
	s_or_b32 exec_lo, exec_lo, s5
	s_and_b32 s5, s2, vcc_lo
	s_wait_alu 0xfffe
	s_and_saveexec_b32 s4, s5
	s_cbranch_execz .LBB44_52
; %bb.51:                               ;   in Loop: Header=BB44_8 Depth=2
	v_lshlrev_b64_e32 v[34:35], 3, v[4:5]
	s_delay_alu instid0(VALU_DEP_1) | instskip(SKIP_1) | instid1(VALU_DEP_2)
	v_add_co_u32 v34, vcc_lo, v23, v34
	s_wait_alu 0xfffd
	v_add_co_ci_u32_e64 v35, null, v33, v35, vcc_lo
	global_load_b64 v[36:37], v[34:35], off
	s_wait_loadcnt 0x0
	v_fma_f64 v[36:37], v[24:25], v[42:43], v[36:37]
	global_store_b64 v[34:35], v[36:37], off
.LBB44_52:                              ;   in Loop: Header=BB44_8 Depth=2
	s_wait_alu 0xfffe
	s_or_b32 exec_lo, exec_lo, s4
	v_add_nc_u32_e32 v23, 16, v62
	s_delay_alu instid0(VALU_DEP_1) | instskip(SKIP_3) | instid1(VALU_DEP_4)
	v_ashrrev_i32_e32 v35, 31, v23
	v_mul_lo_u32 v36, s29, v23
	v_mad_co_u64_u32 v[33:34], null, s28, v23, 0
	v_cmp_gt_i32_e32 vcc_lo, s10, v23
	v_mul_lo_u32 v35, s28, v35
	s_delay_alu instid0(VALU_DEP_1) | instskip(NEXT) | instid1(VALU_DEP_1)
	v_add3_u32 v34, v34, v35, v36
	v_lshlrev_b64_e32 v[33:34], 3, v[33:34]
	s_delay_alu instid0(VALU_DEP_1) | instskip(SKIP_1) | instid1(VALU_DEP_2)
	v_add_co_u32 v23, s4, s22, v33
	s_wait_alu 0xf1ff
	v_add_co_ci_u32_e64 v33, null, s23, v34, s4
	s_and_b32 s4, s1, vcc_lo
	s_wait_alu 0xfffe
	s_and_saveexec_b32 s5, s4
	s_cbranch_execz .LBB44_54
; %bb.53:                               ;   in Loop: Header=BB44_8 Depth=2
	v_add_co_u32 v34, s4, v23, v10
	s_wait_alu 0xf1ff
	v_add_co_ci_u32_e64 v35, null, v33, v11, s4
	global_load_b64 v[36:37], v[34:35], off
	s_wait_loadcnt 0x0
	v_fma_f64 v[36:37], v[24:25], v[40:41], v[36:37]
	global_store_b64 v[34:35], v[36:37], off
.LBB44_54:                              ;   in Loop: Header=BB44_8 Depth=2
	s_wait_alu 0xfffe
	s_or_b32 exec_lo, exec_lo, s5
	s_and_b32 s5, s2, vcc_lo
	s_wait_alu 0xfffe
	s_and_saveexec_b32 s4, s5
	s_cbranch_execz .LBB44_7
; %bb.55:                               ;   in Loop: Header=BB44_8 Depth=2
	v_lshlrev_b64_e32 v[34:35], 3, v[4:5]
	s_delay_alu instid0(VALU_DEP_1) | instskip(SKIP_1) | instid1(VALU_DEP_2)
	v_add_co_u32 v34, vcc_lo, v23, v34
	s_wait_alu 0xfffd
	v_add_co_ci_u32_e64 v35, null, v33, v35, vcc_lo
	global_load_b64 v[36:37], v[34:35], off
	s_wait_loadcnt 0x0
	v_fma_f64 v[36:37], v[24:25], v[38:39], v[36:37]
	global_store_b64 v[34:35], v[36:37], off
	s_branch .LBB44_7
.LBB44_56:
	s_endpgm
	.section	.rodata,"a",@progbits
	.p2align	6, 0x0
	.amdhsa_kernel _ZL30rocblas_trmm_outofplace_kernelIdLi32ELi2ELb1ELb0ELb1ELb1EPKdS0_dEv17rocblas_diagonal_iiT6_lPT7_lllS5_lllPT8_llli
		.amdhsa_group_segment_fixed_size 16384
		.amdhsa_private_segment_fixed_size 0
		.amdhsa_kernarg_size 392
		.amdhsa_user_sgpr_count 2
		.amdhsa_user_sgpr_dispatch_ptr 0
		.amdhsa_user_sgpr_queue_ptr 0
		.amdhsa_user_sgpr_kernarg_segment_ptr 1
		.amdhsa_user_sgpr_dispatch_id 0
		.amdhsa_user_sgpr_private_segment_size 0
		.amdhsa_wavefront_size32 1
		.amdhsa_uses_dynamic_stack 0
		.amdhsa_enable_private_segment 0
		.amdhsa_system_sgpr_workgroup_id_x 1
		.amdhsa_system_sgpr_workgroup_id_y 1
		.amdhsa_system_sgpr_workgroup_id_z 1
		.amdhsa_system_sgpr_workgroup_info 0
		.amdhsa_system_vgpr_workitem_id 1
		.amdhsa_next_free_vgpr 80
		.amdhsa_next_free_sgpr 57
		.amdhsa_reserve_vcc 1
		.amdhsa_float_round_mode_32 0
		.amdhsa_float_round_mode_16_64 0
		.amdhsa_float_denorm_mode_32 3
		.amdhsa_float_denorm_mode_16_64 3
		.amdhsa_fp16_overflow 0
		.amdhsa_workgroup_processor_mode 1
		.amdhsa_memory_ordered 1
		.amdhsa_forward_progress 1
		.amdhsa_inst_pref_size 35
		.amdhsa_round_robin_scheduling 0
		.amdhsa_exception_fp_ieee_invalid_op 0
		.amdhsa_exception_fp_denorm_src 0
		.amdhsa_exception_fp_ieee_div_zero 0
		.amdhsa_exception_fp_ieee_overflow 0
		.amdhsa_exception_fp_ieee_underflow 0
		.amdhsa_exception_fp_ieee_inexact 0
		.amdhsa_exception_int_div_zero 0
	.end_amdhsa_kernel
	.section	.text._ZL30rocblas_trmm_outofplace_kernelIdLi32ELi2ELb1ELb0ELb1ELb1EPKdS0_dEv17rocblas_diagonal_iiT6_lPT7_lllS5_lllPT8_llli,"axG",@progbits,_ZL30rocblas_trmm_outofplace_kernelIdLi32ELi2ELb1ELb0ELb1ELb1EPKdS0_dEv17rocblas_diagonal_iiT6_lPT7_lllS5_lllPT8_llli,comdat
.Lfunc_end44:
	.size	_ZL30rocblas_trmm_outofplace_kernelIdLi32ELi2ELb1ELb0ELb1ELb1EPKdS0_dEv17rocblas_diagonal_iiT6_lPT7_lllS5_lllPT8_llli, .Lfunc_end44-_ZL30rocblas_trmm_outofplace_kernelIdLi32ELi2ELb1ELb0ELb1ELb1EPKdS0_dEv17rocblas_diagonal_iiT6_lPT7_lllS5_lllPT8_llli
                                        ; -- End function
	.set _ZL30rocblas_trmm_outofplace_kernelIdLi32ELi2ELb1ELb0ELb1ELb1EPKdS0_dEv17rocblas_diagonal_iiT6_lPT7_lllS5_lllPT8_llli.num_vgpr, 80
	.set _ZL30rocblas_trmm_outofplace_kernelIdLi32ELi2ELb1ELb0ELb1ELb1EPKdS0_dEv17rocblas_diagonal_iiT6_lPT7_lllS5_lllPT8_llli.num_agpr, 0
	.set _ZL30rocblas_trmm_outofplace_kernelIdLi32ELi2ELb1ELb0ELb1ELb1EPKdS0_dEv17rocblas_diagonal_iiT6_lPT7_lllS5_lllPT8_llli.numbered_sgpr, 57
	.set _ZL30rocblas_trmm_outofplace_kernelIdLi32ELi2ELb1ELb0ELb1ELb1EPKdS0_dEv17rocblas_diagonal_iiT6_lPT7_lllS5_lllPT8_llli.num_named_barrier, 0
	.set _ZL30rocblas_trmm_outofplace_kernelIdLi32ELi2ELb1ELb0ELb1ELb1EPKdS0_dEv17rocblas_diagonal_iiT6_lPT7_lllS5_lllPT8_llli.private_seg_size, 0
	.set _ZL30rocblas_trmm_outofplace_kernelIdLi32ELi2ELb1ELb0ELb1ELb1EPKdS0_dEv17rocblas_diagonal_iiT6_lPT7_lllS5_lllPT8_llli.uses_vcc, 1
	.set _ZL30rocblas_trmm_outofplace_kernelIdLi32ELi2ELb1ELb0ELb1ELb1EPKdS0_dEv17rocblas_diagonal_iiT6_lPT7_lllS5_lllPT8_llli.uses_flat_scratch, 0
	.set _ZL30rocblas_trmm_outofplace_kernelIdLi32ELi2ELb1ELb0ELb1ELb1EPKdS0_dEv17rocblas_diagonal_iiT6_lPT7_lllS5_lllPT8_llli.has_dyn_sized_stack, 0
	.set _ZL30rocblas_trmm_outofplace_kernelIdLi32ELi2ELb1ELb0ELb1ELb1EPKdS0_dEv17rocblas_diagonal_iiT6_lPT7_lllS5_lllPT8_llli.has_recursion, 0
	.set _ZL30rocblas_trmm_outofplace_kernelIdLi32ELi2ELb1ELb0ELb1ELb1EPKdS0_dEv17rocblas_diagonal_iiT6_lPT7_lllS5_lllPT8_llli.has_indirect_call, 0
	.section	.AMDGPU.csdata,"",@progbits
; Kernel info:
; codeLenInByte = 4464
; TotalNumSgprs: 59
; NumVgprs: 80
; ScratchSize: 0
; MemoryBound: 0
; FloatMode: 240
; IeeeMode: 1
; LDSByteSize: 16384 bytes/workgroup (compile time only)
; SGPRBlocks: 0
; VGPRBlocks: 9
; NumSGPRsForWavesPerEU: 59
; NumVGPRsForWavesPerEU: 80
; Occupancy: 16
; WaveLimiterHint : 0
; COMPUTE_PGM_RSRC2:SCRATCH_EN: 0
; COMPUTE_PGM_RSRC2:USER_SGPR: 2
; COMPUTE_PGM_RSRC2:TRAP_HANDLER: 0
; COMPUTE_PGM_RSRC2:TGID_X_EN: 1
; COMPUTE_PGM_RSRC2:TGID_Y_EN: 1
; COMPUTE_PGM_RSRC2:TGID_Z_EN: 1
; COMPUTE_PGM_RSRC2:TIDIG_COMP_CNT: 1
	.section	.text._ZL30rocblas_trmm_outofplace_kernelIdLi32ELi2ELb1ELb0ELb1ELb1EdKddEv17rocblas_diagonal_iiT6_lPT7_lllS4_lllPT8_llli,"axG",@progbits,_ZL30rocblas_trmm_outofplace_kernelIdLi32ELi2ELb1ELb0ELb1ELb1EdKddEv17rocblas_diagonal_iiT6_lPT7_lllS4_lllPT8_llli,comdat
	.globl	_ZL30rocblas_trmm_outofplace_kernelIdLi32ELi2ELb1ELb0ELb1ELb1EdKddEv17rocblas_diagonal_iiT6_lPT7_lllS4_lllPT8_llli ; -- Begin function _ZL30rocblas_trmm_outofplace_kernelIdLi32ELi2ELb1ELb0ELb1ELb1EdKddEv17rocblas_diagonal_iiT6_lPT7_lllS4_lllPT8_llli
	.p2align	8
	.type	_ZL30rocblas_trmm_outofplace_kernelIdLi32ELi2ELb1ELb0ELb1ELb1EdKddEv17rocblas_diagonal_iiT6_lPT7_lllS4_lllPT8_llli,@function
_ZL30rocblas_trmm_outofplace_kernelIdLi32ELi2ELb1ELb0ELb1ELb1EdKddEv17rocblas_diagonal_iiT6_lPT7_lllS4_lllPT8_llli: ; @_ZL30rocblas_trmm_outofplace_kernelIdLi32ELi2ELb1ELb0ELb1ELb1EdKddEv17rocblas_diagonal_iiT6_lPT7_lllS4_lllPT8_llli
; %bb.0:
	s_load_b32 s31, s[0:1], 0x80
	s_lshr_b32 s34, ttmp7, 16
	s_wait_kmcnt 0x0
	s_cmp_ge_u32 s34, s31
	s_cbranch_scc1 .LBB45_55
; %bb.1:
	s_load_b64 s[36:37], s[0:1], 0x10
	s_wait_kmcnt 0x0
	v_cmp_eq_f64_e64 s2, s[36:37], 0
	s_and_b32 vcc_lo, exec_lo, s2
	s_cbranch_vccnz .LBB45_55
; %bb.2:
	s_load_b96 s[28:30], s[0:1], 0x0
	v_bfe_u32 v50, v0, 10, 10
	v_and_b32_e32 v1, 0x3ff, v0
	s_and_b32 s33, ttmp7, 0xffff
	s_load_b512 s[4:19], s[0:1], 0x20
	s_add_nc_u64 s[38:39], s[0:1], 0x88
	v_lshlrev_b32_e32 v0, 8, v50
	v_dual_mov_b32 v56, 0x3ff00000 :: v_dual_lshlrev_b32 v51, 3, v1
	s_load_b256 s[20:27], s[0:1], 0x60
	v_lshl_add_u32 v55, s33, 5, v50
	s_delay_alu instid0(VALU_DEP_3) | instskip(NEXT) | instid1(VALU_DEP_3)
	v_add_nc_u32_e32 v52, 0x2000, v0
	v_add_nc_u32_e32 v53, v51, v0
	;; [unrolled: 1-line block ×6, first 2 shown]
	s_mov_b32 s35, 0
	s_wait_kmcnt 0x0
	s_add_co_i32 s2, s30, -1
	s_mov_b32 s40, s29
	s_ashr_i32 s3, s2, 31
	s_mov_b32 s47, s30
	s_lshr_b32 s3, s3, 27
	s_delay_alu instid0(SALU_CYCLE_1) | instskip(NEXT) | instid1(SALU_CYCLE_1)
	s_add_co_i32 s2, s2, s3
	s_ashr_i32 s44, s2, 5
	s_delay_alu instid0(SALU_CYCLE_1) | instskip(SKIP_2) | instid1(SALU_CYCLE_1)
	s_cmp_le_i32 s33, s44
	s_cselect_b32 s45, -1, 0
	s_lshl_b32 s0, ttmp9, 5
	v_add_nc_u32_e32 v2, s0, v1
	v_add_nc_u32_e32 v0, s0, v50
	s_sub_co_i32 s46, s29, s0
	s_delay_alu instid0(SALU_CYCLE_1) | instskip(NEXT) | instid1(VALU_DEP_2)
	s_cmp_gt_i32 s46, 0
	v_ashrrev_i32_e32 v3, 31, v2
	s_delay_alu instid0(VALU_DEP_2) | instskip(SKIP_2) | instid1(VALU_DEP_4)
	v_ashrrev_i32_e32 v1, 31, v0
	v_add_co_u32 v6, vcc_lo, v2, 16
	v_mul_lo_u32 v21, s9, v2
	v_add_co_ci_u32_e64 v7, null, 0, v3, vcc_lo
	v_sub_co_u32 v8, vcc_lo, v2, v0
	v_lshlrev_b64_e32 v[10:11], 3, v[2:3]
	s_wait_alu 0xfffd
	v_sub_co_ci_u32_e64 v9, null, v3, v1, vcc_lo
	s_delay_alu instid0(VALU_DEP_3)
	v_add_co_u32 v12, vcc_lo, v8, 16
	v_mul_lo_u32 v20, s8, v3
	v_mad_co_u64_u32 v[16:17], null, s8, v2, 0
	s_wait_alu 0xfffd
	v_add_co_ci_u32_e64 v13, null, 0, v9, vcc_lo
	v_add_co_u32 v18, vcc_lo, 0x80, v10
	s_wait_alu 0xfffd
	v_add_co_ci_u32_e64 v19, null, 0, v11, vcc_lo
	s_cselect_b32 s48, -1, 0
	s_cmp_eq_u32 s28, 0x84
	v_mul_lo_u32 v23, s9, v18
	s_cselect_b32 s49, -1, 0
	s_lshl_b64 s[6:7], s[6:7], 3
	s_lshl_b64 s[14:15], s[14:15], 3
	v_mul_lo_u32 v22, s8, v19
	v_mad_co_u64_u32 v[18:19], null, s8, v18, s[6:7]
	v_add3_u32 v17, v17, v20, v21
	v_add_co_u32 v14, vcc_lo, v8, -16
	s_add_nc_u64 s[12:13], s[12:13], s[14:15]
	s_wait_alu 0xfffd
	v_add_co_ci_u32_e64 v15, null, -1, v9, vcc_lo
	v_add_co_u32 v24, vcc_lo, s12, v10
	v_lshlrev_b64_e32 v[20:21], 3, v[16:17]
	s_wait_alu 0xfffd
	v_add_co_ci_u32_e64 v25, null, s13, v11, vcc_lo
	v_add3_u32 v19, v23, v19, v22
	v_lshlrev_b64_e32 v[22:23], 3, v[0:1]
	v_add_co_u32 v16, vcc_lo, 0x80, v24
	s_wait_alu 0xfffd
	v_add_co_ci_u32_e64 v17, null, 0, v25, vcc_lo
	v_add_co_u32 v20, vcc_lo, v20, s6
	s_wait_alu 0xfffd
	v_add_co_ci_u32_e64 v21, null, s7, v21, vcc_lo
	;; [unrolled: 3-line block ×3, first 2 shown]
	v_add_co_u32 v20, vcc_lo, v20, v22
	v_add_nc_u32_e32 v4, 16, v2
	s_wait_alu 0xfffd
	v_add_co_ci_u32_e64 v21, null, v21, v23, vcc_lo
	v_add_co_u32 v18, vcc_lo, s4, v18
	s_ashr_i32 s41, s29, 31
	s_lshl_b64 s[2:3], s[22:23], 3
	s_wait_alu 0xfffd
	v_add_co_ci_u32_e64 v19, null, s5, v19, vcc_lo
	v_add_co_u32 v20, vcc_lo, s4, v20
	s_add_nc_u64 s[20:21], s[20:21], s[2:3]
	v_cmp_le_i64_e64 s3, s[40:41], v[6:7]
	v_cmp_le_i32_e64 s0, s29, v2
	v_cmp_gt_i32_e64 s1, s29, v2
	v_cmp_gt_i32_e64 s2, s29, v4
	v_ashrrev_i32_e32 v5, 31, v4
	s_wait_alu 0xfffd
	v_add_co_ci_u32_e64 v21, null, s5, v21, vcc_lo
	v_mov_b32_e32 v22, 0
	s_ashr_i32 s50, s30, 31
	s_add_nc_u64 s[22:23], s[40:41], -16
	s_lshl_b64 s[12:13], s[18:19], 3
	s_lshl_b64 s[14:15], s[16:17], 3
	;; [unrolled: 1-line block ×3, first 2 shown]
	s_branch .LBB45_4
.LBB45_3:                               ;   in Loop: Header=BB45_4 Depth=1
	s_add_co_i32 s34, s34, 0x10000
	s_wait_alu 0xfffe
	s_cmp_ge_u32 s34, s31
	s_cbranch_scc1 .LBB45_55
.LBB45_4:                               ; =>This Loop Header: Depth=1
                                        ;     Child Loop BB45_7 Depth 2
                                        ;       Child Loop BB45_10 Depth 3
	s_and_not1_b32 vcc_lo, exec_lo, s45
	s_wait_alu 0xfffe
	s_cbranch_vccnz .LBB45_3
; %bb.5:                                ;   in Loop: Header=BB45_4 Depth=1
	v_mad_co_u64_u32 v[24:25], null, s12, s34, v[16:17]
	s_load_b32 s9, s[38:39], 0x4
	v_mad_co_u64_u32 v[26:27], null, s10, s34, v[18:19]
	v_mad_co_u64_u32 v[28:29], null, s10, s34, v[20:21]
	s_mul_i32 s6, s11, s34
	v_mov_b32_e32 v23, v25
	s_mul_u64 s[4:5], s[26:27], s[34:35]
	s_mov_b32 s52, s33
	s_wait_alu 0xfffe
	v_add_nc_u32_e32 v27, s6, v27
	s_lshl_b64 s[4:5], s[4:5], 3
	v_mad_co_u64_u32 v[30:31], null, s13, s34, v[23:24]
	v_add_nc_u32_e32 v29, s6, v29
	s_wait_alu 0xfffe
	s_add_nc_u64 s[18:19], s[20:21], s[4:5]
	s_delay_alu instid0(VALU_DEP_2)
	v_dual_mov_b32 v25, v30 :: v_dual_mov_b32 v30, v55
	s_wait_kmcnt 0x0
	s_lshl_b32 s51, s9, 5
	s_branch .LBB45_7
.LBB45_6:                               ;   in Loop: Header=BB45_7 Depth=2
	s_wait_alu 0xfffe
	s_or_b32 exec_lo, exec_lo, s4
	v_add_nc_u32_e32 v30, s51, v30
	s_add_co_i32 s52, s9, s52
	s_wait_alu 0xfffe
	s_cmp_gt_i32 s52, s44
	s_cbranch_scc1 .LBB45_3
.LBB45_7:                               ;   Parent Loop BB45_4 Depth=1
                                        ; =>  This Loop Header: Depth=2
                                        ;       Child Loop BB45_10 Depth 3
	v_lshl_add_u32 v60, s52, 5, v50
	s_and_not1_b32 vcc_lo, exec_lo, s48
	s_delay_alu instid0(VALU_DEP_1)
	v_ashrrev_i32_e32 v61, 31, v60
	s_wait_alu 0xfffe
	s_cbranch_vccnz .LBB45_46
; %bb.8:                                ;   in Loop: Header=BB45_7 Depth=2
	v_ashrrev_i32_e32 v31, 31, v30
	v_mad_co_u64_u32 v[32:33], null, s14, v30, v[24:25]
	v_mul_lo_u32 v23, s15, v30
	v_mov_b32_e32 v40, 0
	s_delay_alu instid0(VALU_DEP_4) | instskip(SKIP_4) | instid1(VALU_DEP_4)
	v_lshlrev_b64_e32 v[34:35], 3, v[30:31]
	v_mul_lo_u32 v31, s14, v31
	v_dual_mov_b32 v41, 0 :: v_dual_mov_b32 v42, 0
	v_mov_b32_e32 v43, 0
	s_mov_b64 s[28:29], 0
	v_add_co_u32 v34, vcc_lo, 0x80, v34
	s_wait_alu 0xfffd
	v_add_co_ci_u32_e64 v35, null, 0, v35, vcc_lo
	v_sub_co_u32 v36, vcc_lo, s47, v60
	s_delay_alu instid0(VALU_DEP_3) | instskip(NEXT) | instid1(VALU_DEP_3)
	v_mul_lo_u32 v45, s17, v34
	v_mul_lo_u32 v44, s16, v35
	v_mad_co_u64_u32 v[34:35], null, s16, v34, v[24:25]
	s_wait_alu 0xfffd
	v_sub_co_ci_u32_e64 v37, null, s50, v61, vcc_lo
	v_mov_b32_e32 v38, 0
	v_add3_u32 v33, v23, v33, v31
	v_mov_b32_e32 v39, 0
	s_delay_alu instid0(VALU_DEP_4)
	v_cmp_lt_i64_e32 vcc_lo, 0, v[36:37]
	v_cmp_lt_i64_e64 s4, 16, v[36:37]
	v_mov_b32_e32 v36, 0
	v_mov_b32_e32 v37, 0
	v_add3_u32 v35, v45, v35, v44
	s_mov_b64 s[42:43], 0
	s_branch .LBB45_10
.LBB45_9:                               ;   in Loop: Header=BB45_10 Depth=3
	s_wait_alu 0xfffe
	s_or_b32 exec_lo, exec_lo, s5
	s_wait_dscnt 0x0
	s_barrier_signal -1
	s_barrier_wait -1
	global_inv scope:SCOPE_SE
	ds_load_b128 v[44:47], v52
	ds_load_2addr_b64 v[62:65], v51 offset1:16
	ds_load_b128 v[66:69], v52 offset:4096
	ds_load_b128 v[70:73], v52 offset:16
	;; [unrolled: 1-line block ×3, first 2 shown]
	s_add_nc_u64 s[42:43], s[42:43], 32
	s_add_nc_u64 s[28:29], s[28:29], 0x100
	s_wait_alu 0xfffe
	s_cmp_ge_i32 s42, s46
	s_wait_dscnt 0x3
	v_fma_f64 v[42:43], v[62:63], v[44:45], v[42:43]
	v_fma_f64 v[40:41], v[64:65], v[44:45], v[40:41]
	s_wait_dscnt 0x2
	v_fma_f64 v[44:45], v[62:63], v[66:67], v[38:39]
	v_fma_f64 v[48:49], v[64:65], v[66:67], v[36:37]
	ds_load_2addr_b64 v[36:39], v51 offset0:32 offset1:48
	s_wait_dscnt 0x0
	v_fma_f64 v[42:43], v[36:37], v[46:47], v[42:43]
	v_fma_f64 v[40:41], v[38:39], v[46:47], v[40:41]
	v_fma_f64 v[44:45], v[36:37], v[68:69], v[44:45]
	v_fma_f64 v[46:47], v[38:39], v[68:69], v[48:49]
	ds_load_2addr_b64 v[36:39], v51 offset0:64 offset1:80
	s_wait_dscnt 0x0
	v_fma_f64 v[42:43], v[36:37], v[70:71], v[42:43]
	v_fma_f64 v[40:41], v[38:39], v[70:71], v[40:41]
	v_fma_f64 v[44:45], v[36:37], v[74:75], v[44:45]
	v_fma_f64 v[46:47], v[38:39], v[74:75], v[46:47]
	ds_load_2addr_b64 v[36:39], v51 offset0:96 offset1:112
	s_wait_dscnt 0x0
	v_fma_f64 v[48:49], v[36:37], v[72:73], v[42:43]
	v_fma_f64 v[70:71], v[38:39], v[72:73], v[40:41]
	v_fma_f64 v[72:73], v[36:37], v[76:77], v[44:45]
	v_fma_f64 v[74:75], v[38:39], v[76:77], v[46:47]
	ds_load_b128 v[36:39], v52 offset:32
	ds_load_2addr_b64 v[40:43], v51 offset0:128 offset1:144
	ds_load_b128 v[44:47], v52 offset:4128
	ds_load_b128 v[62:65], v52 offset:48
	ds_load_b128 v[66:69], v52 offset:4144
	s_wait_dscnt 0x3
	v_fma_f64 v[48:49], v[40:41], v[36:37], v[48:49]
	v_fma_f64 v[36:37], v[42:43], v[36:37], v[70:71]
	s_wait_dscnt 0x2
	v_fma_f64 v[70:71], v[40:41], v[44:45], v[72:73]
	v_fma_f64 v[44:45], v[42:43], v[44:45], v[74:75]
	ds_load_2addr_b64 v[40:43], v51 offset0:160 offset1:176
	s_wait_dscnt 0x0
	v_fma_f64 v[48:49], v[40:41], v[38:39], v[48:49]
	v_fma_f64 v[72:73], v[42:43], v[38:39], v[36:37]
	v_fma_f64 v[40:41], v[40:41], v[46:47], v[70:71]
	v_fma_f64 v[42:43], v[42:43], v[46:47], v[44:45]
	ds_load_2addr_b64 v[36:39], v51 offset0:192 offset1:208
	s_wait_dscnt 0x0
	v_fma_f64 v[44:45], v[36:37], v[62:63], v[48:49]
	v_fma_f64 v[46:47], v[38:39], v[62:63], v[72:73]
	v_fma_f64 v[40:41], v[36:37], v[66:67], v[40:41]
	v_fma_f64 v[42:43], v[38:39], v[66:67], v[42:43]
	ds_load_2addr_b64 v[36:39], v51 offset0:224 offset1:240
	s_wait_dscnt 0x0
	v_fma_f64 v[48:49], v[36:37], v[64:65], v[44:45]
	v_fma_f64 v[70:71], v[38:39], v[64:65], v[46:47]
	v_fma_f64 v[72:73], v[36:37], v[68:69], v[40:41]
	v_fma_f64 v[74:75], v[38:39], v[68:69], v[42:43]
	ds_load_b128 v[36:39], v52 offset:64
	ds_load_2addr_b64 v[40:43], v57 offset1:16
	ds_load_b128 v[44:47], v52 offset:4160
	ds_load_b128 v[62:65], v52 offset:80
	ds_load_b128 v[66:69], v52 offset:4176
	s_wait_dscnt 0x3
	v_fma_f64 v[48:49], v[40:41], v[36:37], v[48:49]
	v_fma_f64 v[36:37], v[42:43], v[36:37], v[70:71]
	s_wait_dscnt 0x2
	v_fma_f64 v[70:71], v[40:41], v[44:45], v[72:73]
	v_fma_f64 v[44:45], v[42:43], v[44:45], v[74:75]
	ds_load_2addr_b64 v[40:43], v57 offset0:32 offset1:48
	s_wait_dscnt 0x0
	v_fma_f64 v[48:49], v[40:41], v[38:39], v[48:49]
	v_fma_f64 v[72:73], v[42:43], v[38:39], v[36:37]
	v_fma_f64 v[40:41], v[40:41], v[46:47], v[70:71]
	v_fma_f64 v[42:43], v[42:43], v[46:47], v[44:45]
	ds_load_2addr_b64 v[36:39], v57 offset0:64 offset1:80
	s_wait_dscnt 0x0
	v_fma_f64 v[44:45], v[36:37], v[62:63], v[48:49]
	v_fma_f64 v[46:47], v[38:39], v[62:63], v[72:73]
	v_fma_f64 v[40:41], v[36:37], v[66:67], v[40:41]
	v_fma_f64 v[42:43], v[38:39], v[66:67], v[42:43]
	ds_load_2addr_b64 v[36:39], v57 offset0:96 offset1:112
	s_wait_dscnt 0x0
	v_fma_f64 v[48:49], v[36:37], v[64:65], v[44:45]
	v_fma_f64 v[70:71], v[38:39], v[64:65], v[46:47]
	v_fma_f64 v[72:73], v[36:37], v[68:69], v[40:41]
	v_fma_f64 v[74:75], v[38:39], v[68:69], v[42:43]
	ds_load_b128 v[36:39], v52 offset:96
	ds_load_2addr_b64 v[40:43], v57 offset0:128 offset1:144
	ds_load_b128 v[44:47], v52 offset:4192
	ds_load_b128 v[62:65], v52 offset:112
	ds_load_b128 v[66:69], v52 offset:4208
	s_wait_dscnt 0x3
	v_fma_f64 v[48:49], v[40:41], v[36:37], v[48:49]
	v_fma_f64 v[36:37], v[42:43], v[36:37], v[70:71]
	s_wait_dscnt 0x2
	v_fma_f64 v[70:71], v[40:41], v[44:45], v[72:73]
	v_fma_f64 v[44:45], v[42:43], v[44:45], v[74:75]
	ds_load_2addr_b64 v[40:43], v57 offset0:160 offset1:176
	s_wait_dscnt 0x0
	v_fma_f64 v[48:49], v[40:41], v[38:39], v[48:49]
	v_fma_f64 v[72:73], v[42:43], v[38:39], v[36:37]
	v_fma_f64 v[40:41], v[40:41], v[46:47], v[70:71]
	v_fma_f64 v[42:43], v[42:43], v[46:47], v[44:45]
	ds_load_2addr_b64 v[36:39], v57 offset0:192 offset1:208
	s_wait_dscnt 0x0
	v_fma_f64 v[44:45], v[36:37], v[62:63], v[48:49]
	v_fma_f64 v[46:47], v[38:39], v[62:63], v[72:73]
	v_fma_f64 v[40:41], v[36:37], v[66:67], v[40:41]
	v_fma_f64 v[42:43], v[38:39], v[66:67], v[42:43]
	ds_load_2addr_b64 v[36:39], v57 offset0:224 offset1:240
	s_wait_dscnt 0x0
	v_fma_f64 v[48:49], v[36:37], v[64:65], v[44:45]
	v_fma_f64 v[70:71], v[38:39], v[64:65], v[46:47]
	v_fma_f64 v[72:73], v[36:37], v[68:69], v[40:41]
	v_fma_f64 v[74:75], v[38:39], v[68:69], v[42:43]
	ds_load_b128 v[36:39], v52 offset:128
	ds_load_2addr_b64 v[40:43], v58 offset1:16
	ds_load_b128 v[44:47], v52 offset:4224
	ds_load_b128 v[62:65], v52 offset:144
	ds_load_b128 v[66:69], v52 offset:4240
	s_wait_dscnt 0x3
	v_fma_f64 v[48:49], v[40:41], v[36:37], v[48:49]
	v_fma_f64 v[36:37], v[42:43], v[36:37], v[70:71]
	s_wait_dscnt 0x2
	v_fma_f64 v[70:71], v[40:41], v[44:45], v[72:73]
	v_fma_f64 v[44:45], v[42:43], v[44:45], v[74:75]
	ds_load_2addr_b64 v[40:43], v58 offset0:32 offset1:48
	s_wait_dscnt 0x0
	v_fma_f64 v[48:49], v[40:41], v[38:39], v[48:49]
	v_fma_f64 v[72:73], v[42:43], v[38:39], v[36:37]
	v_fma_f64 v[40:41], v[40:41], v[46:47], v[70:71]
	v_fma_f64 v[42:43], v[42:43], v[46:47], v[44:45]
	ds_load_2addr_b64 v[36:39], v58 offset0:64 offset1:80
	s_wait_dscnt 0x0
	v_fma_f64 v[44:45], v[36:37], v[62:63], v[48:49]
	v_fma_f64 v[46:47], v[38:39], v[62:63], v[72:73]
	v_fma_f64 v[40:41], v[36:37], v[66:67], v[40:41]
	v_fma_f64 v[42:43], v[38:39], v[66:67], v[42:43]
	ds_load_2addr_b64 v[36:39], v58 offset0:96 offset1:112
	s_wait_dscnt 0x0
	v_fma_f64 v[48:49], v[36:37], v[64:65], v[44:45]
	v_fma_f64 v[70:71], v[38:39], v[64:65], v[46:47]
	v_fma_f64 v[72:73], v[36:37], v[68:69], v[40:41]
	v_fma_f64 v[74:75], v[38:39], v[68:69], v[42:43]
	ds_load_b128 v[36:39], v52 offset:160
	ds_load_2addr_b64 v[40:43], v58 offset0:128 offset1:144
	ds_load_b128 v[44:47], v52 offset:4256
	ds_load_b128 v[62:65], v52 offset:176
	ds_load_b128 v[66:69], v52 offset:4272
	s_wait_dscnt 0x3
	v_fma_f64 v[48:49], v[40:41], v[36:37], v[48:49]
	v_fma_f64 v[36:37], v[42:43], v[36:37], v[70:71]
	s_wait_dscnt 0x2
	v_fma_f64 v[70:71], v[40:41], v[44:45], v[72:73]
	v_fma_f64 v[44:45], v[42:43], v[44:45], v[74:75]
	ds_load_2addr_b64 v[40:43], v58 offset0:160 offset1:176
	s_wait_dscnt 0x0
	v_fma_f64 v[48:49], v[40:41], v[38:39], v[48:49]
	v_fma_f64 v[72:73], v[42:43], v[38:39], v[36:37]
	v_fma_f64 v[40:41], v[40:41], v[46:47], v[70:71]
	v_fma_f64 v[42:43], v[42:43], v[46:47], v[44:45]
	ds_load_2addr_b64 v[36:39], v58 offset0:192 offset1:208
	s_wait_dscnt 0x0
	v_fma_f64 v[44:45], v[36:37], v[62:63], v[48:49]
	v_fma_f64 v[46:47], v[38:39], v[62:63], v[72:73]
	v_fma_f64 v[40:41], v[36:37], v[66:67], v[40:41]
	v_fma_f64 v[42:43], v[38:39], v[66:67], v[42:43]
	ds_load_2addr_b64 v[36:39], v58 offset0:224 offset1:240
	s_wait_dscnt 0x0
	v_fma_f64 v[48:49], v[36:37], v[64:65], v[44:45]
	v_fma_f64 v[70:71], v[38:39], v[64:65], v[46:47]
	v_fma_f64 v[72:73], v[36:37], v[68:69], v[40:41]
	v_fma_f64 v[74:75], v[38:39], v[68:69], v[42:43]
	ds_load_b128 v[36:39], v52 offset:192
	ds_load_2addr_b64 v[40:43], v59 offset1:16
	ds_load_b128 v[44:47], v52 offset:4288
	ds_load_b128 v[62:65], v52 offset:208
	ds_load_b128 v[66:69], v52 offset:4304
	s_wait_dscnt 0x3
	v_fma_f64 v[48:49], v[40:41], v[36:37], v[48:49]
	v_fma_f64 v[36:37], v[42:43], v[36:37], v[70:71]
	s_wait_dscnt 0x2
	v_fma_f64 v[70:71], v[40:41], v[44:45], v[72:73]
	v_fma_f64 v[44:45], v[42:43], v[44:45], v[74:75]
	ds_load_2addr_b64 v[40:43], v59 offset0:32 offset1:48
	s_wait_dscnt 0x0
	v_fma_f64 v[48:49], v[40:41], v[38:39], v[48:49]
	v_fma_f64 v[72:73], v[42:43], v[38:39], v[36:37]
	v_fma_f64 v[40:41], v[40:41], v[46:47], v[70:71]
	v_fma_f64 v[42:43], v[42:43], v[46:47], v[44:45]
	ds_load_2addr_b64 v[36:39], v59 offset0:64 offset1:80
	s_wait_dscnt 0x0
	v_fma_f64 v[44:45], v[36:37], v[62:63], v[48:49]
	v_fma_f64 v[46:47], v[38:39], v[62:63], v[72:73]
	v_fma_f64 v[40:41], v[36:37], v[66:67], v[40:41]
	v_fma_f64 v[42:43], v[38:39], v[66:67], v[42:43]
	ds_load_2addr_b64 v[36:39], v59 offset0:96 offset1:112
	s_wait_dscnt 0x0
	v_fma_f64 v[48:49], v[36:37], v[64:65], v[44:45]
	v_fma_f64 v[70:71], v[38:39], v[64:65], v[46:47]
	v_fma_f64 v[72:73], v[36:37], v[68:69], v[40:41]
	v_fma_f64 v[74:75], v[38:39], v[68:69], v[42:43]
	ds_load_b128 v[36:39], v52 offset:224
	ds_load_2addr_b64 v[40:43], v59 offset0:128 offset1:144
	ds_load_b128 v[44:47], v52 offset:4320
	ds_load_b128 v[62:65], v52 offset:240
	;; [unrolled: 1-line block ×3, first 2 shown]
	s_wait_dscnt 0x3
	v_fma_f64 v[48:49], v[40:41], v[36:37], v[48:49]
	v_fma_f64 v[36:37], v[42:43], v[36:37], v[70:71]
	s_wait_dscnt 0x2
	v_fma_f64 v[70:71], v[40:41], v[44:45], v[72:73]
	v_fma_f64 v[44:45], v[42:43], v[44:45], v[74:75]
	ds_load_2addr_b64 v[40:43], v59 offset0:160 offset1:176
	s_wait_dscnt 0x0
	v_fma_f64 v[48:49], v[40:41], v[38:39], v[48:49]
	v_fma_f64 v[72:73], v[42:43], v[38:39], v[36:37]
	;; [unrolled: 1-line block ×4, first 2 shown]
	ds_load_2addr_b64 v[36:39], v59 offset0:192 offset1:208
	ds_load_2addr_b64 v[44:47], v59 offset0:224 offset1:240
	s_wait_loadcnt_dscnt 0x0
	s_barrier_signal -1
	s_barrier_wait -1
	global_inv scope:SCOPE_SE
	v_fma_f64 v[48:49], v[36:37], v[62:63], v[48:49]
	v_fma_f64 v[62:63], v[38:39], v[62:63], v[72:73]
	;; [unrolled: 1-line block ×4, first 2 shown]
	s_delay_alu instid0(VALU_DEP_4) | instskip(NEXT) | instid1(VALU_DEP_4)
	v_fma_f64 v[42:43], v[44:45], v[64:65], v[48:49]
	v_fma_f64 v[40:41], v[46:47], v[64:65], v[62:63]
	s_delay_alu instid0(VALU_DEP_4) | instskip(NEXT) | instid1(VALU_DEP_4)
	v_fma_f64 v[38:39], v[44:45], v[68:69], v[36:37]
	v_fma_f64 v[36:37], v[46:47], v[68:69], v[66:67]
	s_cbranch_scc1 .LBB45_47
.LBB45_10:                              ;   Parent Loop BB45_4 Depth=1
                                        ;     Parent Loop BB45_7 Depth=2
                                        ; =>    This Inner Loop Header: Depth=3
	s_wait_alu 0xfffe
	v_add_co_u32 v46, s5, v0, s42
	s_wait_alu 0xf1ff
	v_add_co_ci_u32_e64 v47, null, s43, v1, s5
	v_cmp_eq_u64_e64 s7, s[42:43], v[8:9]
                                        ; implicit-def: $vgpr48_vgpr49
	s_delay_alu instid0(VALU_DEP_2)
	v_cmp_le_i64_e64 s6, s[40:41], v[46:47]
	v_cmp_lt_i64_e64 s5, v[46:47], v[2:3]
	s_and_b32 s53, s49, s7
	v_add_co_u32 v44, s7, v28, s28
	s_wait_alu 0xf1ff
	v_add_co_ci_u32_e64 v45, null, s29, v29, s7
	s_or_b32 s8, s6, s5
	s_wait_alu 0xfffe
	s_or_b32 s7, s8, s53
	s_wait_alu 0xfffe
	s_nor_b32 s7, s0, s7
	s_wait_alu 0xfffe
	s_and_saveexec_b32 s8, s7
	s_wait_alu 0xfffe
	s_xor_b32 s7, exec_lo, s8
	s_cbranch_execz .LBB45_12
; %bb.11:                               ;   in Loop: Header=BB45_10 Depth=3
	global_load_b64 v[48:49], v[44:45], off
.LBB45_12:                              ;   in Loop: Header=BB45_10 Depth=3
	s_wait_alu 0xfffe
	s_and_not1_saveexec_b32 s7, s7
	s_cbranch_execz .LBB45_14
; %bb.13:                               ;   in Loop: Header=BB45_10 Depth=3
	v_cndmask_b32_e64 v23, 0, 0x3ff00000, s53
	s_wait_loadcnt 0x0
	s_delay_alu instid0(VALU_DEP_1)
	v_dual_mov_b32 v49, v23 :: v_dual_mov_b32 v48, v22
.LBB45_14:                              ;   in Loop: Header=BB45_10 Depth=3
	s_wait_alu 0xfffe
	s_or_b32 exec_lo, exec_lo, s7
	v_cmp_eq_u64_e64 s7, s[42:43], v[12:13]
	v_cmp_gt_i64_e64 s8, v[6:7], v[46:47]
	s_wait_loadcnt 0x0
	ds_store_b64 v53, v[48:49]
	s_and_b32 s7, s49, s7
	s_or_b32 s6, s6, s8
	s_wait_alu 0xfffe
	s_or_b32 s6, s6, s7
	s_wait_alu 0xfffe
	s_nor_b32 s6, s3, s6
	s_wait_alu 0xfffe
	s_and_saveexec_b32 s8, s6
	s_wait_alu 0xfffe
	s_xor_b32 s8, exec_lo, s8
	s_cbranch_execz .LBB45_16
; %bb.15:                               ;   in Loop: Header=BB45_10 Depth=3
	v_add_co_u32 v48, s6, v26, s28
	s_wait_alu 0xf1ff
	v_add_co_ci_u32_e64 v49, null, s29, v27, s6
	global_load_b64 v[48:49], v[48:49], off
	s_wait_loadcnt 0x0
	ds_store_b64 v53, v[48:49] offset:128
.LBB45_16:                              ;   in Loop: Header=BB45_10 Depth=3
	s_wait_alu 0xfffe
	s_and_not1_saveexec_b32 s6, s8
	s_cbranch_execz .LBB45_22
; %bb.17:                               ;   in Loop: Header=BB45_10 Depth=3
	s_xor_b32 s7, s7, -1
	s_wait_alu 0xfffe
	s_and_saveexec_b32 s8, s7
	s_wait_alu 0xfffe
	s_xor_b32 s7, exec_lo, s8
; %bb.18:                               ;   in Loop: Header=BB45_10 Depth=3
	v_mov_b32_e32 v23, v22
	ds_store_b64 v53, v[22:23] offset:128
; %bb.19:                               ;   in Loop: Header=BB45_10 Depth=3
	s_wait_alu 0xfffe
	s_and_not1_saveexec_b32 s7, s7
; %bb.20:                               ;   in Loop: Header=BB45_10 Depth=3
	v_mov_b32_e32 v23, v56
	ds_store_b64 v53, v[22:23] offset:128
; %bb.21:                               ;   in Loop: Header=BB45_10 Depth=3
	s_wait_alu 0xfffe
	s_or_b32 exec_lo, exec_lo, s7
.LBB45_22:                              ;   in Loop: Header=BB45_10 Depth=3
	s_wait_alu 0xfffe
	s_or_b32 exec_lo, exec_lo, s6
	v_add_co_u32 v46, s6, v46, 16
	s_wait_alu 0xf1ff
	v_add_co_ci_u32_e64 v47, null, 0, v47, s6
	v_cmp_eq_u64_e64 s7, s[42:43], v[14:15]
	s_delay_alu instid0(VALU_DEP_2)
	v_cmp_le_i64_e64 s6, s[40:41], v[46:47]
	v_cmp_lt_i64_e64 s8, v[46:47], v[2:3]
                                        ; implicit-def: $vgpr46_vgpr47
	s_and_b32 s7, s49, s7
	s_or_b32 s8, s6, s8
	s_wait_alu 0xfffe
	s_or_b32 s8, s8, s7
	s_wait_alu 0xfffe
	s_nor_b32 s8, s0, s8
	s_wait_alu 0xfffe
	s_and_saveexec_b32 s54, s8
	s_delay_alu instid0(SALU_CYCLE_1)
	s_xor_b32 s8, exec_lo, s54
	s_cbranch_execz .LBB45_24
; %bb.23:                               ;   in Loop: Header=BB45_10 Depth=3
	global_load_b64 v[46:47], v[44:45], off offset:128
.LBB45_24:                              ;   in Loop: Header=BB45_10 Depth=3
	s_wait_alu 0xfffe
	s_and_not1_saveexec_b32 s8, s8
	s_cbranch_execz .LBB45_26
; %bb.25:                               ;   in Loop: Header=BB45_10 Depth=3
	v_cndmask_b32_e64 v23, 0, 0x3ff00000, s7
	s_wait_loadcnt 0x0
	s_delay_alu instid0(VALU_DEP_1)
	v_dual_mov_b32 v47, v23 :: v_dual_mov_b32 v46, v22
.LBB45_26:                              ;   in Loop: Header=BB45_10 Depth=3
	s_wait_alu 0xfffe
	s_or_b32 exec_lo, exec_lo, s8
	s_or_b32 s5, s6, s5
	s_wait_loadcnt 0x0
	ds_store_b64 v53, v[46:47] offset:4096
	s_wait_alu 0xfffe
	s_or_b32 s5, s5, s53
	s_wait_alu 0xfffe
	s_nor_b32 s5, s3, s5
	s_wait_alu 0xfffe
	s_and_saveexec_b32 s6, s5
	s_wait_alu 0xfffe
	s_xor_b32 s6, exec_lo, s6
	s_cbranch_execz .LBB45_28
; %bb.27:                               ;   in Loop: Header=BB45_10 Depth=3
	v_add_co_u32 v44, s5, v26, s28
	s_wait_alu 0xf1ff
	v_add_co_ci_u32_e64 v45, null, s29, v27, s5
	global_load_b64 v[44:45], v[44:45], off offset:128
	s_wait_loadcnt 0x0
	ds_store_b64 v53, v[44:45] offset:4224
.LBB45_28:                              ;   in Loop: Header=BB45_10 Depth=3
	s_wait_alu 0xfffe
	s_and_not1_saveexec_b32 s5, s6
	s_cbranch_execz .LBB45_34
; %bb.29:                               ;   in Loop: Header=BB45_10 Depth=3
	s_xor_b32 s6, s53, -1
	s_wait_alu 0xfffe
	s_and_saveexec_b32 s7, s6
	s_wait_alu 0xfffe
	s_xor_b32 s6, exec_lo, s7
; %bb.30:                               ;   in Loop: Header=BB45_10 Depth=3
	v_mov_b32_e32 v23, v22
	ds_store_b64 v53, v[22:23] offset:4224
; %bb.31:                               ;   in Loop: Header=BB45_10 Depth=3
	s_wait_alu 0xfffe
	s_and_not1_saveexec_b32 s6, s6
; %bb.32:                               ;   in Loop: Header=BB45_10 Depth=3
	v_mov_b32_e32 v23, v56
	ds_store_b64 v53, v[22:23] offset:4224
; %bb.33:                               ;   in Loop: Header=BB45_10 Depth=3
	s_wait_alu 0xfffe
	s_or_b32 exec_lo, exec_lo, s6
.LBB45_34:                              ;   in Loop: Header=BB45_10 Depth=3
	s_wait_alu 0xfffe
	s_or_b32 exec_lo, exec_lo, s5
	v_add_co_u32 v46, s5, v2, s42
	s_wait_alu 0xf1ff
	v_add_co_ci_u32_e64 v47, null, s43, v3, s5
	v_add_co_u32 v44, s6, v32, s28
	v_mov_b32_e32 v48, 0
	s_delay_alu instid0(VALU_DEP_3)
	v_cmp_gt_i64_e64 s5, s[40:41], v[46:47]
	v_mov_b32_e32 v49, 0
	s_wait_alu 0xf1ff
	v_add_co_ci_u32_e64 v45, null, s29, v33, s6
	s_and_b32 s7, vcc_lo, s5
	s_wait_alu 0xfffe
	s_and_saveexec_b32 s6, s7
	s_cbranch_execz .LBB45_36
; %bb.35:                               ;   in Loop: Header=BB45_10 Depth=3
	global_load_b64 v[48:49], v[44:45], off offset:-128
.LBB45_36:                              ;   in Loop: Header=BB45_10 Depth=3
	s_wait_alu 0xfffe
	s_or_b32 exec_lo, exec_lo, s6
	v_cmp_gt_i64_e64 s6, s[22:23], v[46:47]
	s_wait_loadcnt 0x0
	ds_store_b64 v54, v[48:49]
	s_and_b32 s7, vcc_lo, s6
	s_wait_alu 0xfffe
	s_xor_b32 s7, s7, -1
	s_wait_alu 0xfffe
	s_and_saveexec_b32 s8, s7
	s_wait_alu 0xfffe
	s_xor_b32 s7, exec_lo, s8
; %bb.37:                               ;   in Loop: Header=BB45_10 Depth=3
	v_mov_b32_e32 v23, v22
                                        ; implicit-def: $vgpr44_vgpr45
	ds_store_b64 v54, v[22:23] offset:128
; %bb.38:                               ;   in Loop: Header=BB45_10 Depth=3
	s_wait_alu 0xfffe
	s_and_not1_saveexec_b32 s7, s7
	s_cbranch_execz .LBB45_40
; %bb.39:                               ;   in Loop: Header=BB45_10 Depth=3
	global_load_b64 v[44:45], v[44:45], off
	s_wait_loadcnt 0x0
	ds_store_b64 v54, v[44:45] offset:128
.LBB45_40:                              ;   in Loop: Header=BB45_10 Depth=3
	s_wait_alu 0xfffe
	s_or_b32 exec_lo, exec_lo, s7
	v_add_co_u32 v44, s7, v34, s28
	v_mov_b32_e32 v46, 0
	v_mov_b32_e32 v47, 0
	s_wait_alu 0xf1ff
	v_add_co_ci_u32_e64 v45, null, s29, v35, s7
	s_and_b32 s7, s4, s5
	s_wait_alu 0xfffe
	s_and_saveexec_b32 s5, s7
	s_cbranch_execz .LBB45_42
; %bb.41:                               ;   in Loop: Header=BB45_10 Depth=3
	global_load_b64 v[46:47], v[44:45], off offset:-128
.LBB45_42:                              ;   in Loop: Header=BB45_10 Depth=3
	s_wait_alu 0xfffe
	s_or_b32 exec_lo, exec_lo, s5
	s_and_b32 s5, s4, s6
	s_wait_loadcnt 0x0
	ds_store_b64 v54, v[46:47] offset:4096
	s_wait_alu 0xfffe
	s_xor_b32 s5, s5, -1
	s_wait_alu 0xfffe
	s_and_saveexec_b32 s6, s5
	s_wait_alu 0xfffe
	s_xor_b32 s5, exec_lo, s6
; %bb.43:                               ;   in Loop: Header=BB45_10 Depth=3
	v_mov_b32_e32 v23, v22
                                        ; implicit-def: $vgpr44_vgpr45
	ds_store_b64 v54, v[22:23] offset:4224
; %bb.44:                               ;   in Loop: Header=BB45_10 Depth=3
	s_wait_alu 0xfffe
	s_and_not1_saveexec_b32 s5, s5
	s_cbranch_execz .LBB45_9
; %bb.45:                               ;   in Loop: Header=BB45_10 Depth=3
	global_load_b64 v[44:45], v[44:45], off
	s_wait_loadcnt 0x0
	ds_store_b64 v54, v[44:45] offset:4224
	s_branch .LBB45_9
.LBB45_46:                              ;   in Loop: Header=BB45_7 Depth=2
	v_mov_b32_e32 v42, 0
	v_dual_mov_b32 v38, 0 :: v_dual_mov_b32 v43, 0
	v_dual_mov_b32 v40, 0 :: v_dual_mov_b32 v39, 0
	;; [unrolled: 1-line block ×3, first 2 shown]
	v_mov_b32_e32 v37, 0
.LBB45_47:                              ;   in Loop: Header=BB45_7 Depth=2
	v_mul_lo_u32 v23, s25, v60
	v_mul_lo_u32 v33, s24, v61
	v_mad_co_u64_u32 v[31:32], null, s24, v60, 0
	v_cmp_gt_i32_e32 vcc_lo, s30, v60
	s_delay_alu instid0(VALU_DEP_2) | instskip(NEXT) | instid1(VALU_DEP_1)
	v_add3_u32 v32, v32, v33, v23
	v_lshlrev_b64_e32 v[31:32], 3, v[31:32]
	s_delay_alu instid0(VALU_DEP_1) | instskip(SKIP_1) | instid1(VALU_DEP_2)
	v_add_co_u32 v23, s4, s18, v31
	s_wait_alu 0xf1ff
	v_add_co_ci_u32_e64 v31, null, s19, v32, s4
	s_and_b32 s4, s1, vcc_lo
	s_wait_alu 0xfffe
	s_and_saveexec_b32 s5, s4
	s_cbranch_execz .LBB45_49
; %bb.48:                               ;   in Loop: Header=BB45_7 Depth=2
	v_add_co_u32 v32, s4, v23, v10
	s_wait_alu 0xf1ff
	v_add_co_ci_u32_e64 v33, null, v31, v11, s4
	global_load_b64 v[34:35], v[32:33], off
	s_wait_loadcnt 0x0
	v_fma_f64 v[34:35], s[36:37], v[42:43], v[34:35]
	global_store_b64 v[32:33], v[34:35], off
.LBB45_49:                              ;   in Loop: Header=BB45_7 Depth=2
	s_wait_alu 0xfffe
	s_or_b32 exec_lo, exec_lo, s5
	s_and_b32 s5, s2, vcc_lo
	s_wait_alu 0xfffe
	s_and_saveexec_b32 s4, s5
	s_cbranch_execz .LBB45_51
; %bb.50:                               ;   in Loop: Header=BB45_7 Depth=2
	v_lshlrev_b64_e32 v[32:33], 3, v[4:5]
	s_delay_alu instid0(VALU_DEP_1) | instskip(SKIP_1) | instid1(VALU_DEP_2)
	v_add_co_u32 v32, vcc_lo, v23, v32
	s_wait_alu 0xfffd
	v_add_co_ci_u32_e64 v33, null, v31, v33, vcc_lo
	global_load_b64 v[34:35], v[32:33], off
	s_wait_loadcnt 0x0
	v_fma_f64 v[34:35], s[36:37], v[40:41], v[34:35]
	global_store_b64 v[32:33], v[34:35], off
.LBB45_51:                              ;   in Loop: Header=BB45_7 Depth=2
	s_wait_alu 0xfffe
	s_or_b32 exec_lo, exec_lo, s4
	v_add_nc_u32_e32 v23, 16, v60
	s_delay_alu instid0(VALU_DEP_1) | instskip(SKIP_3) | instid1(VALU_DEP_4)
	v_ashrrev_i32_e32 v33, 31, v23
	v_mul_lo_u32 v34, s25, v23
	v_mad_co_u64_u32 v[31:32], null, s24, v23, 0
	v_cmp_gt_i32_e32 vcc_lo, s30, v23
	v_mul_lo_u32 v33, s24, v33
	s_delay_alu instid0(VALU_DEP_1) | instskip(NEXT) | instid1(VALU_DEP_1)
	v_add3_u32 v32, v32, v33, v34
	v_lshlrev_b64_e32 v[31:32], 3, v[31:32]
	s_delay_alu instid0(VALU_DEP_1) | instskip(SKIP_1) | instid1(VALU_DEP_2)
	v_add_co_u32 v23, s4, s18, v31
	s_wait_alu 0xf1ff
	v_add_co_ci_u32_e64 v31, null, s19, v32, s4
	s_and_b32 s4, s1, vcc_lo
	s_wait_alu 0xfffe
	s_and_saveexec_b32 s5, s4
	s_cbranch_execz .LBB45_53
; %bb.52:                               ;   in Loop: Header=BB45_7 Depth=2
	v_add_co_u32 v32, s4, v23, v10
	s_wait_alu 0xf1ff
	v_add_co_ci_u32_e64 v33, null, v31, v11, s4
	global_load_b64 v[34:35], v[32:33], off
	s_wait_loadcnt 0x0
	v_fma_f64 v[34:35], s[36:37], v[38:39], v[34:35]
	global_store_b64 v[32:33], v[34:35], off
.LBB45_53:                              ;   in Loop: Header=BB45_7 Depth=2
	s_wait_alu 0xfffe
	s_or_b32 exec_lo, exec_lo, s5
	s_and_b32 s5, s2, vcc_lo
	s_wait_alu 0xfffe
	s_and_saveexec_b32 s4, s5
	s_cbranch_execz .LBB45_6
; %bb.54:                               ;   in Loop: Header=BB45_7 Depth=2
	v_lshlrev_b64_e32 v[32:33], 3, v[4:5]
	s_delay_alu instid0(VALU_DEP_1) | instskip(SKIP_1) | instid1(VALU_DEP_2)
	v_add_co_u32 v32, vcc_lo, v23, v32
	s_wait_alu 0xfffd
	v_add_co_ci_u32_e64 v33, null, v31, v33, vcc_lo
	global_load_b64 v[34:35], v[32:33], off
	s_wait_loadcnt 0x0
	v_fma_f64 v[34:35], s[36:37], v[36:37], v[34:35]
	global_store_b64 v[32:33], v[34:35], off
	s_branch .LBB45_6
.LBB45_55:
	s_endpgm
	.section	.rodata,"a",@progbits
	.p2align	6, 0x0
	.amdhsa_kernel _ZL30rocblas_trmm_outofplace_kernelIdLi32ELi2ELb1ELb0ELb1ELb1EdKddEv17rocblas_diagonal_iiT6_lPT7_lllS4_lllPT8_llli
		.amdhsa_group_segment_fixed_size 16384
		.amdhsa_private_segment_fixed_size 0
		.amdhsa_kernarg_size 392
		.amdhsa_user_sgpr_count 2
		.amdhsa_user_sgpr_dispatch_ptr 0
		.amdhsa_user_sgpr_queue_ptr 0
		.amdhsa_user_sgpr_kernarg_segment_ptr 1
		.amdhsa_user_sgpr_dispatch_id 0
		.amdhsa_user_sgpr_private_segment_size 0
		.amdhsa_wavefront_size32 1
		.amdhsa_uses_dynamic_stack 0
		.amdhsa_enable_private_segment 0
		.amdhsa_system_sgpr_workgroup_id_x 1
		.amdhsa_system_sgpr_workgroup_id_y 1
		.amdhsa_system_sgpr_workgroup_id_z 1
		.amdhsa_system_sgpr_workgroup_info 0
		.amdhsa_system_vgpr_workitem_id 1
		.amdhsa_next_free_vgpr 78
		.amdhsa_next_free_sgpr 55
		.amdhsa_reserve_vcc 1
		.amdhsa_float_round_mode_32 0
		.amdhsa_float_round_mode_16_64 0
		.amdhsa_float_denorm_mode_32 3
		.amdhsa_float_denorm_mode_16_64 3
		.amdhsa_fp16_overflow 0
		.amdhsa_workgroup_processor_mode 1
		.amdhsa_memory_ordered 1
		.amdhsa_forward_progress 1
		.amdhsa_inst_pref_size 35
		.amdhsa_round_robin_scheduling 0
		.amdhsa_exception_fp_ieee_invalid_op 0
		.amdhsa_exception_fp_denorm_src 0
		.amdhsa_exception_fp_ieee_div_zero 0
		.amdhsa_exception_fp_ieee_overflow 0
		.amdhsa_exception_fp_ieee_underflow 0
		.amdhsa_exception_fp_ieee_inexact 0
		.amdhsa_exception_int_div_zero 0
	.end_amdhsa_kernel
	.section	.text._ZL30rocblas_trmm_outofplace_kernelIdLi32ELi2ELb1ELb0ELb1ELb1EdKddEv17rocblas_diagonal_iiT6_lPT7_lllS4_lllPT8_llli,"axG",@progbits,_ZL30rocblas_trmm_outofplace_kernelIdLi32ELi2ELb1ELb0ELb1ELb1EdKddEv17rocblas_diagonal_iiT6_lPT7_lllS4_lllPT8_llli,comdat
.Lfunc_end45:
	.size	_ZL30rocblas_trmm_outofplace_kernelIdLi32ELi2ELb1ELb0ELb1ELb1EdKddEv17rocblas_diagonal_iiT6_lPT7_lllS4_lllPT8_llli, .Lfunc_end45-_ZL30rocblas_trmm_outofplace_kernelIdLi32ELi2ELb1ELb0ELb1ELb1EdKddEv17rocblas_diagonal_iiT6_lPT7_lllS4_lllPT8_llli
                                        ; -- End function
	.set _ZL30rocblas_trmm_outofplace_kernelIdLi32ELi2ELb1ELb0ELb1ELb1EdKddEv17rocblas_diagonal_iiT6_lPT7_lllS4_lllPT8_llli.num_vgpr, 78
	.set _ZL30rocblas_trmm_outofplace_kernelIdLi32ELi2ELb1ELb0ELb1ELb1EdKddEv17rocblas_diagonal_iiT6_lPT7_lllS4_lllPT8_llli.num_agpr, 0
	.set _ZL30rocblas_trmm_outofplace_kernelIdLi32ELi2ELb1ELb0ELb1ELb1EdKddEv17rocblas_diagonal_iiT6_lPT7_lllS4_lllPT8_llli.numbered_sgpr, 55
	.set _ZL30rocblas_trmm_outofplace_kernelIdLi32ELi2ELb1ELb0ELb1ELb1EdKddEv17rocblas_diagonal_iiT6_lPT7_lllS4_lllPT8_llli.num_named_barrier, 0
	.set _ZL30rocblas_trmm_outofplace_kernelIdLi32ELi2ELb1ELb0ELb1ELb1EdKddEv17rocblas_diagonal_iiT6_lPT7_lllS4_lllPT8_llli.private_seg_size, 0
	.set _ZL30rocblas_trmm_outofplace_kernelIdLi32ELi2ELb1ELb0ELb1ELb1EdKddEv17rocblas_diagonal_iiT6_lPT7_lllS4_lllPT8_llli.uses_vcc, 1
	.set _ZL30rocblas_trmm_outofplace_kernelIdLi32ELi2ELb1ELb0ELb1ELb1EdKddEv17rocblas_diagonal_iiT6_lPT7_lllS4_lllPT8_llli.uses_flat_scratch, 0
	.set _ZL30rocblas_trmm_outofplace_kernelIdLi32ELi2ELb1ELb0ELb1ELb1EdKddEv17rocblas_diagonal_iiT6_lPT7_lllS4_lllPT8_llli.has_dyn_sized_stack, 0
	.set _ZL30rocblas_trmm_outofplace_kernelIdLi32ELi2ELb1ELb0ELb1ELb1EdKddEv17rocblas_diagonal_iiT6_lPT7_lllS4_lllPT8_llli.has_recursion, 0
	.set _ZL30rocblas_trmm_outofplace_kernelIdLi32ELi2ELb1ELb0ELb1ELb1EdKddEv17rocblas_diagonal_iiT6_lPT7_lllS4_lllPT8_llli.has_indirect_call, 0
	.section	.AMDGPU.csdata,"",@progbits
; Kernel info:
; codeLenInByte = 4420
; TotalNumSgprs: 57
; NumVgprs: 78
; ScratchSize: 0
; MemoryBound: 0
; FloatMode: 240
; IeeeMode: 1
; LDSByteSize: 16384 bytes/workgroup (compile time only)
; SGPRBlocks: 0
; VGPRBlocks: 9
; NumSGPRsForWavesPerEU: 57
; NumVGPRsForWavesPerEU: 78
; Occupancy: 16
; WaveLimiterHint : 0
; COMPUTE_PGM_RSRC2:SCRATCH_EN: 0
; COMPUTE_PGM_RSRC2:USER_SGPR: 2
; COMPUTE_PGM_RSRC2:TRAP_HANDLER: 0
; COMPUTE_PGM_RSRC2:TGID_X_EN: 1
; COMPUTE_PGM_RSRC2:TGID_Y_EN: 1
; COMPUTE_PGM_RSRC2:TGID_Z_EN: 1
; COMPUTE_PGM_RSRC2:TIDIG_COMP_CNT: 1
	.section	.text._ZL30rocblas_trmm_outofplace_kernelIdLi32ELi2ELb1ELb1ELb1ELb1EPKdS0_dEv17rocblas_diagonal_iiT6_lPT7_lllS5_lllPT8_llli,"axG",@progbits,_ZL30rocblas_trmm_outofplace_kernelIdLi32ELi2ELb1ELb1ELb1ELb1EPKdS0_dEv17rocblas_diagonal_iiT6_lPT7_lllS5_lllPT8_llli,comdat
	.globl	_ZL30rocblas_trmm_outofplace_kernelIdLi32ELi2ELb1ELb1ELb1ELb1EPKdS0_dEv17rocblas_diagonal_iiT6_lPT7_lllS5_lllPT8_llli ; -- Begin function _ZL30rocblas_trmm_outofplace_kernelIdLi32ELi2ELb1ELb1ELb1ELb1EPKdS0_dEv17rocblas_diagonal_iiT6_lPT7_lllS5_lllPT8_llli
	.p2align	8
	.type	_ZL30rocblas_trmm_outofplace_kernelIdLi32ELi2ELb1ELb1ELb1ELb1EPKdS0_dEv17rocblas_diagonal_iiT6_lPT7_lllS5_lllPT8_llli,@function
_ZL30rocblas_trmm_outofplace_kernelIdLi32ELi2ELb1ELb1ELb1ELb1EPKdS0_dEv17rocblas_diagonal_iiT6_lPT7_lllS5_lllPT8_llli: ; @_ZL30rocblas_trmm_outofplace_kernelIdLi32ELi2ELb1ELb1ELb1ELb1EPKdS0_dEv17rocblas_diagonal_iiT6_lPT7_lllS5_lllPT8_llli
; %bb.0:
	s_load_b32 s11, s[0:1], 0x80
	s_lshr_b32 s34, ttmp7, 16
	s_wait_kmcnt 0x0
	s_cmp_ge_u32 s34, s11
	s_cbranch_scc1 .LBB46_55
; %bb.1:
	s_clause 0x3
	s_load_b96 s[8:10], s[0:1], 0x0
	s_load_b256 s[36:43], s[0:1], 0x50
	s_load_b512 s[12:27], s[0:1], 0x10
	s_load_b128 s[28:31], s[0:1], 0x70
	s_add_nc_u64 s[44:45], s[0:1], 0x88
	s_and_b32 s33, ttmp7, 0xffff
	v_and_b32_e32 v51, 0x3ff, v0
	v_bfe_u32 v50, v0, 10, 10
	v_dual_mov_b32 v0, 0 :: v_dual_mov_b32 v57, 0x3ff00000
	s_mov_b32 s35, 0
	s_delay_alu instid0(VALU_DEP_3) | instskip(NEXT) | instid1(VALU_DEP_3)
	v_lshlrev_b32_e32 v52, 3, v51
	v_lshlrev_b32_e32 v1, 8, v50
	v_lshl_add_u32 v56, s33, 5, v50
	s_delay_alu instid0(VALU_DEP_3) | instskip(NEXT) | instid1(VALU_DEP_3)
	v_add_nc_u32_e32 v58, 0x800, v52
	v_add_nc_u32_e32 v53, 0x2000, v1
	;; [unrolled: 1-line block ×4, first 2 shown]
	s_wait_kmcnt 0x0
	s_add_co_i32 s2, s10, -1
	v_add_nc_u32_e32 v60, 0x1800, v52
	s_ashr_i32 s0, s2, 31
	v_add_nc_u32_e32 v55, v53, v52
	s_lshr_b32 s0, s0, 27
	s_mov_b32 s49, s10
	s_add_co_i32 s2, s2, s0
	s_lshl_b64 s[0:1], s[42:43], 3
	s_ashr_i32 s48, s2, 5
	s_mov_b32 s42, s9
	s_cmp_le_i32 s33, s48
	s_add_nc_u64 s[40:41], s[40:41], s[0:1]
	s_cselect_b32 s50, -1, 0
	s_lshl_b32 s51, ttmp9, 5
	s_cmp_gt_i32 ttmp9, -1
	v_add_nc_u32_e32 v2, s51, v51
	s_cselect_b32 s52, -1, 0
	s_cmp_eq_u32 s8, 0x84
	s_cselect_b32 s53, -1, 0
	s_delay_alu instid0(VALU_DEP_1) | instskip(SKIP_3) | instid1(VALU_DEP_4)
	v_ashrrev_i32_e32 v3, 31, v2
	v_add_co_u32 v4, vcc_lo, v2, 16
	v_mul_lo_u32 v22, s21, v2
	v_mad_co_u64_u32 v[16:17], null, s20, v2, 0
	v_add_co_ci_u32_e64 v5, null, 0, v3, vcc_lo
	v_sub_co_u32 v6, vcc_lo, v2, v50
	s_wait_alu 0xfffd
	v_subrev_co_ci_u32_e64 v7, null, 0, v3, vcc_lo
	v_lshlrev_b64_e32 v[10:11], 3, v[2:3]
	s_delay_alu instid0(VALU_DEP_3) | instskip(SKIP_1) | instid1(VALU_DEP_3)
	v_add_co_u32 v8, vcc_lo, v6, 16
	s_wait_alu 0xfffd
	v_add_co_ci_u32_e64 v9, null, 0, v7, vcc_lo
	v_add_co_u32 v12, vcc_lo, v6, -16
	v_mul_lo_u32 v15, s20, v3
	s_lshl_b64 s[4:5], s[26:27], 3
	s_wait_alu 0xfffd
	v_add_co_ci_u32_e64 v13, null, -1, v7, vcc_lo
	v_add_co_u32 v1, vcc_lo, 0x80, v10
	s_add_nc_u64 s[4:5], s[24:25], s[4:5]
	s_wait_alu 0xfffd
	v_add_co_ci_u32_e64 v14, null, 0, v11, vcc_lo
	v_add_co_u32 v23, s4, s4, v52
	s_wait_alu 0xf1ff
	v_add_co_ci_u32_e64 v24, null, s5, 0, s4
	s_lshl_b64 s[4:5], s[18:19], 3
	v_add3_u32 v17, v17, v15, v22
	v_mul_lo_u32 v25, s20, v14
	v_mul_lo_u32 v26, s21, v1
	s_wait_alu 0xfffe
	v_mad_co_u64_u32 v[18:19], null, s20, v1, s[4:5]
	v_lshlrev_b64_e32 v[16:17], 3, v[16:17]
	v_add_co_u32 v14, vcc_lo, 0x80, v23
	s_wait_alu 0xfffd
	v_add_co_ci_u32_e64 v15, null, 0, v24, vcc_lo
	v_add_nc_u32_e32 v20, 16, v2
	v_add3_u32 v1, v26, v19, v25
	v_lshlrev_b32_e32 v19, 3, v50
	v_add_co_u32 v16, vcc_lo, v16, s4
	s_wait_alu 0xfffd
	v_add_co_ci_u32_e64 v17, null, s5, v17, vcc_lo
	s_delay_alu instid0(VALU_DEP_3)
	v_add_co_u32 v18, vcc_lo, v18, v19
	s_wait_alu 0xfffd
	v_add_co_ci_u32_e64 v1, null, 0, v1, vcc_lo
	v_add_co_u32 v19, vcc_lo, v16, v19
	v_ashrrev_i32_e32 v21, 31, v20
	s_wait_alu 0xfffd
	v_add_co_ci_u32_e64 v22, null, 0, v17, vcc_lo
	v_add_co_u32 v16, vcc_lo, s16, v18
	s_ashr_i32 s43, s9, 31
	s_wait_alu 0xfffd
	v_add_co_ci_u32_e64 v17, null, s17, v1, vcc_lo
	v_add_co_u32 v18, vcc_lo, s16, v19
	v_cmp_gt_i32_e64 s2, s9, v20
	v_cmp_le_i64_e64 s3, s[42:43], v[4:5]
	v_lshlrev_b64_e32 v[20:21], 3, v[20:21]
	v_cmp_le_i32_e64 s0, s9, v2
	v_cmp_gt_i32_e64 s1, s9, v2
	s_wait_alu 0xfffd
	v_add_co_ci_u32_e64 v19, null, s17, v22, vcc_lo
	s_ashr_i32 s54, s10, 31
	s_add_nc_u64 s[46:47], s[42:43], -16
	s_lshl_b64 s[18:19], s[38:39], 3
	s_lshl_b64 s[16:17], s[36:37], 3
	;; [unrolled: 1-line block ×3, first 2 shown]
	s_branch .LBB46_4
.LBB46_2:                               ;   in Loop: Header=BB46_4 Depth=1
	s_add_co_i32 s34, s34, 0x10000
	s_wait_alu 0xfffe
	s_cmp_ge_u32 s34, s11
	s_cselect_b32 s4, -1, 0
.LBB46_3:                               ;   in Loop: Header=BB46_4 Depth=1
	s_wait_alu 0xfffe
	s_and_b32 vcc_lo, exec_lo, s4
	s_wait_alu 0xfffe
	s_cbranch_vccnz .LBB46_55
.LBB46_4:                               ; =>This Loop Header: Depth=1
                                        ;     Child Loop BB46_8 Depth 2
                                        ;       Child Loop BB46_11 Depth 3
	s_mul_u64 s[4:5], s[14:15], s[34:35]
	s_wait_alu 0xfffe
	s_lshl_b64 s[4:5], s[4:5], 3
	s_wait_alu 0xfffe
	s_add_nc_u64 s[4:5], s[12:13], s[4:5]
	global_load_b64 v[22:23], v0, s[4:5]
	s_mov_b32 s4, -1
	s_wait_loadcnt 0x0
	v_cmp_eq_f64_e32 vcc_lo, 0, v[22:23]
	s_cbranch_vccnz .LBB46_3
; %bb.5:                                ;   in Loop: Header=BB46_4 Depth=1
	s_and_not1_b32 vcc_lo, exec_lo, s50
	s_wait_alu 0xfffe
	s_cbranch_vccnz .LBB46_2
; %bb.6:                                ;   in Loop: Header=BB46_4 Depth=1
	v_mad_co_u64_u32 v[24:25], null, s18, s34, v[14:15]
	s_load_b32 s9, s[44:45], 0x4
	v_mad_co_u64_u32 v[26:27], null, s20, s34, v[16:17]
	v_mad_co_u64_u32 v[28:29], null, s20, s34, v[18:19]
	s_mul_i32 s6, s21, s34
	v_mov_b32_e32 v1, v25
	s_mul_u64 s[4:5], s[30:31], s[34:35]
	s_mov_b32 s39, s33
	s_wait_alu 0xfffe
	v_add_nc_u32_e32 v27, s6, v27
	s_lshl_b64 s[4:5], s[4:5], 3
	v_mad_co_u64_u32 v[30:31], null, s19, s34, v[1:2]
	v_add_nc_u32_e32 v29, s6, v29
	s_wait_alu 0xfffe
	s_add_nc_u64 s[22:23], s[40:41], s[4:5]
	s_delay_alu instid0(VALU_DEP_2)
	v_dual_mov_b32 v25, v30 :: v_dual_mov_b32 v30, v56
	s_wait_kmcnt 0x0
	s_lshl_b32 s38, s9, 5
	s_branch .LBB46_8
.LBB46_7:                               ;   in Loop: Header=BB46_8 Depth=2
	s_wait_alu 0xfffe
	s_or_b32 exec_lo, exec_lo, s4
	v_add_nc_u32_e32 v30, s38, v30
	s_add_co_i32 s39, s9, s39
	s_wait_alu 0xfffe
	s_cmp_gt_i32 s39, s48
	s_cbranch_scc1 .LBB46_2
.LBB46_8:                               ;   Parent Loop BB46_4 Depth=1
                                        ; =>  This Loop Header: Depth=2
                                        ;       Child Loop BB46_11 Depth 3
	v_lshl_add_u32 v61, s39, 5, v50
	v_mov_b32_e32 v42, 0
	v_dual_mov_b32 v38, 0 :: v_dual_mov_b32 v43, 0
	v_dual_mov_b32 v40, 0 :: v_dual_mov_b32 v39, 0
	;; [unrolled: 1-line block ×3, first 2 shown]
	v_mov_b32_e32 v37, 0
	v_ashrrev_i32_e32 v62, 31, v61
	s_and_not1_b32 vcc_lo, exec_lo, s52
	s_wait_alu 0xfffe
	s_cbranch_vccnz .LBB46_47
; %bb.9:                                ;   in Loop: Header=BB46_8 Depth=2
	v_ashrrev_i32_e32 v31, 31, v30
	v_mad_co_u64_u32 v[32:33], null, s16, v30, v[24:25]
	v_mul_lo_u32 v1, s17, v30
	v_mov_b32_e32 v40, 0
	s_delay_alu instid0(VALU_DEP_4) | instskip(SKIP_4) | instid1(VALU_DEP_4)
	v_lshlrev_b64_e32 v[34:35], 3, v[30:31]
	v_mul_lo_u32 v31, s16, v31
	v_dual_mov_b32 v41, 0 :: v_dual_mov_b32 v42, 0
	v_mov_b32_e32 v43, 0
	s_mov_b64 s[24:25], 0
	v_add_co_u32 v34, vcc_lo, 0x80, v34
	s_wait_alu 0xfffd
	v_add_co_ci_u32_e64 v35, null, 0, v35, vcc_lo
	v_sub_co_u32 v36, vcc_lo, s49, v61
	s_delay_alu instid0(VALU_DEP_3) | instskip(NEXT) | instid1(VALU_DEP_3)
	v_mul_lo_u32 v45, s37, v34
	v_mul_lo_u32 v44, s36, v35
	v_mad_co_u64_u32 v[34:35], null, s36, v34, v[24:25]
	s_wait_alu 0xfffd
	v_sub_co_ci_u32_e64 v37, null, s54, v62, vcc_lo
	v_mov_b32_e32 v38, 0
	v_add3_u32 v33, v1, v33, v31
	v_mov_b32_e32 v39, 0
	s_delay_alu instid0(VALU_DEP_4)
	v_cmp_lt_i64_e32 vcc_lo, 0, v[36:37]
	v_cmp_lt_i64_e64 s4, 16, v[36:37]
	v_mov_b32_e32 v36, 0
	v_mov_b32_e32 v37, 0
	v_add3_u32 v35, v45, v35, v44
	s_mov_b64 s[26:27], 0
	s_branch .LBB46_11
.LBB46_10:                              ;   in Loop: Header=BB46_11 Depth=3
	s_wait_alu 0xfffe
	s_or_b32 exec_lo, exec_lo, s5
	s_wait_dscnt 0x0
	s_barrier_signal -1
	s_barrier_wait -1
	global_inv scope:SCOPE_SE
	ds_load_b128 v[44:47], v53
	ds_load_2addr_b64 v[63:66], v52 offset1:16
	ds_load_b128 v[67:70], v53 offset:4096
	ds_load_b128 v[71:74], v53 offset:16
	ds_load_b128 v[75:78], v53 offset:4112
	s_add_nc_u64 s[26:27], s[26:27], 32
	s_add_nc_u64 s[24:25], s[24:25], 0x100
	s_wait_alu 0xfffe
	s_sub_co_i32 s5, s26, 32
	s_wait_alu 0xfffe
	s_cmp_ge_i32 s5, s51
	s_wait_dscnt 0x3
	v_fma_f64 v[42:43], v[63:64], v[44:45], v[42:43]
	v_fma_f64 v[40:41], v[65:66], v[44:45], v[40:41]
	s_wait_dscnt 0x2
	v_fma_f64 v[44:45], v[63:64], v[67:68], v[38:39]
	v_fma_f64 v[48:49], v[65:66], v[67:68], v[36:37]
	ds_load_2addr_b64 v[36:39], v52 offset0:32 offset1:48
	s_wait_dscnt 0x0
	v_fma_f64 v[42:43], v[36:37], v[46:47], v[42:43]
	v_fma_f64 v[40:41], v[38:39], v[46:47], v[40:41]
	v_fma_f64 v[44:45], v[36:37], v[69:70], v[44:45]
	v_fma_f64 v[46:47], v[38:39], v[69:70], v[48:49]
	ds_load_2addr_b64 v[36:39], v52 offset0:64 offset1:80
	s_wait_dscnt 0x0
	v_fma_f64 v[42:43], v[36:37], v[71:72], v[42:43]
	v_fma_f64 v[40:41], v[38:39], v[71:72], v[40:41]
	v_fma_f64 v[44:45], v[36:37], v[75:76], v[44:45]
	v_fma_f64 v[46:47], v[38:39], v[75:76], v[46:47]
	ds_load_2addr_b64 v[36:39], v52 offset0:96 offset1:112
	s_wait_dscnt 0x0
	v_fma_f64 v[48:49], v[36:37], v[73:74], v[42:43]
	v_fma_f64 v[71:72], v[38:39], v[73:74], v[40:41]
	v_fma_f64 v[73:74], v[36:37], v[77:78], v[44:45]
	v_fma_f64 v[75:76], v[38:39], v[77:78], v[46:47]
	ds_load_b128 v[36:39], v53 offset:32
	ds_load_2addr_b64 v[40:43], v52 offset0:128 offset1:144
	ds_load_b128 v[44:47], v53 offset:4128
	ds_load_b128 v[63:66], v53 offset:48
	ds_load_b128 v[67:70], v53 offset:4144
	s_wait_dscnt 0x3
	v_fma_f64 v[48:49], v[40:41], v[36:37], v[48:49]
	v_fma_f64 v[36:37], v[42:43], v[36:37], v[71:72]
	s_wait_dscnt 0x2
	v_fma_f64 v[71:72], v[40:41], v[44:45], v[73:74]
	v_fma_f64 v[44:45], v[42:43], v[44:45], v[75:76]
	ds_load_2addr_b64 v[40:43], v52 offset0:160 offset1:176
	s_wait_dscnt 0x0
	v_fma_f64 v[48:49], v[40:41], v[38:39], v[48:49]
	v_fma_f64 v[73:74], v[42:43], v[38:39], v[36:37]
	v_fma_f64 v[40:41], v[40:41], v[46:47], v[71:72]
	v_fma_f64 v[42:43], v[42:43], v[46:47], v[44:45]
	ds_load_2addr_b64 v[36:39], v52 offset0:192 offset1:208
	s_wait_dscnt 0x0
	v_fma_f64 v[44:45], v[36:37], v[63:64], v[48:49]
	v_fma_f64 v[46:47], v[38:39], v[63:64], v[73:74]
	v_fma_f64 v[40:41], v[36:37], v[67:68], v[40:41]
	v_fma_f64 v[42:43], v[38:39], v[67:68], v[42:43]
	ds_load_2addr_b64 v[36:39], v52 offset0:224 offset1:240
	s_wait_dscnt 0x0
	v_fma_f64 v[48:49], v[36:37], v[65:66], v[44:45]
	v_fma_f64 v[71:72], v[38:39], v[65:66], v[46:47]
	v_fma_f64 v[73:74], v[36:37], v[69:70], v[40:41]
	v_fma_f64 v[75:76], v[38:39], v[69:70], v[42:43]
	ds_load_b128 v[36:39], v53 offset:64
	ds_load_2addr_b64 v[40:43], v58 offset1:16
	ds_load_b128 v[44:47], v53 offset:4160
	ds_load_b128 v[63:66], v53 offset:80
	ds_load_b128 v[67:70], v53 offset:4176
	s_wait_dscnt 0x3
	v_fma_f64 v[48:49], v[40:41], v[36:37], v[48:49]
	v_fma_f64 v[36:37], v[42:43], v[36:37], v[71:72]
	s_wait_dscnt 0x2
	v_fma_f64 v[71:72], v[40:41], v[44:45], v[73:74]
	v_fma_f64 v[44:45], v[42:43], v[44:45], v[75:76]
	ds_load_2addr_b64 v[40:43], v58 offset0:32 offset1:48
	s_wait_dscnt 0x0
	v_fma_f64 v[48:49], v[40:41], v[38:39], v[48:49]
	v_fma_f64 v[73:74], v[42:43], v[38:39], v[36:37]
	v_fma_f64 v[40:41], v[40:41], v[46:47], v[71:72]
	v_fma_f64 v[42:43], v[42:43], v[46:47], v[44:45]
	ds_load_2addr_b64 v[36:39], v58 offset0:64 offset1:80
	s_wait_dscnt 0x0
	v_fma_f64 v[44:45], v[36:37], v[63:64], v[48:49]
	v_fma_f64 v[46:47], v[38:39], v[63:64], v[73:74]
	v_fma_f64 v[40:41], v[36:37], v[67:68], v[40:41]
	v_fma_f64 v[42:43], v[38:39], v[67:68], v[42:43]
	ds_load_2addr_b64 v[36:39], v58 offset0:96 offset1:112
	s_wait_dscnt 0x0
	v_fma_f64 v[48:49], v[36:37], v[65:66], v[44:45]
	v_fma_f64 v[71:72], v[38:39], v[65:66], v[46:47]
	v_fma_f64 v[73:74], v[36:37], v[69:70], v[40:41]
	v_fma_f64 v[75:76], v[38:39], v[69:70], v[42:43]
	ds_load_b128 v[36:39], v53 offset:96
	ds_load_2addr_b64 v[40:43], v58 offset0:128 offset1:144
	ds_load_b128 v[44:47], v53 offset:4192
	ds_load_b128 v[63:66], v53 offset:112
	ds_load_b128 v[67:70], v53 offset:4208
	s_wait_dscnt 0x3
	v_fma_f64 v[48:49], v[40:41], v[36:37], v[48:49]
	v_fma_f64 v[36:37], v[42:43], v[36:37], v[71:72]
	s_wait_dscnt 0x2
	v_fma_f64 v[71:72], v[40:41], v[44:45], v[73:74]
	v_fma_f64 v[44:45], v[42:43], v[44:45], v[75:76]
	ds_load_2addr_b64 v[40:43], v58 offset0:160 offset1:176
	s_wait_dscnt 0x0
	v_fma_f64 v[48:49], v[40:41], v[38:39], v[48:49]
	v_fma_f64 v[73:74], v[42:43], v[38:39], v[36:37]
	v_fma_f64 v[40:41], v[40:41], v[46:47], v[71:72]
	v_fma_f64 v[42:43], v[42:43], v[46:47], v[44:45]
	ds_load_2addr_b64 v[36:39], v58 offset0:192 offset1:208
	s_wait_dscnt 0x0
	v_fma_f64 v[44:45], v[36:37], v[63:64], v[48:49]
	v_fma_f64 v[46:47], v[38:39], v[63:64], v[73:74]
	v_fma_f64 v[40:41], v[36:37], v[67:68], v[40:41]
	v_fma_f64 v[42:43], v[38:39], v[67:68], v[42:43]
	ds_load_2addr_b64 v[36:39], v58 offset0:224 offset1:240
	s_wait_dscnt 0x0
	v_fma_f64 v[48:49], v[36:37], v[65:66], v[44:45]
	v_fma_f64 v[71:72], v[38:39], v[65:66], v[46:47]
	v_fma_f64 v[73:74], v[36:37], v[69:70], v[40:41]
	v_fma_f64 v[75:76], v[38:39], v[69:70], v[42:43]
	ds_load_b128 v[36:39], v53 offset:128
	ds_load_2addr_b64 v[40:43], v59 offset1:16
	ds_load_b128 v[44:47], v53 offset:4224
	ds_load_b128 v[63:66], v53 offset:144
	ds_load_b128 v[67:70], v53 offset:4240
	;; [unrolled: 58-line block ×3, first 2 shown]
	s_wait_dscnt 0x3
	v_fma_f64 v[48:49], v[40:41], v[36:37], v[48:49]
	v_fma_f64 v[36:37], v[42:43], v[36:37], v[71:72]
	s_wait_dscnt 0x2
	v_fma_f64 v[71:72], v[40:41], v[44:45], v[73:74]
	v_fma_f64 v[44:45], v[42:43], v[44:45], v[75:76]
	ds_load_2addr_b64 v[40:43], v60 offset0:32 offset1:48
	s_wait_dscnt 0x0
	v_fma_f64 v[48:49], v[40:41], v[38:39], v[48:49]
	v_fma_f64 v[73:74], v[42:43], v[38:39], v[36:37]
	v_fma_f64 v[40:41], v[40:41], v[46:47], v[71:72]
	v_fma_f64 v[42:43], v[42:43], v[46:47], v[44:45]
	ds_load_2addr_b64 v[36:39], v60 offset0:64 offset1:80
	s_wait_dscnt 0x0
	v_fma_f64 v[44:45], v[36:37], v[63:64], v[48:49]
	v_fma_f64 v[46:47], v[38:39], v[63:64], v[73:74]
	;; [unrolled: 6-line block ×3, first 2 shown]
	v_fma_f64 v[73:74], v[36:37], v[69:70], v[40:41]
	v_fma_f64 v[75:76], v[38:39], v[69:70], v[42:43]
	ds_load_b128 v[36:39], v53 offset:224
	ds_load_2addr_b64 v[40:43], v60 offset0:128 offset1:144
	ds_load_b128 v[44:47], v53 offset:4320
	ds_load_b128 v[63:66], v53 offset:240
	;; [unrolled: 1-line block ×3, first 2 shown]
	s_wait_dscnt 0x3
	v_fma_f64 v[48:49], v[40:41], v[36:37], v[48:49]
	v_fma_f64 v[36:37], v[42:43], v[36:37], v[71:72]
	s_wait_dscnt 0x2
	v_fma_f64 v[71:72], v[40:41], v[44:45], v[73:74]
	v_fma_f64 v[44:45], v[42:43], v[44:45], v[75:76]
	ds_load_2addr_b64 v[40:43], v60 offset0:160 offset1:176
	s_wait_dscnt 0x0
	v_fma_f64 v[48:49], v[40:41], v[38:39], v[48:49]
	v_fma_f64 v[73:74], v[42:43], v[38:39], v[36:37]
	;; [unrolled: 1-line block ×4, first 2 shown]
	ds_load_2addr_b64 v[36:39], v60 offset0:192 offset1:208
	ds_load_2addr_b64 v[44:47], v60 offset0:224 offset1:240
	s_wait_loadcnt_dscnt 0x0
	s_barrier_signal -1
	s_barrier_wait -1
	global_inv scope:SCOPE_SE
	v_fma_f64 v[48:49], v[36:37], v[63:64], v[48:49]
	v_fma_f64 v[63:64], v[38:39], v[63:64], v[73:74]
	;; [unrolled: 1-line block ×4, first 2 shown]
	s_delay_alu instid0(VALU_DEP_4) | instskip(NEXT) | instid1(VALU_DEP_4)
	v_fma_f64 v[42:43], v[44:45], v[65:66], v[48:49]
	v_fma_f64 v[40:41], v[46:47], v[65:66], v[63:64]
	s_delay_alu instid0(VALU_DEP_4) | instskip(NEXT) | instid1(VALU_DEP_4)
	v_fma_f64 v[38:39], v[44:45], v[69:70], v[36:37]
	v_fma_f64 v[36:37], v[46:47], v[69:70], v[67:68]
	s_cbranch_scc1 .LBB46_47
.LBB46_11:                              ;   Parent Loop BB46_4 Depth=1
                                        ;     Parent Loop BB46_8 Depth=2
                                        ; =>    This Inner Loop Header: Depth=3
	s_wait_alu 0xfffe
	v_add_co_u32 v46, s5, v50, s26
	s_wait_alu 0xf1ff
	v_add_co_ci_u32_e64 v47, null, 0, s27, s5
	v_cmp_eq_u64_e64 s7, s[26:27], v[6:7]
                                        ; implicit-def: $vgpr48_vgpr49
	s_delay_alu instid0(VALU_DEP_2)
	v_cmp_le_i64_e64 s6, s[42:43], v[46:47]
	v_cmp_gt_i64_e64 s5, v[46:47], v[2:3]
	s_and_b32 s55, s53, s7
	v_add_co_u32 v44, s7, v28, s24
	s_wait_alu 0xf1ff
	v_add_co_ci_u32_e64 v45, null, s25, v29, s7
	s_or_b32 s8, s6, s5
	s_wait_alu 0xfffe
	s_or_b32 s7, s8, s55
	s_wait_alu 0xfffe
	s_nor_b32 s7, s0, s7
	s_wait_alu 0xfffe
	s_and_saveexec_b32 s8, s7
	s_wait_alu 0xfffe
	s_xor_b32 s7, exec_lo, s8
	s_cbranch_execz .LBB46_13
; %bb.12:                               ;   in Loop: Header=BB46_11 Depth=3
	global_load_b64 v[48:49], v[44:45], off
.LBB46_13:                              ;   in Loop: Header=BB46_11 Depth=3
	s_wait_alu 0xfffe
	s_and_not1_saveexec_b32 s7, s7
	s_cbranch_execz .LBB46_15
; %bb.14:                               ;   in Loop: Header=BB46_11 Depth=3
	v_cndmask_b32_e64 v1, 0, 0x3ff00000, s55
	s_wait_loadcnt 0x0
	s_delay_alu instid0(VALU_DEP_1)
	v_dual_mov_b32 v49, v1 :: v_dual_mov_b32 v48, v0
.LBB46_15:                              ;   in Loop: Header=BB46_11 Depth=3
	s_wait_alu 0xfffe
	s_or_b32 exec_lo, exec_lo, s7
	v_cmp_eq_u64_e64 s7, s[26:27], v[8:9]
	v_cmp_lt_i64_e64 s8, v[4:5], v[46:47]
	s_wait_loadcnt 0x0
	ds_store_b64 v54, v[48:49]
	s_and_b32 s7, s53, s7
	s_or_b32 s6, s6, s8
	s_wait_alu 0xfffe
	s_or_b32 s6, s6, s7
	s_wait_alu 0xfffe
	s_nor_b32 s6, s3, s6
	s_wait_alu 0xfffe
	s_and_saveexec_b32 s8, s6
	s_wait_alu 0xfffe
	s_xor_b32 s8, exec_lo, s8
	s_cbranch_execz .LBB46_17
; %bb.16:                               ;   in Loop: Header=BB46_11 Depth=3
	v_add_co_u32 v48, s6, v26, s24
	s_wait_alu 0xf1ff
	v_add_co_ci_u32_e64 v49, null, s25, v27, s6
	global_load_b64 v[48:49], v[48:49], off
	s_wait_loadcnt 0x0
	ds_store_b64 v54, v[48:49] offset:128
.LBB46_17:                              ;   in Loop: Header=BB46_11 Depth=3
	s_wait_alu 0xfffe
	s_and_not1_saveexec_b32 s6, s8
	s_cbranch_execz .LBB46_23
; %bb.18:                               ;   in Loop: Header=BB46_11 Depth=3
	s_xor_b32 s7, s7, -1
	s_wait_alu 0xfffe
	s_and_saveexec_b32 s8, s7
	s_wait_alu 0xfffe
	s_xor_b32 s7, exec_lo, s8
; %bb.19:                               ;   in Loop: Header=BB46_11 Depth=3
	v_mov_b32_e32 v1, v0
	ds_store_b64 v54, v[0:1] offset:128
; %bb.20:                               ;   in Loop: Header=BB46_11 Depth=3
	s_wait_alu 0xfffe
	s_and_not1_saveexec_b32 s7, s7
; %bb.21:                               ;   in Loop: Header=BB46_11 Depth=3
	v_mov_b32_e32 v1, v57
	ds_store_b64 v54, v[0:1] offset:128
; %bb.22:                               ;   in Loop: Header=BB46_11 Depth=3
	s_wait_alu 0xfffe
	s_or_b32 exec_lo, exec_lo, s7
.LBB46_23:                              ;   in Loop: Header=BB46_11 Depth=3
	s_wait_alu 0xfffe
	s_or_b32 exec_lo, exec_lo, s6
	v_add_co_u32 v46, s6, v46, 16
	s_wait_alu 0xf1ff
	v_add_co_ci_u32_e64 v47, null, 0, v47, s6
	v_cmp_eq_u64_e64 s7, s[26:27], v[12:13]
	s_delay_alu instid0(VALU_DEP_2)
	v_cmp_le_i64_e64 s6, s[42:43], v[46:47]
	v_cmp_gt_i64_e64 s8, v[46:47], v[2:3]
                                        ; implicit-def: $vgpr46_vgpr47
	s_and_b32 s7, s53, s7
	s_or_b32 s8, s6, s8
	s_wait_alu 0xfffe
	s_or_b32 s8, s8, s7
	s_wait_alu 0xfffe
	s_nor_b32 s8, s0, s8
	s_wait_alu 0xfffe
	s_and_saveexec_b32 s56, s8
	s_delay_alu instid0(SALU_CYCLE_1)
	s_xor_b32 s8, exec_lo, s56
	s_cbranch_execz .LBB46_25
; %bb.24:                               ;   in Loop: Header=BB46_11 Depth=3
	global_load_b64 v[46:47], v[44:45], off offset:128
.LBB46_25:                              ;   in Loop: Header=BB46_11 Depth=3
	s_wait_alu 0xfffe
	s_and_not1_saveexec_b32 s8, s8
	s_cbranch_execz .LBB46_27
; %bb.26:                               ;   in Loop: Header=BB46_11 Depth=3
	v_cndmask_b32_e64 v1, 0, 0x3ff00000, s7
	s_wait_loadcnt 0x0
	s_delay_alu instid0(VALU_DEP_1)
	v_dual_mov_b32 v47, v1 :: v_dual_mov_b32 v46, v0
.LBB46_27:                              ;   in Loop: Header=BB46_11 Depth=3
	s_wait_alu 0xfffe
	s_or_b32 exec_lo, exec_lo, s8
	s_or_b32 s5, s6, s5
	s_wait_loadcnt 0x0
	ds_store_b64 v54, v[46:47] offset:4096
	s_wait_alu 0xfffe
	s_or_b32 s5, s5, s55
	s_wait_alu 0xfffe
	s_nor_b32 s5, s3, s5
	s_wait_alu 0xfffe
	s_and_saveexec_b32 s6, s5
	s_wait_alu 0xfffe
	s_xor_b32 s6, exec_lo, s6
	s_cbranch_execz .LBB46_29
; %bb.28:                               ;   in Loop: Header=BB46_11 Depth=3
	v_add_co_u32 v44, s5, v26, s24
	s_wait_alu 0xf1ff
	v_add_co_ci_u32_e64 v45, null, s25, v27, s5
	global_load_b64 v[44:45], v[44:45], off offset:128
	s_wait_loadcnt 0x0
	ds_store_b64 v54, v[44:45] offset:4224
.LBB46_29:                              ;   in Loop: Header=BB46_11 Depth=3
	s_wait_alu 0xfffe
	s_and_not1_saveexec_b32 s5, s6
	s_cbranch_execz .LBB46_35
; %bb.30:                               ;   in Loop: Header=BB46_11 Depth=3
	s_xor_b32 s6, s55, -1
	s_wait_alu 0xfffe
	s_and_saveexec_b32 s7, s6
	s_wait_alu 0xfffe
	s_xor_b32 s6, exec_lo, s7
; %bb.31:                               ;   in Loop: Header=BB46_11 Depth=3
	v_mov_b32_e32 v1, v0
	ds_store_b64 v54, v[0:1] offset:4224
; %bb.32:                               ;   in Loop: Header=BB46_11 Depth=3
	s_wait_alu 0xfffe
	s_and_not1_saveexec_b32 s6, s6
; %bb.33:                               ;   in Loop: Header=BB46_11 Depth=3
	v_mov_b32_e32 v1, v57
	ds_store_b64 v54, v[0:1] offset:4224
; %bb.34:                               ;   in Loop: Header=BB46_11 Depth=3
	s_wait_alu 0xfffe
	s_or_b32 exec_lo, exec_lo, s6
.LBB46_35:                              ;   in Loop: Header=BB46_11 Depth=3
	s_wait_alu 0xfffe
	s_or_b32 exec_lo, exec_lo, s5
	v_add_co_u32 v46, s5, v51, s26
	s_wait_alu 0xf1ff
	v_add_co_ci_u32_e64 v47, null, 0, s27, s5
	v_add_co_u32 v44, s6, v32, s24
	v_mov_b32_e32 v48, 0
	s_delay_alu instid0(VALU_DEP_3)
	v_cmp_gt_i64_e64 s5, s[42:43], v[46:47]
	v_mov_b32_e32 v49, 0
	s_wait_alu 0xf1ff
	v_add_co_ci_u32_e64 v45, null, s25, v33, s6
	s_and_b32 s7, vcc_lo, s5
	s_wait_alu 0xfffe
	s_and_saveexec_b32 s6, s7
	s_cbranch_execz .LBB46_37
; %bb.36:                               ;   in Loop: Header=BB46_11 Depth=3
	global_load_b64 v[48:49], v[44:45], off offset:-128
.LBB46_37:                              ;   in Loop: Header=BB46_11 Depth=3
	s_wait_alu 0xfffe
	s_or_b32 exec_lo, exec_lo, s6
	v_cmp_gt_i64_e64 s6, s[46:47], v[46:47]
	s_wait_loadcnt 0x0
	ds_store_b64 v55, v[48:49]
	s_and_b32 s7, vcc_lo, s6
	s_wait_alu 0xfffe
	s_xor_b32 s7, s7, -1
	s_wait_alu 0xfffe
	s_and_saveexec_b32 s8, s7
	s_wait_alu 0xfffe
	s_xor_b32 s7, exec_lo, s8
; %bb.38:                               ;   in Loop: Header=BB46_11 Depth=3
	v_mov_b32_e32 v1, v0
                                        ; implicit-def: $vgpr44_vgpr45
	ds_store_b64 v55, v[0:1] offset:128
; %bb.39:                               ;   in Loop: Header=BB46_11 Depth=3
	s_wait_alu 0xfffe
	s_and_not1_saveexec_b32 s7, s7
	s_cbranch_execz .LBB46_41
; %bb.40:                               ;   in Loop: Header=BB46_11 Depth=3
	global_load_b64 v[44:45], v[44:45], off
	s_wait_loadcnt 0x0
	ds_store_b64 v55, v[44:45] offset:128
.LBB46_41:                              ;   in Loop: Header=BB46_11 Depth=3
	s_wait_alu 0xfffe
	s_or_b32 exec_lo, exec_lo, s7
	v_add_co_u32 v44, s7, v34, s24
	v_mov_b32_e32 v46, 0
	v_mov_b32_e32 v47, 0
	s_wait_alu 0xf1ff
	v_add_co_ci_u32_e64 v45, null, s25, v35, s7
	s_and_b32 s7, s4, s5
	s_wait_alu 0xfffe
	s_and_saveexec_b32 s5, s7
	s_cbranch_execz .LBB46_43
; %bb.42:                               ;   in Loop: Header=BB46_11 Depth=3
	global_load_b64 v[46:47], v[44:45], off offset:-128
.LBB46_43:                              ;   in Loop: Header=BB46_11 Depth=3
	s_wait_alu 0xfffe
	s_or_b32 exec_lo, exec_lo, s5
	s_and_b32 s5, s4, s6
	s_wait_loadcnt 0x0
	ds_store_b64 v55, v[46:47] offset:4096
	s_wait_alu 0xfffe
	s_xor_b32 s5, s5, -1
	s_wait_alu 0xfffe
	s_and_saveexec_b32 s6, s5
	s_wait_alu 0xfffe
	s_xor_b32 s5, exec_lo, s6
; %bb.44:                               ;   in Loop: Header=BB46_11 Depth=3
	v_mov_b32_e32 v1, v0
                                        ; implicit-def: $vgpr44_vgpr45
	ds_store_b64 v55, v[0:1] offset:4224
; %bb.45:                               ;   in Loop: Header=BB46_11 Depth=3
	s_wait_alu 0xfffe
	s_and_not1_saveexec_b32 s5, s5
	s_cbranch_execz .LBB46_10
; %bb.46:                               ;   in Loop: Header=BB46_11 Depth=3
	global_load_b64 v[44:45], v[44:45], off
	s_wait_loadcnt 0x0
	ds_store_b64 v55, v[44:45] offset:4224
	s_branch .LBB46_10
.LBB46_47:                              ;   in Loop: Header=BB46_8 Depth=2
	v_mul_lo_u32 v1, s29, v61
	v_mul_lo_u32 v33, s28, v62
	v_mad_co_u64_u32 v[31:32], null, s28, v61, 0
	v_cmp_gt_i32_e32 vcc_lo, s10, v61
	s_delay_alu instid0(VALU_DEP_2) | instskip(NEXT) | instid1(VALU_DEP_1)
	v_add3_u32 v32, v32, v33, v1
	v_lshlrev_b64_e32 v[31:32], 3, v[31:32]
	s_delay_alu instid0(VALU_DEP_1) | instskip(SKIP_1) | instid1(VALU_DEP_2)
	v_add_co_u32 v1, s4, s22, v31
	s_wait_alu 0xf1ff
	v_add_co_ci_u32_e64 v31, null, s23, v32, s4
	s_and_b32 s4, s1, vcc_lo
	s_wait_alu 0xfffe
	s_and_saveexec_b32 s5, s4
	s_cbranch_execz .LBB46_49
; %bb.48:                               ;   in Loop: Header=BB46_8 Depth=2
	v_add_co_u32 v32, s4, v1, v10
	s_wait_alu 0xf1ff
	v_add_co_ci_u32_e64 v33, null, v31, v11, s4
	global_load_b64 v[34:35], v[32:33], off
	s_wait_loadcnt 0x0
	v_fma_f64 v[34:35], v[22:23], v[42:43], v[34:35]
	global_store_b64 v[32:33], v[34:35], off
.LBB46_49:                              ;   in Loop: Header=BB46_8 Depth=2
	s_wait_alu 0xfffe
	s_or_b32 exec_lo, exec_lo, s5
	s_and_b32 s5, s2, vcc_lo
	s_wait_alu 0xfffe
	s_and_saveexec_b32 s4, s5
	s_cbranch_execz .LBB46_51
; %bb.50:                               ;   in Loop: Header=BB46_8 Depth=2
	v_add_co_u32 v32, vcc_lo, v1, v20
	s_wait_alu 0xfffd
	v_add_co_ci_u32_e64 v33, null, v31, v21, vcc_lo
	global_load_b64 v[34:35], v[32:33], off
	s_wait_loadcnt 0x0
	v_fma_f64 v[34:35], v[22:23], v[40:41], v[34:35]
	global_store_b64 v[32:33], v[34:35], off
.LBB46_51:                              ;   in Loop: Header=BB46_8 Depth=2
	s_wait_alu 0xfffe
	s_or_b32 exec_lo, exec_lo, s4
	v_add_nc_u32_e32 v1, 16, v61
	s_delay_alu instid0(VALU_DEP_1) | instskip(SKIP_3) | instid1(VALU_DEP_4)
	v_ashrrev_i32_e32 v33, 31, v1
	v_mul_lo_u32 v34, s29, v1
	v_mad_co_u64_u32 v[31:32], null, s28, v1, 0
	v_cmp_gt_i32_e32 vcc_lo, s10, v1
	v_mul_lo_u32 v33, s28, v33
	s_delay_alu instid0(VALU_DEP_1) | instskip(NEXT) | instid1(VALU_DEP_1)
	v_add3_u32 v32, v32, v33, v34
	v_lshlrev_b64_e32 v[31:32], 3, v[31:32]
	s_delay_alu instid0(VALU_DEP_1) | instskip(SKIP_1) | instid1(VALU_DEP_2)
	v_add_co_u32 v1, s4, s22, v31
	s_wait_alu 0xf1ff
	v_add_co_ci_u32_e64 v31, null, s23, v32, s4
	s_and_b32 s4, s1, vcc_lo
	s_wait_alu 0xfffe
	s_and_saveexec_b32 s5, s4
	s_cbranch_execz .LBB46_53
; %bb.52:                               ;   in Loop: Header=BB46_8 Depth=2
	v_add_co_u32 v32, s4, v1, v10
	s_wait_alu 0xf1ff
	v_add_co_ci_u32_e64 v33, null, v31, v11, s4
	global_load_b64 v[34:35], v[32:33], off
	s_wait_loadcnt 0x0
	v_fma_f64 v[34:35], v[22:23], v[38:39], v[34:35]
	global_store_b64 v[32:33], v[34:35], off
.LBB46_53:                              ;   in Loop: Header=BB46_8 Depth=2
	s_wait_alu 0xfffe
	s_or_b32 exec_lo, exec_lo, s5
	s_and_b32 s5, s2, vcc_lo
	s_wait_alu 0xfffe
	s_and_saveexec_b32 s4, s5
	s_cbranch_execz .LBB46_7
; %bb.54:                               ;   in Loop: Header=BB46_8 Depth=2
	v_add_co_u32 v32, vcc_lo, v1, v20
	s_wait_alu 0xfffd
	v_add_co_ci_u32_e64 v33, null, v31, v21, vcc_lo
	global_load_b64 v[34:35], v[32:33], off
	s_wait_loadcnt 0x0
	v_fma_f64 v[34:35], v[22:23], v[36:37], v[34:35]
	global_store_b64 v[32:33], v[34:35], off
	s_branch .LBB46_7
.LBB46_55:
	s_endpgm
	.section	.rodata,"a",@progbits
	.p2align	6, 0x0
	.amdhsa_kernel _ZL30rocblas_trmm_outofplace_kernelIdLi32ELi2ELb1ELb1ELb1ELb1EPKdS0_dEv17rocblas_diagonal_iiT6_lPT7_lllS5_lllPT8_llli
		.amdhsa_group_segment_fixed_size 16384
		.amdhsa_private_segment_fixed_size 0
		.amdhsa_kernarg_size 392
		.amdhsa_user_sgpr_count 2
		.amdhsa_user_sgpr_dispatch_ptr 0
		.amdhsa_user_sgpr_queue_ptr 0
		.amdhsa_user_sgpr_kernarg_segment_ptr 1
		.amdhsa_user_sgpr_dispatch_id 0
		.amdhsa_user_sgpr_private_segment_size 0
		.amdhsa_wavefront_size32 1
		.amdhsa_uses_dynamic_stack 0
		.amdhsa_enable_private_segment 0
		.amdhsa_system_sgpr_workgroup_id_x 1
		.amdhsa_system_sgpr_workgroup_id_y 1
		.amdhsa_system_sgpr_workgroup_id_z 1
		.amdhsa_system_sgpr_workgroup_info 0
		.amdhsa_system_vgpr_workitem_id 1
		.amdhsa_next_free_vgpr 79
		.amdhsa_next_free_sgpr 57
		.amdhsa_reserve_vcc 1
		.amdhsa_float_round_mode_32 0
		.amdhsa_float_round_mode_16_64 0
		.amdhsa_float_denorm_mode_32 3
		.amdhsa_float_denorm_mode_16_64 3
		.amdhsa_fp16_overflow 0
		.amdhsa_workgroup_processor_mode 1
		.amdhsa_memory_ordered 1
		.amdhsa_forward_progress 1
		.amdhsa_inst_pref_size 35
		.amdhsa_round_robin_scheduling 0
		.amdhsa_exception_fp_ieee_invalid_op 0
		.amdhsa_exception_fp_denorm_src 0
		.amdhsa_exception_fp_ieee_div_zero 0
		.amdhsa_exception_fp_ieee_overflow 0
		.amdhsa_exception_fp_ieee_underflow 0
		.amdhsa_exception_fp_ieee_inexact 0
		.amdhsa_exception_int_div_zero 0
	.end_amdhsa_kernel
	.section	.text._ZL30rocblas_trmm_outofplace_kernelIdLi32ELi2ELb1ELb1ELb1ELb1EPKdS0_dEv17rocblas_diagonal_iiT6_lPT7_lllS5_lllPT8_llli,"axG",@progbits,_ZL30rocblas_trmm_outofplace_kernelIdLi32ELi2ELb1ELb1ELb1ELb1EPKdS0_dEv17rocblas_diagonal_iiT6_lPT7_lllS5_lllPT8_llli,comdat
.Lfunc_end46:
	.size	_ZL30rocblas_trmm_outofplace_kernelIdLi32ELi2ELb1ELb1ELb1ELb1EPKdS0_dEv17rocblas_diagonal_iiT6_lPT7_lllS5_lllPT8_llli, .Lfunc_end46-_ZL30rocblas_trmm_outofplace_kernelIdLi32ELi2ELb1ELb1ELb1ELb1EPKdS0_dEv17rocblas_diagonal_iiT6_lPT7_lllS5_lllPT8_llli
                                        ; -- End function
	.set _ZL30rocblas_trmm_outofplace_kernelIdLi32ELi2ELb1ELb1ELb1ELb1EPKdS0_dEv17rocblas_diagonal_iiT6_lPT7_lllS5_lllPT8_llli.num_vgpr, 79
	.set _ZL30rocblas_trmm_outofplace_kernelIdLi32ELi2ELb1ELb1ELb1ELb1EPKdS0_dEv17rocblas_diagonal_iiT6_lPT7_lllS5_lllPT8_llli.num_agpr, 0
	.set _ZL30rocblas_trmm_outofplace_kernelIdLi32ELi2ELb1ELb1ELb1ELb1EPKdS0_dEv17rocblas_diagonal_iiT6_lPT7_lllS5_lllPT8_llli.numbered_sgpr, 57
	.set _ZL30rocblas_trmm_outofplace_kernelIdLi32ELi2ELb1ELb1ELb1ELb1EPKdS0_dEv17rocblas_diagonal_iiT6_lPT7_lllS5_lllPT8_llli.num_named_barrier, 0
	.set _ZL30rocblas_trmm_outofplace_kernelIdLi32ELi2ELb1ELb1ELb1ELb1EPKdS0_dEv17rocblas_diagonal_iiT6_lPT7_lllS5_lllPT8_llli.private_seg_size, 0
	.set _ZL30rocblas_trmm_outofplace_kernelIdLi32ELi2ELb1ELb1ELb1ELb1EPKdS0_dEv17rocblas_diagonal_iiT6_lPT7_lllS5_lllPT8_llli.uses_vcc, 1
	.set _ZL30rocblas_trmm_outofplace_kernelIdLi32ELi2ELb1ELb1ELb1ELb1EPKdS0_dEv17rocblas_diagonal_iiT6_lPT7_lllS5_lllPT8_llli.uses_flat_scratch, 0
	.set _ZL30rocblas_trmm_outofplace_kernelIdLi32ELi2ELb1ELb1ELb1ELb1EPKdS0_dEv17rocblas_diagonal_iiT6_lPT7_lllS5_lllPT8_llli.has_dyn_sized_stack, 0
	.set _ZL30rocblas_trmm_outofplace_kernelIdLi32ELi2ELb1ELb1ELb1ELb1EPKdS0_dEv17rocblas_diagonal_iiT6_lPT7_lllS5_lllPT8_llli.has_recursion, 0
	.set _ZL30rocblas_trmm_outofplace_kernelIdLi32ELi2ELb1ELb1ELb1ELb1EPKdS0_dEv17rocblas_diagonal_iiT6_lPT7_lllS5_lllPT8_llli.has_indirect_call, 0
	.section	.AMDGPU.csdata,"",@progbits
; Kernel info:
; codeLenInByte = 4448
; TotalNumSgprs: 59
; NumVgprs: 79
; ScratchSize: 0
; MemoryBound: 0
; FloatMode: 240
; IeeeMode: 1
; LDSByteSize: 16384 bytes/workgroup (compile time only)
; SGPRBlocks: 0
; VGPRBlocks: 9
; NumSGPRsForWavesPerEU: 59
; NumVGPRsForWavesPerEU: 79
; Occupancy: 16
; WaveLimiterHint : 0
; COMPUTE_PGM_RSRC2:SCRATCH_EN: 0
; COMPUTE_PGM_RSRC2:USER_SGPR: 2
; COMPUTE_PGM_RSRC2:TRAP_HANDLER: 0
; COMPUTE_PGM_RSRC2:TGID_X_EN: 1
; COMPUTE_PGM_RSRC2:TGID_Y_EN: 1
; COMPUTE_PGM_RSRC2:TGID_Z_EN: 1
; COMPUTE_PGM_RSRC2:TIDIG_COMP_CNT: 1
	.section	.text._ZL30rocblas_trmm_outofplace_kernelIdLi32ELi2ELb1ELb1ELb1ELb1EdKddEv17rocblas_diagonal_iiT6_lPT7_lllS4_lllPT8_llli,"axG",@progbits,_ZL30rocblas_trmm_outofplace_kernelIdLi32ELi2ELb1ELb1ELb1ELb1EdKddEv17rocblas_diagonal_iiT6_lPT7_lllS4_lllPT8_llli,comdat
	.globl	_ZL30rocblas_trmm_outofplace_kernelIdLi32ELi2ELb1ELb1ELb1ELb1EdKddEv17rocblas_diagonal_iiT6_lPT7_lllS4_lllPT8_llli ; -- Begin function _ZL30rocblas_trmm_outofplace_kernelIdLi32ELi2ELb1ELb1ELb1ELb1EdKddEv17rocblas_diagonal_iiT6_lPT7_lllS4_lllPT8_llli
	.p2align	8
	.type	_ZL30rocblas_trmm_outofplace_kernelIdLi32ELi2ELb1ELb1ELb1ELb1EdKddEv17rocblas_diagonal_iiT6_lPT7_lllS4_lllPT8_llli,@function
_ZL30rocblas_trmm_outofplace_kernelIdLi32ELi2ELb1ELb1ELb1ELb1EdKddEv17rocblas_diagonal_iiT6_lPT7_lllS4_lllPT8_llli: ; @_ZL30rocblas_trmm_outofplace_kernelIdLi32ELi2ELb1ELb1ELb1ELb1EdKddEv17rocblas_diagonal_iiT6_lPT7_lllS4_lllPT8_llli
; %bb.0:
	s_load_b32 s31, s[0:1], 0x80
	s_lshr_b32 s34, ttmp7, 16
	s_wait_kmcnt 0x0
	s_cmp_ge_u32 s34, s31
	s_cbranch_scc1 .LBB47_54
; %bb.1:
	s_load_b64 s[36:37], s[0:1], 0x10
	s_wait_kmcnt 0x0
	v_cmp_eq_f64_e64 s2, s[36:37], 0
	s_and_b32 vcc_lo, exec_lo, s2
	s_cbranch_vccnz .LBB47_54
; %bb.2:
	s_load_b96 s[28:30], s[0:1], 0x0
	s_and_b32 s33, ttmp7, 0xffff
	v_and_b32_e32 v49, 0x3ff, v0
	s_load_b512 s[4:19], s[0:1], 0x20
	v_bfe_u32 v48, v0, 10, 10
	v_dual_mov_b32 v0, 0 :: v_dual_mov_b32 v55, 0x3ff00000
	s_delay_alu instid0(VALU_DEP_3) | instskip(SKIP_1) | instid1(VALU_DEP_3)
	v_lshlrev_b32_e32 v50, 3, v49
	s_load_b256 s[20:27], s[0:1], 0x60
	v_lshlrev_b32_e32 v1, 8, v48
	s_add_nc_u64 s[38:39], s[0:1], 0x88
	v_lshl_add_u32 v54, s33, 5, v48
	v_add_nc_u32_e32 v56, 0x800, v50
	v_add_nc_u32_e32 v57, 0x1000, v50
	;; [unrolled: 1-line block ×5, first 2 shown]
	s_mov_b32 s35, 0
	s_delay_alu instid0(VALU_DEP_3)
	v_add_nc_u32_e32 v53, v51, v50
	s_wait_kmcnt 0x0
	s_add_co_i32 s2, s30, -1
	s_mov_b32 s40, s29
	s_ashr_i32 s3, s2, 31
	s_mov_b32 s47, s30
	s_lshr_b32 s3, s3, 27
	s_delay_alu instid0(SALU_CYCLE_1) | instskip(NEXT) | instid1(SALU_CYCLE_1)
	s_add_co_i32 s2, s2, s3
	s_ashr_i32 s44, s2, 5
	s_delay_alu instid0(SALU_CYCLE_1)
	s_cmp_le_i32 s33, s44
	s_cselect_b32 s45, -1, 0
	s_lshl_b32 s46, ttmp9, 5
	s_cmp_gt_i32 ttmp9, -1
	v_add_nc_u32_e32 v2, s46, v49
	s_cselect_b32 s48, -1, 0
	s_cmp_eq_u32 s28, 0x84
	s_cselect_b32 s49, -1, 0
	s_delay_alu instid0(VALU_DEP_1) | instskip(SKIP_3) | instid1(VALU_DEP_4)
	v_ashrrev_i32_e32 v3, 31, v2
	v_add_co_u32 v4, vcc_lo, v2, 16
	v_mul_lo_u32 v22, s9, v2
	v_mad_co_u64_u32 v[16:17], null, s8, v2, 0
	v_add_co_ci_u32_e64 v5, null, 0, v3, vcc_lo
	v_sub_co_u32 v6, vcc_lo, v2, v48
	s_wait_alu 0xfffd
	v_subrev_co_ci_u32_e64 v7, null, 0, v3, vcc_lo
	v_lshlrev_b64_e32 v[10:11], 3, v[2:3]
	s_delay_alu instid0(VALU_DEP_3) | instskip(SKIP_1) | instid1(VALU_DEP_3)
	v_add_co_u32 v8, vcc_lo, v6, 16
	s_wait_alu 0xfffd
	v_add_co_ci_u32_e64 v9, null, 0, v7, vcc_lo
	v_add_co_u32 v12, vcc_lo, v6, -16
	v_mul_lo_u32 v15, s8, v3
	s_wait_alu 0xfffd
	v_add_co_ci_u32_e64 v13, null, -1, v7, vcc_lo
	v_add_co_u32 v1, vcc_lo, 0x80, v10
	s_wait_alu 0xfffd
	v_add_co_ci_u32_e64 v14, null, 0, v11, vcc_lo
	s_lshl_b64 s[6:7], s[6:7], 3
	s_lshl_b64 s[14:15], s[14:15], 3
	v_add3_u32 v17, v17, v15, v22
	v_mul_lo_u32 v25, s8, v14
	v_mul_lo_u32 v26, s9, v1
	v_mad_co_u64_u32 v[18:19], null, s8, v1, s[6:7]
	s_add_nc_u64 s[12:13], s[12:13], s[14:15]
	v_lshlrev_b64_e32 v[16:17], 3, v[16:17]
	v_add_co_u32 v23, s12, s12, v50
	s_wait_alu 0xf1ff
	v_add_co_ci_u32_e64 v24, null, s13, 0, s12
	v_add3_u32 v1, v26, v19, v25
	s_delay_alu instid0(VALU_DEP_3)
	v_add_co_u32 v14, vcc_lo, 0x80, v23
	v_lshlrev_b32_e32 v19, 3, v48
	s_wait_alu 0xfffd
	v_add_co_ci_u32_e64 v15, null, 0, v24, vcc_lo
	v_add_co_u32 v16, vcc_lo, v16, s6
	v_add_nc_u32_e32 v20, 16, v2
	s_wait_alu 0xfffd
	v_add_co_ci_u32_e64 v17, null, s7, v17, vcc_lo
	v_add_co_u32 v18, vcc_lo, v18, v19
	s_wait_alu 0xfffd
	v_add_co_ci_u32_e64 v1, null, 0, v1, vcc_lo
	v_add_co_u32 v19, vcc_lo, v16, v19
	v_ashrrev_i32_e32 v21, 31, v20
	s_wait_alu 0xfffd
	v_add_co_ci_u32_e64 v22, null, 0, v17, vcc_lo
	v_add_co_u32 v16, vcc_lo, s4, v18
	s_ashr_i32 s41, s29, 31
	s_lshl_b64 s[0:1], s[22:23], 3
	s_wait_alu 0xfffd
	v_add_co_ci_u32_e64 v17, null, s5, v1, vcc_lo
	v_add_co_u32 v18, vcc_lo, s4, v19
	v_cmp_gt_i32_e64 s2, s29, v20
	v_cmp_le_i64_e64 s3, s[40:41], v[4:5]
	v_lshlrev_b64_e32 v[20:21], 3, v[20:21]
	s_add_nc_u64 s[20:21], s[20:21], s[0:1]
	v_cmp_le_i32_e64 s0, s29, v2
	v_cmp_gt_i32_e64 s1, s29, v2
	s_wait_alu 0xfffd
	v_add_co_ci_u32_e64 v19, null, s5, v22, vcc_lo
	s_ashr_i32 s50, s30, 31
	s_add_nc_u64 s[22:23], s[40:41], -16
	s_lshl_b64 s[12:13], s[18:19], 3
	s_lshl_b64 s[14:15], s[16:17], 3
	;; [unrolled: 1-line block ×3, first 2 shown]
	s_branch .LBB47_4
.LBB47_3:                               ;   in Loop: Header=BB47_4 Depth=1
	s_add_co_i32 s34, s34, 0x10000
	s_wait_alu 0xfffe
	s_cmp_ge_u32 s34, s31
	s_cbranch_scc1 .LBB47_54
.LBB47_4:                               ; =>This Loop Header: Depth=1
                                        ;     Child Loop BB47_7 Depth 2
                                        ;       Child Loop BB47_10 Depth 3
	s_and_not1_b32 vcc_lo, exec_lo, s45
	s_wait_alu 0xfffe
	s_cbranch_vccnz .LBB47_3
; %bb.5:                                ;   in Loop: Header=BB47_4 Depth=1
	v_mad_co_u64_u32 v[22:23], null, s12, s34, v[14:15]
	s_load_b32 s9, s[38:39], 0x4
	v_mad_co_u64_u32 v[24:25], null, s10, s34, v[16:17]
	v_mad_co_u64_u32 v[26:27], null, s10, s34, v[18:19]
	s_mul_i32 s6, s11, s34
	v_mov_b32_e32 v1, v23
	s_mul_u64 s[4:5], s[26:27], s[34:35]
	s_mov_b32 s52, s33
	s_wait_alu 0xfffe
	v_add_nc_u32_e32 v25, s6, v25
	s_lshl_b64 s[4:5], s[4:5], 3
	v_mad_co_u64_u32 v[28:29], null, s13, s34, v[1:2]
	v_add_nc_u32_e32 v27, s6, v27
	s_wait_alu 0xfffe
	s_add_nc_u64 s[18:19], s[20:21], s[4:5]
	s_delay_alu instid0(VALU_DEP_2)
	v_dual_mov_b32 v23, v28 :: v_dual_mov_b32 v28, v54
	s_wait_kmcnt 0x0
	s_lshl_b32 s51, s9, 5
	s_branch .LBB47_7
.LBB47_6:                               ;   in Loop: Header=BB47_7 Depth=2
	s_wait_alu 0xfffe
	s_or_b32 exec_lo, exec_lo, s4
	v_add_nc_u32_e32 v28, s51, v28
	s_add_co_i32 s52, s9, s52
	s_wait_alu 0xfffe
	s_cmp_gt_i32 s52, s44
	s_cbranch_scc1 .LBB47_3
.LBB47_7:                               ;   Parent Loop BB47_4 Depth=1
                                        ; =>  This Loop Header: Depth=2
                                        ;       Child Loop BB47_10 Depth 3
	v_lshl_add_u32 v59, s52, 5, v48
	v_mov_b32_e32 v40, 0
	v_dual_mov_b32 v36, 0 :: v_dual_mov_b32 v41, 0
	v_dual_mov_b32 v38, 0 :: v_dual_mov_b32 v37, 0
	v_dual_mov_b32 v34, 0 :: v_dual_mov_b32 v39, 0
	v_mov_b32_e32 v35, 0
	v_ashrrev_i32_e32 v60, 31, v59
	s_and_not1_b32 vcc_lo, exec_lo, s48
	s_wait_alu 0xfffe
	s_cbranch_vccnz .LBB47_46
; %bb.8:                                ;   in Loop: Header=BB47_7 Depth=2
	v_ashrrev_i32_e32 v29, 31, v28
	v_mad_co_u64_u32 v[30:31], null, s14, v28, v[22:23]
	v_mul_lo_u32 v1, s15, v28
	v_mov_b32_e32 v38, 0
	s_delay_alu instid0(VALU_DEP_4) | instskip(SKIP_4) | instid1(VALU_DEP_4)
	v_lshlrev_b64_e32 v[32:33], 3, v[28:29]
	v_mul_lo_u32 v29, s14, v29
	v_dual_mov_b32 v39, 0 :: v_dual_mov_b32 v40, 0
	v_mov_b32_e32 v41, 0
	s_mov_b64 s[28:29], 0
	v_add_co_u32 v32, vcc_lo, 0x80, v32
	s_wait_alu 0xfffd
	v_add_co_ci_u32_e64 v33, null, 0, v33, vcc_lo
	v_sub_co_u32 v34, vcc_lo, s47, v59
	s_delay_alu instid0(VALU_DEP_3) | instskip(NEXT) | instid1(VALU_DEP_3)
	v_mul_lo_u32 v43, s17, v32
	v_mul_lo_u32 v42, s16, v33
	v_mad_co_u64_u32 v[32:33], null, s16, v32, v[22:23]
	s_wait_alu 0xfffd
	v_sub_co_ci_u32_e64 v35, null, s50, v60, vcc_lo
	v_mov_b32_e32 v36, 0
	v_add3_u32 v31, v1, v31, v29
	v_mov_b32_e32 v37, 0
	s_delay_alu instid0(VALU_DEP_4)
	v_cmp_lt_i64_e32 vcc_lo, 0, v[34:35]
	v_cmp_lt_i64_e64 s4, 16, v[34:35]
	v_mov_b32_e32 v34, 0
	v_mov_b32_e32 v35, 0
	v_add3_u32 v33, v43, v33, v42
	s_mov_b64 s[42:43], 0
	s_branch .LBB47_10
.LBB47_9:                               ;   in Loop: Header=BB47_10 Depth=3
	s_wait_alu 0xfffe
	s_or_b32 exec_lo, exec_lo, s5
	s_wait_dscnt 0x0
	s_barrier_signal -1
	s_barrier_wait -1
	global_inv scope:SCOPE_SE
	ds_load_b128 v[42:45], v51
	ds_load_2addr_b64 v[61:64], v50 offset1:16
	ds_load_b128 v[65:68], v51 offset:4096
	ds_load_b128 v[69:72], v51 offset:16
	;; [unrolled: 1-line block ×3, first 2 shown]
	s_add_nc_u64 s[42:43], s[42:43], 32
	s_add_nc_u64 s[28:29], s[28:29], 0x100
	s_wait_alu 0xfffe
	s_sub_co_i32 s5, s42, 32
	s_wait_alu 0xfffe
	s_cmp_ge_i32 s5, s46
	s_wait_dscnt 0x3
	v_fma_f64 v[40:41], v[61:62], v[42:43], v[40:41]
	v_fma_f64 v[38:39], v[63:64], v[42:43], v[38:39]
	s_wait_dscnt 0x2
	v_fma_f64 v[42:43], v[61:62], v[65:66], v[36:37]
	v_fma_f64 v[46:47], v[63:64], v[65:66], v[34:35]
	ds_load_2addr_b64 v[34:37], v50 offset0:32 offset1:48
	s_wait_dscnt 0x0
	v_fma_f64 v[40:41], v[34:35], v[44:45], v[40:41]
	v_fma_f64 v[38:39], v[36:37], v[44:45], v[38:39]
	v_fma_f64 v[42:43], v[34:35], v[67:68], v[42:43]
	v_fma_f64 v[44:45], v[36:37], v[67:68], v[46:47]
	ds_load_2addr_b64 v[34:37], v50 offset0:64 offset1:80
	s_wait_dscnt 0x0
	v_fma_f64 v[40:41], v[34:35], v[69:70], v[40:41]
	v_fma_f64 v[38:39], v[36:37], v[69:70], v[38:39]
	v_fma_f64 v[42:43], v[34:35], v[73:74], v[42:43]
	v_fma_f64 v[44:45], v[36:37], v[73:74], v[44:45]
	ds_load_2addr_b64 v[34:37], v50 offset0:96 offset1:112
	s_wait_dscnt 0x0
	v_fma_f64 v[46:47], v[34:35], v[71:72], v[40:41]
	v_fma_f64 v[69:70], v[36:37], v[71:72], v[38:39]
	v_fma_f64 v[71:72], v[34:35], v[75:76], v[42:43]
	v_fma_f64 v[73:74], v[36:37], v[75:76], v[44:45]
	ds_load_b128 v[34:37], v51 offset:32
	ds_load_2addr_b64 v[38:41], v50 offset0:128 offset1:144
	ds_load_b128 v[42:45], v51 offset:4128
	ds_load_b128 v[61:64], v51 offset:48
	ds_load_b128 v[65:68], v51 offset:4144
	s_wait_dscnt 0x3
	v_fma_f64 v[46:47], v[38:39], v[34:35], v[46:47]
	v_fma_f64 v[34:35], v[40:41], v[34:35], v[69:70]
	s_wait_dscnt 0x2
	v_fma_f64 v[69:70], v[38:39], v[42:43], v[71:72]
	v_fma_f64 v[42:43], v[40:41], v[42:43], v[73:74]
	ds_load_2addr_b64 v[38:41], v50 offset0:160 offset1:176
	s_wait_dscnt 0x0
	v_fma_f64 v[46:47], v[38:39], v[36:37], v[46:47]
	v_fma_f64 v[71:72], v[40:41], v[36:37], v[34:35]
	v_fma_f64 v[38:39], v[38:39], v[44:45], v[69:70]
	v_fma_f64 v[40:41], v[40:41], v[44:45], v[42:43]
	ds_load_2addr_b64 v[34:37], v50 offset0:192 offset1:208
	s_wait_dscnt 0x0
	v_fma_f64 v[42:43], v[34:35], v[61:62], v[46:47]
	v_fma_f64 v[44:45], v[36:37], v[61:62], v[71:72]
	v_fma_f64 v[38:39], v[34:35], v[65:66], v[38:39]
	v_fma_f64 v[40:41], v[36:37], v[65:66], v[40:41]
	ds_load_2addr_b64 v[34:37], v50 offset0:224 offset1:240
	s_wait_dscnt 0x0
	v_fma_f64 v[46:47], v[34:35], v[63:64], v[42:43]
	v_fma_f64 v[69:70], v[36:37], v[63:64], v[44:45]
	v_fma_f64 v[71:72], v[34:35], v[67:68], v[38:39]
	v_fma_f64 v[73:74], v[36:37], v[67:68], v[40:41]
	ds_load_b128 v[34:37], v51 offset:64
	ds_load_2addr_b64 v[38:41], v56 offset1:16
	ds_load_b128 v[42:45], v51 offset:4160
	ds_load_b128 v[61:64], v51 offset:80
	ds_load_b128 v[65:68], v51 offset:4176
	s_wait_dscnt 0x3
	v_fma_f64 v[46:47], v[38:39], v[34:35], v[46:47]
	v_fma_f64 v[34:35], v[40:41], v[34:35], v[69:70]
	s_wait_dscnt 0x2
	v_fma_f64 v[69:70], v[38:39], v[42:43], v[71:72]
	v_fma_f64 v[42:43], v[40:41], v[42:43], v[73:74]
	ds_load_2addr_b64 v[38:41], v56 offset0:32 offset1:48
	s_wait_dscnt 0x0
	v_fma_f64 v[46:47], v[38:39], v[36:37], v[46:47]
	v_fma_f64 v[71:72], v[40:41], v[36:37], v[34:35]
	v_fma_f64 v[38:39], v[38:39], v[44:45], v[69:70]
	v_fma_f64 v[40:41], v[40:41], v[44:45], v[42:43]
	ds_load_2addr_b64 v[34:37], v56 offset0:64 offset1:80
	s_wait_dscnt 0x0
	v_fma_f64 v[42:43], v[34:35], v[61:62], v[46:47]
	v_fma_f64 v[44:45], v[36:37], v[61:62], v[71:72]
	v_fma_f64 v[38:39], v[34:35], v[65:66], v[38:39]
	v_fma_f64 v[40:41], v[36:37], v[65:66], v[40:41]
	ds_load_2addr_b64 v[34:37], v56 offset0:96 offset1:112
	s_wait_dscnt 0x0
	v_fma_f64 v[46:47], v[34:35], v[63:64], v[42:43]
	v_fma_f64 v[69:70], v[36:37], v[63:64], v[44:45]
	v_fma_f64 v[71:72], v[34:35], v[67:68], v[38:39]
	v_fma_f64 v[73:74], v[36:37], v[67:68], v[40:41]
	ds_load_b128 v[34:37], v51 offset:96
	ds_load_2addr_b64 v[38:41], v56 offset0:128 offset1:144
	ds_load_b128 v[42:45], v51 offset:4192
	ds_load_b128 v[61:64], v51 offset:112
	ds_load_b128 v[65:68], v51 offset:4208
	s_wait_dscnt 0x3
	v_fma_f64 v[46:47], v[38:39], v[34:35], v[46:47]
	v_fma_f64 v[34:35], v[40:41], v[34:35], v[69:70]
	s_wait_dscnt 0x2
	v_fma_f64 v[69:70], v[38:39], v[42:43], v[71:72]
	v_fma_f64 v[42:43], v[40:41], v[42:43], v[73:74]
	ds_load_2addr_b64 v[38:41], v56 offset0:160 offset1:176
	s_wait_dscnt 0x0
	v_fma_f64 v[46:47], v[38:39], v[36:37], v[46:47]
	v_fma_f64 v[71:72], v[40:41], v[36:37], v[34:35]
	v_fma_f64 v[38:39], v[38:39], v[44:45], v[69:70]
	v_fma_f64 v[40:41], v[40:41], v[44:45], v[42:43]
	ds_load_2addr_b64 v[34:37], v56 offset0:192 offset1:208
	s_wait_dscnt 0x0
	v_fma_f64 v[42:43], v[34:35], v[61:62], v[46:47]
	v_fma_f64 v[44:45], v[36:37], v[61:62], v[71:72]
	v_fma_f64 v[38:39], v[34:35], v[65:66], v[38:39]
	v_fma_f64 v[40:41], v[36:37], v[65:66], v[40:41]
	ds_load_2addr_b64 v[34:37], v56 offset0:224 offset1:240
	s_wait_dscnt 0x0
	v_fma_f64 v[46:47], v[34:35], v[63:64], v[42:43]
	v_fma_f64 v[69:70], v[36:37], v[63:64], v[44:45]
	v_fma_f64 v[71:72], v[34:35], v[67:68], v[38:39]
	v_fma_f64 v[73:74], v[36:37], v[67:68], v[40:41]
	ds_load_b128 v[34:37], v51 offset:128
	ds_load_2addr_b64 v[38:41], v57 offset1:16
	ds_load_b128 v[42:45], v51 offset:4224
	ds_load_b128 v[61:64], v51 offset:144
	ds_load_b128 v[65:68], v51 offset:4240
	;; [unrolled: 58-line block ×3, first 2 shown]
	s_wait_dscnt 0x3
	v_fma_f64 v[46:47], v[38:39], v[34:35], v[46:47]
	v_fma_f64 v[34:35], v[40:41], v[34:35], v[69:70]
	s_wait_dscnt 0x2
	v_fma_f64 v[69:70], v[38:39], v[42:43], v[71:72]
	v_fma_f64 v[42:43], v[40:41], v[42:43], v[73:74]
	ds_load_2addr_b64 v[38:41], v58 offset0:32 offset1:48
	s_wait_dscnt 0x0
	v_fma_f64 v[46:47], v[38:39], v[36:37], v[46:47]
	v_fma_f64 v[71:72], v[40:41], v[36:37], v[34:35]
	v_fma_f64 v[38:39], v[38:39], v[44:45], v[69:70]
	v_fma_f64 v[40:41], v[40:41], v[44:45], v[42:43]
	ds_load_2addr_b64 v[34:37], v58 offset0:64 offset1:80
	s_wait_dscnt 0x0
	v_fma_f64 v[42:43], v[34:35], v[61:62], v[46:47]
	v_fma_f64 v[44:45], v[36:37], v[61:62], v[71:72]
	;; [unrolled: 6-line block ×3, first 2 shown]
	v_fma_f64 v[71:72], v[34:35], v[67:68], v[38:39]
	v_fma_f64 v[73:74], v[36:37], v[67:68], v[40:41]
	ds_load_b128 v[34:37], v51 offset:224
	ds_load_2addr_b64 v[38:41], v58 offset0:128 offset1:144
	ds_load_b128 v[42:45], v51 offset:4320
	ds_load_b128 v[61:64], v51 offset:240
	;; [unrolled: 1-line block ×3, first 2 shown]
	s_wait_dscnt 0x3
	v_fma_f64 v[46:47], v[38:39], v[34:35], v[46:47]
	v_fma_f64 v[34:35], v[40:41], v[34:35], v[69:70]
	s_wait_dscnt 0x2
	v_fma_f64 v[69:70], v[38:39], v[42:43], v[71:72]
	v_fma_f64 v[42:43], v[40:41], v[42:43], v[73:74]
	ds_load_2addr_b64 v[38:41], v58 offset0:160 offset1:176
	s_wait_dscnt 0x0
	v_fma_f64 v[46:47], v[38:39], v[36:37], v[46:47]
	v_fma_f64 v[71:72], v[40:41], v[36:37], v[34:35]
	;; [unrolled: 1-line block ×4, first 2 shown]
	ds_load_2addr_b64 v[34:37], v58 offset0:192 offset1:208
	ds_load_2addr_b64 v[42:45], v58 offset0:224 offset1:240
	s_wait_loadcnt_dscnt 0x0
	s_barrier_signal -1
	s_barrier_wait -1
	global_inv scope:SCOPE_SE
	v_fma_f64 v[46:47], v[34:35], v[61:62], v[46:47]
	v_fma_f64 v[61:62], v[36:37], v[61:62], v[71:72]
	v_fma_f64 v[34:35], v[34:35], v[65:66], v[38:39]
	v_fma_f64 v[65:66], v[36:37], v[65:66], v[40:41]
	s_delay_alu instid0(VALU_DEP_4) | instskip(NEXT) | instid1(VALU_DEP_4)
	v_fma_f64 v[40:41], v[42:43], v[63:64], v[46:47]
	v_fma_f64 v[38:39], v[44:45], v[63:64], v[61:62]
	s_delay_alu instid0(VALU_DEP_4) | instskip(NEXT) | instid1(VALU_DEP_4)
	v_fma_f64 v[36:37], v[42:43], v[67:68], v[34:35]
	v_fma_f64 v[34:35], v[44:45], v[67:68], v[65:66]
	s_cbranch_scc1 .LBB47_46
.LBB47_10:                              ;   Parent Loop BB47_4 Depth=1
                                        ;     Parent Loop BB47_7 Depth=2
                                        ; =>    This Inner Loop Header: Depth=3
	s_wait_alu 0xfffe
	v_add_co_u32 v44, s5, v48, s42
	s_wait_alu 0xf1ff
	v_add_co_ci_u32_e64 v45, null, 0, s43, s5
	v_cmp_eq_u64_e64 s7, s[42:43], v[6:7]
                                        ; implicit-def: $vgpr46_vgpr47
	s_delay_alu instid0(VALU_DEP_2)
	v_cmp_le_i64_e64 s6, s[40:41], v[44:45]
	v_cmp_gt_i64_e64 s5, v[44:45], v[2:3]
	s_and_b32 s53, s49, s7
	v_add_co_u32 v42, s7, v26, s28
	s_wait_alu 0xf1ff
	v_add_co_ci_u32_e64 v43, null, s29, v27, s7
	s_or_b32 s8, s6, s5
	s_wait_alu 0xfffe
	s_or_b32 s7, s8, s53
	s_wait_alu 0xfffe
	s_nor_b32 s7, s0, s7
	s_wait_alu 0xfffe
	s_and_saveexec_b32 s8, s7
	s_wait_alu 0xfffe
	s_xor_b32 s7, exec_lo, s8
	s_cbranch_execz .LBB47_12
; %bb.11:                               ;   in Loop: Header=BB47_10 Depth=3
	global_load_b64 v[46:47], v[42:43], off
.LBB47_12:                              ;   in Loop: Header=BB47_10 Depth=3
	s_wait_alu 0xfffe
	s_and_not1_saveexec_b32 s7, s7
	s_cbranch_execz .LBB47_14
; %bb.13:                               ;   in Loop: Header=BB47_10 Depth=3
	v_cndmask_b32_e64 v1, 0, 0x3ff00000, s53
	s_wait_loadcnt 0x0
	s_delay_alu instid0(VALU_DEP_1)
	v_dual_mov_b32 v47, v1 :: v_dual_mov_b32 v46, v0
.LBB47_14:                              ;   in Loop: Header=BB47_10 Depth=3
	s_wait_alu 0xfffe
	s_or_b32 exec_lo, exec_lo, s7
	v_cmp_eq_u64_e64 s7, s[42:43], v[8:9]
	v_cmp_lt_i64_e64 s8, v[4:5], v[44:45]
	s_wait_loadcnt 0x0
	ds_store_b64 v52, v[46:47]
	s_and_b32 s7, s49, s7
	s_or_b32 s6, s6, s8
	s_wait_alu 0xfffe
	s_or_b32 s6, s6, s7
	s_wait_alu 0xfffe
	s_nor_b32 s6, s3, s6
	s_wait_alu 0xfffe
	s_and_saveexec_b32 s8, s6
	s_wait_alu 0xfffe
	s_xor_b32 s8, exec_lo, s8
	s_cbranch_execz .LBB47_16
; %bb.15:                               ;   in Loop: Header=BB47_10 Depth=3
	v_add_co_u32 v46, s6, v24, s28
	s_wait_alu 0xf1ff
	v_add_co_ci_u32_e64 v47, null, s29, v25, s6
	global_load_b64 v[46:47], v[46:47], off
	s_wait_loadcnt 0x0
	ds_store_b64 v52, v[46:47] offset:128
.LBB47_16:                              ;   in Loop: Header=BB47_10 Depth=3
	s_wait_alu 0xfffe
	s_and_not1_saveexec_b32 s6, s8
	s_cbranch_execz .LBB47_22
; %bb.17:                               ;   in Loop: Header=BB47_10 Depth=3
	s_xor_b32 s7, s7, -1
	s_wait_alu 0xfffe
	s_and_saveexec_b32 s8, s7
	s_wait_alu 0xfffe
	s_xor_b32 s7, exec_lo, s8
; %bb.18:                               ;   in Loop: Header=BB47_10 Depth=3
	v_mov_b32_e32 v1, v0
	ds_store_b64 v52, v[0:1] offset:128
; %bb.19:                               ;   in Loop: Header=BB47_10 Depth=3
	s_wait_alu 0xfffe
	s_and_not1_saveexec_b32 s7, s7
; %bb.20:                               ;   in Loop: Header=BB47_10 Depth=3
	v_mov_b32_e32 v1, v55
	ds_store_b64 v52, v[0:1] offset:128
; %bb.21:                               ;   in Loop: Header=BB47_10 Depth=3
	s_wait_alu 0xfffe
	s_or_b32 exec_lo, exec_lo, s7
.LBB47_22:                              ;   in Loop: Header=BB47_10 Depth=3
	s_wait_alu 0xfffe
	s_or_b32 exec_lo, exec_lo, s6
	v_add_co_u32 v44, s6, v44, 16
	s_wait_alu 0xf1ff
	v_add_co_ci_u32_e64 v45, null, 0, v45, s6
	v_cmp_eq_u64_e64 s7, s[42:43], v[12:13]
	s_delay_alu instid0(VALU_DEP_2)
	v_cmp_le_i64_e64 s6, s[40:41], v[44:45]
	v_cmp_gt_i64_e64 s8, v[44:45], v[2:3]
                                        ; implicit-def: $vgpr44_vgpr45
	s_and_b32 s7, s49, s7
	s_or_b32 s8, s6, s8
	s_wait_alu 0xfffe
	s_or_b32 s8, s8, s7
	s_wait_alu 0xfffe
	s_nor_b32 s8, s0, s8
	s_wait_alu 0xfffe
	s_and_saveexec_b32 s54, s8
	s_delay_alu instid0(SALU_CYCLE_1)
	s_xor_b32 s8, exec_lo, s54
	s_cbranch_execz .LBB47_24
; %bb.23:                               ;   in Loop: Header=BB47_10 Depth=3
	global_load_b64 v[44:45], v[42:43], off offset:128
.LBB47_24:                              ;   in Loop: Header=BB47_10 Depth=3
	s_wait_alu 0xfffe
	s_and_not1_saveexec_b32 s8, s8
	s_cbranch_execz .LBB47_26
; %bb.25:                               ;   in Loop: Header=BB47_10 Depth=3
	v_cndmask_b32_e64 v1, 0, 0x3ff00000, s7
	s_wait_loadcnt 0x0
	s_delay_alu instid0(VALU_DEP_1)
	v_dual_mov_b32 v45, v1 :: v_dual_mov_b32 v44, v0
.LBB47_26:                              ;   in Loop: Header=BB47_10 Depth=3
	s_wait_alu 0xfffe
	s_or_b32 exec_lo, exec_lo, s8
	s_or_b32 s5, s6, s5
	s_wait_loadcnt 0x0
	ds_store_b64 v52, v[44:45] offset:4096
	s_wait_alu 0xfffe
	s_or_b32 s5, s5, s53
	s_wait_alu 0xfffe
	s_nor_b32 s5, s3, s5
	s_wait_alu 0xfffe
	s_and_saveexec_b32 s6, s5
	s_wait_alu 0xfffe
	s_xor_b32 s6, exec_lo, s6
	s_cbranch_execz .LBB47_28
; %bb.27:                               ;   in Loop: Header=BB47_10 Depth=3
	v_add_co_u32 v42, s5, v24, s28
	s_wait_alu 0xf1ff
	v_add_co_ci_u32_e64 v43, null, s29, v25, s5
	global_load_b64 v[42:43], v[42:43], off offset:128
	s_wait_loadcnt 0x0
	ds_store_b64 v52, v[42:43] offset:4224
.LBB47_28:                              ;   in Loop: Header=BB47_10 Depth=3
	s_wait_alu 0xfffe
	s_and_not1_saveexec_b32 s5, s6
	s_cbranch_execz .LBB47_34
; %bb.29:                               ;   in Loop: Header=BB47_10 Depth=3
	s_xor_b32 s6, s53, -1
	s_wait_alu 0xfffe
	s_and_saveexec_b32 s7, s6
	s_wait_alu 0xfffe
	s_xor_b32 s6, exec_lo, s7
; %bb.30:                               ;   in Loop: Header=BB47_10 Depth=3
	v_mov_b32_e32 v1, v0
	ds_store_b64 v52, v[0:1] offset:4224
; %bb.31:                               ;   in Loop: Header=BB47_10 Depth=3
	s_wait_alu 0xfffe
	s_and_not1_saveexec_b32 s6, s6
; %bb.32:                               ;   in Loop: Header=BB47_10 Depth=3
	v_mov_b32_e32 v1, v55
	ds_store_b64 v52, v[0:1] offset:4224
; %bb.33:                               ;   in Loop: Header=BB47_10 Depth=3
	s_wait_alu 0xfffe
	s_or_b32 exec_lo, exec_lo, s6
.LBB47_34:                              ;   in Loop: Header=BB47_10 Depth=3
	s_wait_alu 0xfffe
	s_or_b32 exec_lo, exec_lo, s5
	v_add_co_u32 v44, s5, v49, s42
	s_wait_alu 0xf1ff
	v_add_co_ci_u32_e64 v45, null, 0, s43, s5
	v_add_co_u32 v42, s6, v30, s28
	v_mov_b32_e32 v46, 0
	s_delay_alu instid0(VALU_DEP_3)
	v_cmp_gt_i64_e64 s5, s[40:41], v[44:45]
	v_mov_b32_e32 v47, 0
	s_wait_alu 0xf1ff
	v_add_co_ci_u32_e64 v43, null, s29, v31, s6
	s_and_b32 s7, vcc_lo, s5
	s_wait_alu 0xfffe
	s_and_saveexec_b32 s6, s7
	s_cbranch_execz .LBB47_36
; %bb.35:                               ;   in Loop: Header=BB47_10 Depth=3
	global_load_b64 v[46:47], v[42:43], off offset:-128
.LBB47_36:                              ;   in Loop: Header=BB47_10 Depth=3
	s_wait_alu 0xfffe
	s_or_b32 exec_lo, exec_lo, s6
	v_cmp_gt_i64_e64 s6, s[22:23], v[44:45]
	s_wait_loadcnt 0x0
	ds_store_b64 v53, v[46:47]
	s_and_b32 s7, vcc_lo, s6
	s_wait_alu 0xfffe
	s_xor_b32 s7, s7, -1
	s_wait_alu 0xfffe
	s_and_saveexec_b32 s8, s7
	s_wait_alu 0xfffe
	s_xor_b32 s7, exec_lo, s8
; %bb.37:                               ;   in Loop: Header=BB47_10 Depth=3
	v_mov_b32_e32 v1, v0
                                        ; implicit-def: $vgpr42_vgpr43
	ds_store_b64 v53, v[0:1] offset:128
; %bb.38:                               ;   in Loop: Header=BB47_10 Depth=3
	s_wait_alu 0xfffe
	s_and_not1_saveexec_b32 s7, s7
	s_cbranch_execz .LBB47_40
; %bb.39:                               ;   in Loop: Header=BB47_10 Depth=3
	global_load_b64 v[42:43], v[42:43], off
	s_wait_loadcnt 0x0
	ds_store_b64 v53, v[42:43] offset:128
.LBB47_40:                              ;   in Loop: Header=BB47_10 Depth=3
	s_wait_alu 0xfffe
	s_or_b32 exec_lo, exec_lo, s7
	v_add_co_u32 v42, s7, v32, s28
	v_mov_b32_e32 v44, 0
	v_mov_b32_e32 v45, 0
	s_wait_alu 0xf1ff
	v_add_co_ci_u32_e64 v43, null, s29, v33, s7
	s_and_b32 s7, s4, s5
	s_wait_alu 0xfffe
	s_and_saveexec_b32 s5, s7
	s_cbranch_execz .LBB47_42
; %bb.41:                               ;   in Loop: Header=BB47_10 Depth=3
	global_load_b64 v[44:45], v[42:43], off offset:-128
.LBB47_42:                              ;   in Loop: Header=BB47_10 Depth=3
	s_wait_alu 0xfffe
	s_or_b32 exec_lo, exec_lo, s5
	s_and_b32 s5, s4, s6
	s_wait_loadcnt 0x0
	ds_store_b64 v53, v[44:45] offset:4096
	s_wait_alu 0xfffe
	s_xor_b32 s5, s5, -1
	s_wait_alu 0xfffe
	s_and_saveexec_b32 s6, s5
	s_wait_alu 0xfffe
	s_xor_b32 s5, exec_lo, s6
; %bb.43:                               ;   in Loop: Header=BB47_10 Depth=3
	v_mov_b32_e32 v1, v0
                                        ; implicit-def: $vgpr42_vgpr43
	ds_store_b64 v53, v[0:1] offset:4224
; %bb.44:                               ;   in Loop: Header=BB47_10 Depth=3
	s_wait_alu 0xfffe
	s_and_not1_saveexec_b32 s5, s5
	s_cbranch_execz .LBB47_9
; %bb.45:                               ;   in Loop: Header=BB47_10 Depth=3
	global_load_b64 v[42:43], v[42:43], off
	s_wait_loadcnt 0x0
	ds_store_b64 v53, v[42:43] offset:4224
	s_branch .LBB47_9
.LBB47_46:                              ;   in Loop: Header=BB47_7 Depth=2
	v_mul_lo_u32 v1, s25, v59
	v_mul_lo_u32 v31, s24, v60
	v_mad_co_u64_u32 v[29:30], null, s24, v59, 0
	v_cmp_gt_i32_e32 vcc_lo, s30, v59
	s_delay_alu instid0(VALU_DEP_2) | instskip(NEXT) | instid1(VALU_DEP_1)
	v_add3_u32 v30, v30, v31, v1
	v_lshlrev_b64_e32 v[29:30], 3, v[29:30]
	s_delay_alu instid0(VALU_DEP_1) | instskip(SKIP_1) | instid1(VALU_DEP_2)
	v_add_co_u32 v1, s4, s18, v29
	s_wait_alu 0xf1ff
	v_add_co_ci_u32_e64 v29, null, s19, v30, s4
	s_and_b32 s4, s1, vcc_lo
	s_wait_alu 0xfffe
	s_and_saveexec_b32 s5, s4
	s_cbranch_execz .LBB47_48
; %bb.47:                               ;   in Loop: Header=BB47_7 Depth=2
	v_add_co_u32 v30, s4, v1, v10
	s_wait_alu 0xf1ff
	v_add_co_ci_u32_e64 v31, null, v29, v11, s4
	global_load_b64 v[32:33], v[30:31], off
	s_wait_loadcnt 0x0
	v_fma_f64 v[32:33], s[36:37], v[40:41], v[32:33]
	global_store_b64 v[30:31], v[32:33], off
.LBB47_48:                              ;   in Loop: Header=BB47_7 Depth=2
	s_wait_alu 0xfffe
	s_or_b32 exec_lo, exec_lo, s5
	s_and_b32 s5, s2, vcc_lo
	s_wait_alu 0xfffe
	s_and_saveexec_b32 s4, s5
	s_cbranch_execz .LBB47_50
; %bb.49:                               ;   in Loop: Header=BB47_7 Depth=2
	v_add_co_u32 v30, vcc_lo, v1, v20
	s_wait_alu 0xfffd
	v_add_co_ci_u32_e64 v31, null, v29, v21, vcc_lo
	global_load_b64 v[32:33], v[30:31], off
	s_wait_loadcnt 0x0
	v_fma_f64 v[32:33], s[36:37], v[38:39], v[32:33]
	global_store_b64 v[30:31], v[32:33], off
.LBB47_50:                              ;   in Loop: Header=BB47_7 Depth=2
	s_wait_alu 0xfffe
	s_or_b32 exec_lo, exec_lo, s4
	v_add_nc_u32_e32 v1, 16, v59
	s_delay_alu instid0(VALU_DEP_1) | instskip(SKIP_3) | instid1(VALU_DEP_4)
	v_ashrrev_i32_e32 v31, 31, v1
	v_mul_lo_u32 v32, s25, v1
	v_mad_co_u64_u32 v[29:30], null, s24, v1, 0
	v_cmp_gt_i32_e32 vcc_lo, s30, v1
	v_mul_lo_u32 v31, s24, v31
	s_delay_alu instid0(VALU_DEP_1) | instskip(NEXT) | instid1(VALU_DEP_1)
	v_add3_u32 v30, v30, v31, v32
	v_lshlrev_b64_e32 v[29:30], 3, v[29:30]
	s_delay_alu instid0(VALU_DEP_1) | instskip(SKIP_1) | instid1(VALU_DEP_2)
	v_add_co_u32 v1, s4, s18, v29
	s_wait_alu 0xf1ff
	v_add_co_ci_u32_e64 v29, null, s19, v30, s4
	s_and_b32 s4, s1, vcc_lo
	s_wait_alu 0xfffe
	s_and_saveexec_b32 s5, s4
	s_cbranch_execz .LBB47_52
; %bb.51:                               ;   in Loop: Header=BB47_7 Depth=2
	v_add_co_u32 v30, s4, v1, v10
	s_wait_alu 0xf1ff
	v_add_co_ci_u32_e64 v31, null, v29, v11, s4
	global_load_b64 v[32:33], v[30:31], off
	s_wait_loadcnt 0x0
	v_fma_f64 v[32:33], s[36:37], v[36:37], v[32:33]
	global_store_b64 v[30:31], v[32:33], off
.LBB47_52:                              ;   in Loop: Header=BB47_7 Depth=2
	s_wait_alu 0xfffe
	s_or_b32 exec_lo, exec_lo, s5
	s_and_b32 s5, s2, vcc_lo
	s_wait_alu 0xfffe
	s_and_saveexec_b32 s4, s5
	s_cbranch_execz .LBB47_6
; %bb.53:                               ;   in Loop: Header=BB47_7 Depth=2
	v_add_co_u32 v30, vcc_lo, v1, v20
	s_wait_alu 0xfffd
	v_add_co_ci_u32_e64 v31, null, v29, v21, vcc_lo
	global_load_b64 v[32:33], v[30:31], off
	s_wait_loadcnt 0x0
	v_fma_f64 v[32:33], s[36:37], v[34:35], v[32:33]
	global_store_b64 v[30:31], v[32:33], off
	s_branch .LBB47_6
.LBB47_54:
	s_endpgm
	.section	.rodata,"a",@progbits
	.p2align	6, 0x0
	.amdhsa_kernel _ZL30rocblas_trmm_outofplace_kernelIdLi32ELi2ELb1ELb1ELb1ELb1EdKddEv17rocblas_diagonal_iiT6_lPT7_lllS4_lllPT8_llli
		.amdhsa_group_segment_fixed_size 16384
		.amdhsa_private_segment_fixed_size 0
		.amdhsa_kernarg_size 392
		.amdhsa_user_sgpr_count 2
		.amdhsa_user_sgpr_dispatch_ptr 0
		.amdhsa_user_sgpr_queue_ptr 0
		.amdhsa_user_sgpr_kernarg_segment_ptr 1
		.amdhsa_user_sgpr_dispatch_id 0
		.amdhsa_user_sgpr_private_segment_size 0
		.amdhsa_wavefront_size32 1
		.amdhsa_uses_dynamic_stack 0
		.amdhsa_enable_private_segment 0
		.amdhsa_system_sgpr_workgroup_id_x 1
		.amdhsa_system_sgpr_workgroup_id_y 1
		.amdhsa_system_sgpr_workgroup_id_z 1
		.amdhsa_system_sgpr_workgroup_info 0
		.amdhsa_system_vgpr_workitem_id 1
		.amdhsa_next_free_vgpr 77
		.amdhsa_next_free_sgpr 55
		.amdhsa_reserve_vcc 1
		.amdhsa_float_round_mode_32 0
		.amdhsa_float_round_mode_16_64 0
		.amdhsa_float_denorm_mode_32 3
		.amdhsa_float_denorm_mode_16_64 3
		.amdhsa_fp16_overflow 0
		.amdhsa_workgroup_processor_mode 1
		.amdhsa_memory_ordered 1
		.amdhsa_forward_progress 1
		.amdhsa_inst_pref_size 35
		.amdhsa_round_robin_scheduling 0
		.amdhsa_exception_fp_ieee_invalid_op 0
		.amdhsa_exception_fp_denorm_src 0
		.amdhsa_exception_fp_ieee_div_zero 0
		.amdhsa_exception_fp_ieee_overflow 0
		.amdhsa_exception_fp_ieee_underflow 0
		.amdhsa_exception_fp_ieee_inexact 0
		.amdhsa_exception_int_div_zero 0
	.end_amdhsa_kernel
	.section	.text._ZL30rocblas_trmm_outofplace_kernelIdLi32ELi2ELb1ELb1ELb1ELb1EdKddEv17rocblas_diagonal_iiT6_lPT7_lllS4_lllPT8_llli,"axG",@progbits,_ZL30rocblas_trmm_outofplace_kernelIdLi32ELi2ELb1ELb1ELb1ELb1EdKddEv17rocblas_diagonal_iiT6_lPT7_lllS4_lllPT8_llli,comdat
.Lfunc_end47:
	.size	_ZL30rocblas_trmm_outofplace_kernelIdLi32ELi2ELb1ELb1ELb1ELb1EdKddEv17rocblas_diagonal_iiT6_lPT7_lllS4_lllPT8_llli, .Lfunc_end47-_ZL30rocblas_trmm_outofplace_kernelIdLi32ELi2ELb1ELb1ELb1ELb1EdKddEv17rocblas_diagonal_iiT6_lPT7_lllS4_lllPT8_llli
                                        ; -- End function
	.set _ZL30rocblas_trmm_outofplace_kernelIdLi32ELi2ELb1ELb1ELb1ELb1EdKddEv17rocblas_diagonal_iiT6_lPT7_lllS4_lllPT8_llli.num_vgpr, 77
	.set _ZL30rocblas_trmm_outofplace_kernelIdLi32ELi2ELb1ELb1ELb1ELb1EdKddEv17rocblas_diagonal_iiT6_lPT7_lllS4_lllPT8_llli.num_agpr, 0
	.set _ZL30rocblas_trmm_outofplace_kernelIdLi32ELi2ELb1ELb1ELb1ELb1EdKddEv17rocblas_diagonal_iiT6_lPT7_lllS4_lllPT8_llli.numbered_sgpr, 55
	.set _ZL30rocblas_trmm_outofplace_kernelIdLi32ELi2ELb1ELb1ELb1ELb1EdKddEv17rocblas_diagonal_iiT6_lPT7_lllS4_lllPT8_llli.num_named_barrier, 0
	.set _ZL30rocblas_trmm_outofplace_kernelIdLi32ELi2ELb1ELb1ELb1ELb1EdKddEv17rocblas_diagonal_iiT6_lPT7_lllS4_lllPT8_llli.private_seg_size, 0
	.set _ZL30rocblas_trmm_outofplace_kernelIdLi32ELi2ELb1ELb1ELb1ELb1EdKddEv17rocblas_diagonal_iiT6_lPT7_lllS4_lllPT8_llli.uses_vcc, 1
	.set _ZL30rocblas_trmm_outofplace_kernelIdLi32ELi2ELb1ELb1ELb1ELb1EdKddEv17rocblas_diagonal_iiT6_lPT7_lllS4_lllPT8_llli.uses_flat_scratch, 0
	.set _ZL30rocblas_trmm_outofplace_kernelIdLi32ELi2ELb1ELb1ELb1ELb1EdKddEv17rocblas_diagonal_iiT6_lPT7_lllS4_lllPT8_llli.has_dyn_sized_stack, 0
	.set _ZL30rocblas_trmm_outofplace_kernelIdLi32ELi2ELb1ELb1ELb1ELb1EdKddEv17rocblas_diagonal_iiT6_lPT7_lllS4_lllPT8_llli.has_recursion, 0
	.set _ZL30rocblas_trmm_outofplace_kernelIdLi32ELi2ELb1ELb1ELb1ELb1EdKddEv17rocblas_diagonal_iiT6_lPT7_lllS4_lllPT8_llli.has_indirect_call, 0
	.section	.AMDGPU.csdata,"",@progbits
; Kernel info:
; codeLenInByte = 4404
; TotalNumSgprs: 57
; NumVgprs: 77
; ScratchSize: 0
; MemoryBound: 0
; FloatMode: 240
; IeeeMode: 1
; LDSByteSize: 16384 bytes/workgroup (compile time only)
; SGPRBlocks: 0
; VGPRBlocks: 9
; NumSGPRsForWavesPerEU: 57
; NumVGPRsForWavesPerEU: 77
; Occupancy: 16
; WaveLimiterHint : 0
; COMPUTE_PGM_RSRC2:SCRATCH_EN: 0
; COMPUTE_PGM_RSRC2:USER_SGPR: 2
; COMPUTE_PGM_RSRC2:TRAP_HANDLER: 0
; COMPUTE_PGM_RSRC2:TGID_X_EN: 1
; COMPUTE_PGM_RSRC2:TGID_Y_EN: 1
; COMPUTE_PGM_RSRC2:TGID_Z_EN: 1
; COMPUTE_PGM_RSRC2:TIDIG_COMP_CNT: 1
	.section	.text._ZL30rocblas_trmm_outofplace_kernelIdLi32ELi2ELb0ELb0ELb0ELb0EPKdS0_dEv17rocblas_diagonal_iiT6_lPT7_lllS5_lllPT8_llli,"axG",@progbits,_ZL30rocblas_trmm_outofplace_kernelIdLi32ELi2ELb0ELb0ELb0ELb0EPKdS0_dEv17rocblas_diagonal_iiT6_lPT7_lllS5_lllPT8_llli,comdat
	.globl	_ZL30rocblas_trmm_outofplace_kernelIdLi32ELi2ELb0ELb0ELb0ELb0EPKdS0_dEv17rocblas_diagonal_iiT6_lPT7_lllS5_lllPT8_llli ; -- Begin function _ZL30rocblas_trmm_outofplace_kernelIdLi32ELi2ELb0ELb0ELb0ELb0EPKdS0_dEv17rocblas_diagonal_iiT6_lPT7_lllS5_lllPT8_llli
	.p2align	8
	.type	_ZL30rocblas_trmm_outofplace_kernelIdLi32ELi2ELb0ELb0ELb0ELb0EPKdS0_dEv17rocblas_diagonal_iiT6_lPT7_lllS5_lllPT8_llli,@function
_ZL30rocblas_trmm_outofplace_kernelIdLi32ELi2ELb0ELb0ELb0ELb0EPKdS0_dEv17rocblas_diagonal_iiT6_lPT7_lllS5_lllPT8_llli: ; @_ZL30rocblas_trmm_outofplace_kernelIdLi32ELi2ELb0ELb0ELb0ELb0EPKdS0_dEv17rocblas_diagonal_iiT6_lPT7_lllS5_lllPT8_llli
; %bb.0:
	s_load_b32 s11, s[0:1], 0x80
	s_lshr_b32 s34, ttmp7, 16
	s_wait_kmcnt 0x0
	s_cmp_ge_u32 s34, s11
	s_cbranch_scc1 .LBB48_56
; %bb.1:
	s_clause 0x3
	s_load_b96 s[8:10], s[0:1], 0x0
	s_load_b256 s[36:43], s[0:1], 0x50
	s_load_b512 s[12:27], s[0:1], 0x10
	s_load_b128 s[28:31], s[0:1], 0x70
	s_add_nc_u64 s[44:45], s[0:1], 0x88
	v_and_b32_e32 v6, 0x3ff, v0
	s_and_b32 s33, ttmp7, 0xffff
	v_bfe_u32 v52, v0, 10, 10
	s_mov_b32 s35, 0
	v_mov_b32_e32 v59, 0x3ff00000
	v_lshl_add_u32 v2, ttmp9, 5, v6
	v_lshlrev_b32_e32 v1, 3, v6
	v_lshlrev_b32_e32 v53, 8, v52
	s_delay_alu instid0(VALU_DEP_3)
	v_ashrrev_i32_e32 v3, 31, v2
	v_add_nc_u32_e32 v0, 16, v2
	s_wait_kmcnt 0x0
	s_add_co_i32 s0, s10, -1
	s_lshl_b64 s[2:3], s[42:43], 3
	s_wait_alu 0xfffe
	s_ashr_i32 s1, s0, 31
	s_add_nc_u64 s[40:41], s[40:41], s[2:3]
	s_wait_alu 0xfffe
	s_lshr_b32 s1, s1, 27
	v_sub_co_u32 v4, vcc_lo, s9, v2
	s_wait_alu 0xfffe
	s_add_co_i32 s0, s0, s1
	v_cmp_gt_i32_e64 s1, s9, v0
	s_wait_alu 0xfffe
	s_ashr_i32 s54, s0, 5
	v_cmp_gt_i32_e64 s0, s9, v2
	s_cmp_le_i32 s33, s54
	s_mov_b32 s42, s10
	s_cselect_b32 s55, -1, 0
	s_cmp_eq_u32 s8, 0x84
	s_cselect_b32 s56, -1, 0
	s_ashr_i32 s2, s9, 31
	s_lshl_b32 s4, s33, 5
	v_sub_co_ci_u32_e64 v5, null, s2, v3, vcc_lo
	v_lshlrev_b64_e32 v[2:3], 3, v[2:3]
	v_add_nc_u32_e32 v57, s4, v6
	v_add_nc_u32_e32 v58, s4, v52
	s_lshl_b64 s[4:5], s[26:27], 3
	v_mov_b32_e32 v6, 0
	v_or_b32_e32 v54, 0x2000, v1
	s_wait_alu 0xfffe
	s_add_nc_u64 s[4:5], s[24:25], s[4:5]
	v_cmp_gt_i64_e64 s2, 1, v[4:5]
	v_cmp_gt_i64_e64 s3, 17, v[4:5]
	s_wait_alu 0xfffe
	v_add_co_u32 v4, vcc_lo, s4, v2
	v_add_nc_u32_e32 v55, v53, v1
	v_add_nc_u32_e32 v56, v54, v53
	v_ashrrev_i32_e32 v1, 31, v0
	s_wait_alu 0xfffd
	v_add_co_ci_u32_e64 v5, null, s5, v3, vcc_lo
	v_add_nc_u32_e32 v60, 0x800, v54
	v_add_nc_u32_e32 v61, 0x1000, v54
	;; [unrolled: 1-line block ×3, first 2 shown]
	s_ashr_i32 s43, s10, 31
	s_lshl_b64 s[4:5], s[18:19], 3
	s_lshl_b64 s[46:47], s[36:37], 8
	s_add_nc_u64 s[48:49], s[42:43], -16
	s_lshl_b64 s[26:27], s[36:37], 3
	s_lshl_b64 s[18:19], s[38:39], 3
	s_wait_alu 0xfffe
	s_add_nc_u64 s[16:17], s[16:17], s[4:5]
	s_lshl_b64 s[22:23], s[22:23], 3
	s_lshl_b64 s[24:25], s[20:21], 3
	s_branch .LBB48_4
.LBB48_2:                               ;   in Loop: Header=BB48_4 Depth=1
	s_add_co_i32 s34, s34, 0x10000
	s_wait_alu 0xfffe
	s_cmp_ge_u32 s34, s11
	s_cselect_b32 s4, -1, 0
.LBB48_3:                               ;   in Loop: Header=BB48_4 Depth=1
	s_wait_alu 0xfffe
	s_and_b32 vcc_lo, exec_lo, s4
	s_wait_alu 0xfffe
	s_cbranch_vccnz .LBB48_56
.LBB48_4:                               ; =>This Loop Header: Depth=1
                                        ;     Child Loop BB48_8 Depth 2
                                        ;       Child Loop BB48_11 Depth 3
	s_mul_u64 s[4:5], s[14:15], s[34:35]
	s_wait_alu 0xfffe
	s_lshl_b64 s[4:5], s[4:5], 3
	s_wait_alu 0xfffe
	s_add_nc_u64 s[4:5], s[12:13], s[4:5]
	global_load_b64 v[8:9], v6, s[4:5]
	s_mov_b32 s4, -1
	s_wait_loadcnt 0x0
	v_cmp_eq_f64_e32 vcc_lo, 0, v[8:9]
	s_cbranch_vccnz .LBB48_3
; %bb.5:                                ;   in Loop: Header=BB48_4 Depth=1
	s_and_not1_b32 vcc_lo, exec_lo, s55
	s_wait_alu 0xfffe
	s_cbranch_vccnz .LBB48_2
; %bb.6:                                ;   in Loop: Header=BB48_4 Depth=1
	s_load_b32 s57, s[44:45], 0x4
	v_mad_co_u64_u32 v[10:11], null, s18, s34, v[4:5]
	s_mul_u64 s[4:5], s[30:31], s[34:35]
	v_mov_b32_e32 v14, v57
	s_mul_u64 s[6:7], s[22:23], s[34:35]
	s_wait_alu 0xfffe
	s_lshl_b64 s[4:5], s[4:5], 3
	s_add_nc_u64 s[50:51], s[16:17], s[6:7]
	s_wait_alu 0xfffe
	s_add_nc_u64 s[38:39], s[40:41], s[4:5]
	v_mov_b32_e32 v7, v11
	s_mov_b32 s59, s33
	s_delay_alu instid0(VALU_DEP_1)
	v_mad_co_u64_u32 v[11:12], null, s19, s34, v[7:8]
	v_mov_b32_e32 v12, v58
	s_wait_kmcnt 0x0
	s_lshl_b32 s58, s57, 5
	s_branch .LBB48_8
.LBB48_7:                               ;   in Loop: Header=BB48_8 Depth=2
	s_wait_alu 0xfffe
	s_or_b32 exec_lo, exec_lo, s4
	v_add_nc_u32_e32 v14, s58, v14
	v_add_nc_u32_e32 v12, s58, v12
	s_add_co_i32 s59, s57, s59
	s_wait_alu 0xfffe
	s_cmp_gt_i32 s59, s54
	s_cbranch_scc1 .LBB48_2
.LBB48_8:                               ;   Parent Loop BB48_4 Depth=1
                                        ; =>  This Loop Header: Depth=2
                                        ;       Child Loop BB48_11 Depth 3
	s_wait_alu 0xfffe
	s_lshl_b32 s4, s59, 5
	v_ashrrev_i32_e32 v15, 31, v14
	s_wait_alu 0xfffe
	v_add_nc_u32_e32 v16, s4, v52
	v_ashrrev_i32_e32 v13, 31, v12
	s_sub_co_i32 s60, s10, s4
	s_wait_alu 0xfffe
	s_cmp_lt_i32 s60, 1
	v_ashrrev_i32_e32 v17, 31, v16
	s_cbranch_scc1 .LBB48_47
; %bb.9:                                ;   in Loop: Header=BB48_8 Depth=2
	v_lshlrev_b64_e32 v[20:21], 3, v[12:13]
	v_mad_co_u64_u32 v[18:19], null, s26, v12, 0x80
	v_mul_lo_u32 v7, s26, v13
	v_mul_lo_u32 v22, s27, v12
	v_mad_co_u64_u32 v[26:27], null, s24, v12, s[50:51]
	v_add_co_u32 v24, vcc_lo, 0x80, v20
	s_wait_alu 0xfffd
	v_add_co_ci_u32_e64 v25, null, 0, v21, vcc_lo
	v_sub_co_u32 v20, vcc_lo, v12, v14
	v_add3_u32 v19, v22, v19, v7
	s_delay_alu instid0(VALU_DEP_3)
	v_mul_lo_u32 v7, s20, v25
	v_mul_lo_u32 v32, s21, v24
	v_mad_co_u64_u32 v[22:23], null, s20, v24, s[50:51]
	v_mul_lo_u32 v33, s36, v25
	v_mul_lo_u32 v34, s37, v24
	v_mad_co_u64_u32 v[24:25], null, s36, v24, 0x80
	s_wait_alu 0xfffd
	v_sub_co_ci_u32_e64 v21, null, v13, v15, vcc_lo
	v_mul_lo_u32 v35, s24, v13
	v_mul_lo_u32 v36, s25, v12
	v_add_co_u32 v30, vcc_lo, v16, 16
	s_wait_alu 0xfffd
	v_add_co_ci_u32_e64 v31, null, 0, v17, vcc_lo
	v_add3_u32 v23, v32, v23, v7
	v_add_co_u32 v32, s5, v20, 16
	v_add3_u32 v25, v34, v25, v33
	s_wait_alu 0xf1ff
	v_add_co_ci_u32_e64 v33, null, 0, v21, s5
	v_add_co_u32 v34, s5, v20, -16
	v_mov_b32_e32 v38, 0
	v_mov_b32_e32 v42, 0
	v_lshlrev_b64_e32 v[28:29], 3, v[14:15]
	v_cmp_le_i64_e64 s4, s[42:43], v[30:31]
	v_dual_mov_b32 v39, 0 :: v_dual_mov_b32 v40, 0
	v_dual_mov_b32 v43, 0 :: v_dual_mov_b32 v44, 0
	v_add3_u32 v27, v36, v27, v35
	s_wait_alu 0xf1ff
	v_add_co_ci_u32_e64 v35, null, -1, v21, s5
	v_mov_b32_e32 v41, 0
	v_mov_b32_e32 v45, 0
	v_dual_mov_b32 v37, v11 :: v_dual_mov_b32 v36, v10
	s_mov_b64 s[52:53], 0
	v_cmp_le_i32_e32 vcc_lo, s10, v16
	s_branch .LBB48_11
.LBB48_10:                              ;   in Loop: Header=BB48_11 Depth=3
	s_wait_alu 0xfffe
	s_or_b32 exec_lo, exec_lo, s5
	s_wait_dscnt 0x0
	s_barrier_signal -1
	s_barrier_wait -1
	global_inv scope:SCOPE_SE
	ds_load_b128 v[46:49], v53
	ds_load_2addr_b64 v[63:66], v54 offset1:16
	ds_load_b128 v[67:70], v53 offset:4096
	ds_load_b128 v[71:74], v53 offset:16
	;; [unrolled: 1-line block ×3, first 2 shown]
	v_add_co_u32 v36, s5, v36, s46
	s_wait_alu 0xf1ff
	v_add_co_ci_u32_e64 v37, null, s47, v37, s5
	v_add_co_u32 v22, s5, 0x100, v22
	s_wait_alu 0xf1ff
	v_add_co_ci_u32_e64 v23, null, 0, v23, s5
	;; [unrolled: 3-line block ×3, first 2 shown]
	s_add_nc_u64 s[52:53], s[52:53], 32
	s_wait_alu 0xfffe
	s_cmp_ge_i32 s52, s60
	s_wait_dscnt 0x3
	v_fma_f64 v[44:45], v[63:64], v[46:47], v[44:45]
	v_fma_f64 v[42:43], v[65:66], v[46:47], v[42:43]
	s_wait_dscnt 0x2
	v_fma_f64 v[46:47], v[63:64], v[67:68], v[40:41]
	v_fma_f64 v[50:51], v[65:66], v[67:68], v[38:39]
	ds_load_2addr_b64 v[38:41], v54 offset0:32 offset1:48
	s_wait_dscnt 0x0
	v_fma_f64 v[44:45], v[38:39], v[48:49], v[44:45]
	v_fma_f64 v[42:43], v[40:41], v[48:49], v[42:43]
	v_fma_f64 v[46:47], v[38:39], v[69:70], v[46:47]
	v_fma_f64 v[48:49], v[40:41], v[69:70], v[50:51]
	ds_load_2addr_b64 v[38:41], v54 offset0:64 offset1:80
	s_wait_dscnt 0x0
	v_fma_f64 v[44:45], v[38:39], v[71:72], v[44:45]
	v_fma_f64 v[42:43], v[40:41], v[71:72], v[42:43]
	v_fma_f64 v[46:47], v[38:39], v[75:76], v[46:47]
	v_fma_f64 v[48:49], v[40:41], v[75:76], v[48:49]
	ds_load_2addr_b64 v[38:41], v54 offset0:96 offset1:112
	s_wait_dscnt 0x0
	v_fma_f64 v[50:51], v[38:39], v[73:74], v[44:45]
	v_fma_f64 v[71:72], v[40:41], v[73:74], v[42:43]
	v_fma_f64 v[73:74], v[38:39], v[77:78], v[46:47]
	v_fma_f64 v[75:76], v[40:41], v[77:78], v[48:49]
	ds_load_b128 v[38:41], v53 offset:32
	ds_load_2addr_b64 v[42:45], v54 offset0:128 offset1:144
	ds_load_b128 v[46:49], v53 offset:4128
	ds_load_b128 v[63:66], v53 offset:48
	ds_load_b128 v[67:70], v53 offset:4144
	s_wait_dscnt 0x3
	v_fma_f64 v[50:51], v[42:43], v[38:39], v[50:51]
	v_fma_f64 v[38:39], v[44:45], v[38:39], v[71:72]
	s_wait_dscnt 0x2
	v_fma_f64 v[71:72], v[42:43], v[46:47], v[73:74]
	v_fma_f64 v[46:47], v[44:45], v[46:47], v[75:76]
	ds_load_2addr_b64 v[42:45], v54 offset0:160 offset1:176
	s_wait_dscnt 0x0
	v_fma_f64 v[50:51], v[42:43], v[40:41], v[50:51]
	v_fma_f64 v[73:74], v[44:45], v[40:41], v[38:39]
	v_fma_f64 v[42:43], v[42:43], v[48:49], v[71:72]
	v_fma_f64 v[44:45], v[44:45], v[48:49], v[46:47]
	ds_load_2addr_b64 v[38:41], v54 offset0:192 offset1:208
	s_wait_dscnt 0x0
	v_fma_f64 v[46:47], v[38:39], v[63:64], v[50:51]
	v_fma_f64 v[48:49], v[40:41], v[63:64], v[73:74]
	v_fma_f64 v[42:43], v[38:39], v[67:68], v[42:43]
	v_fma_f64 v[44:45], v[40:41], v[67:68], v[44:45]
	ds_load_2addr_b64 v[38:41], v54 offset0:224 offset1:240
	s_wait_dscnt 0x0
	v_fma_f64 v[50:51], v[38:39], v[65:66], v[46:47]
	v_fma_f64 v[71:72], v[40:41], v[65:66], v[48:49]
	v_fma_f64 v[73:74], v[38:39], v[69:70], v[42:43]
	v_fma_f64 v[75:76], v[40:41], v[69:70], v[44:45]
	ds_load_b128 v[38:41], v53 offset:64
	ds_load_2addr_b64 v[42:45], v60 offset1:16
	ds_load_b128 v[46:49], v53 offset:4160
	ds_load_b128 v[63:66], v53 offset:80
	ds_load_b128 v[67:70], v53 offset:4176
	s_wait_dscnt 0x3
	v_fma_f64 v[50:51], v[42:43], v[38:39], v[50:51]
	v_fma_f64 v[38:39], v[44:45], v[38:39], v[71:72]
	s_wait_dscnt 0x2
	v_fma_f64 v[71:72], v[42:43], v[46:47], v[73:74]
	v_fma_f64 v[46:47], v[44:45], v[46:47], v[75:76]
	ds_load_2addr_b64 v[42:45], v60 offset0:32 offset1:48
	s_wait_dscnt 0x0
	v_fma_f64 v[50:51], v[42:43], v[40:41], v[50:51]
	v_fma_f64 v[73:74], v[44:45], v[40:41], v[38:39]
	v_fma_f64 v[42:43], v[42:43], v[48:49], v[71:72]
	v_fma_f64 v[44:45], v[44:45], v[48:49], v[46:47]
	ds_load_2addr_b64 v[38:41], v60 offset0:64 offset1:80
	s_wait_dscnt 0x0
	v_fma_f64 v[46:47], v[38:39], v[63:64], v[50:51]
	v_fma_f64 v[48:49], v[40:41], v[63:64], v[73:74]
	v_fma_f64 v[42:43], v[38:39], v[67:68], v[42:43]
	v_fma_f64 v[44:45], v[40:41], v[67:68], v[44:45]
	ds_load_2addr_b64 v[38:41], v60 offset0:96 offset1:112
	s_wait_dscnt 0x0
	v_fma_f64 v[50:51], v[38:39], v[65:66], v[46:47]
	v_fma_f64 v[71:72], v[40:41], v[65:66], v[48:49]
	v_fma_f64 v[73:74], v[38:39], v[69:70], v[42:43]
	v_fma_f64 v[75:76], v[40:41], v[69:70], v[44:45]
	ds_load_b128 v[38:41], v53 offset:96
	ds_load_2addr_b64 v[42:45], v60 offset0:128 offset1:144
	ds_load_b128 v[46:49], v53 offset:4192
	ds_load_b128 v[63:66], v53 offset:112
	ds_load_b128 v[67:70], v53 offset:4208
	s_wait_dscnt 0x3
	v_fma_f64 v[50:51], v[42:43], v[38:39], v[50:51]
	v_fma_f64 v[38:39], v[44:45], v[38:39], v[71:72]
	s_wait_dscnt 0x2
	v_fma_f64 v[71:72], v[42:43], v[46:47], v[73:74]
	v_fma_f64 v[46:47], v[44:45], v[46:47], v[75:76]
	ds_load_2addr_b64 v[42:45], v60 offset0:160 offset1:176
	s_wait_dscnt 0x0
	v_fma_f64 v[50:51], v[42:43], v[40:41], v[50:51]
	v_fma_f64 v[73:74], v[44:45], v[40:41], v[38:39]
	v_fma_f64 v[42:43], v[42:43], v[48:49], v[71:72]
	v_fma_f64 v[44:45], v[44:45], v[48:49], v[46:47]
	ds_load_2addr_b64 v[38:41], v60 offset0:192 offset1:208
	s_wait_dscnt 0x0
	v_fma_f64 v[46:47], v[38:39], v[63:64], v[50:51]
	v_fma_f64 v[48:49], v[40:41], v[63:64], v[73:74]
	v_fma_f64 v[42:43], v[38:39], v[67:68], v[42:43]
	v_fma_f64 v[44:45], v[40:41], v[67:68], v[44:45]
	ds_load_2addr_b64 v[38:41], v60 offset0:224 offset1:240
	s_wait_dscnt 0x0
	v_fma_f64 v[50:51], v[38:39], v[65:66], v[46:47]
	v_fma_f64 v[71:72], v[40:41], v[65:66], v[48:49]
	v_fma_f64 v[73:74], v[38:39], v[69:70], v[42:43]
	v_fma_f64 v[75:76], v[40:41], v[69:70], v[44:45]
	ds_load_b128 v[38:41], v53 offset:128
	ds_load_2addr_b64 v[42:45], v61 offset1:16
	ds_load_b128 v[46:49], v53 offset:4224
	ds_load_b128 v[63:66], v53 offset:144
	ds_load_b128 v[67:70], v53 offset:4240
	;; [unrolled: 58-line block ×3, first 2 shown]
	s_wait_dscnt 0x3
	v_fma_f64 v[50:51], v[42:43], v[38:39], v[50:51]
	v_fma_f64 v[38:39], v[44:45], v[38:39], v[71:72]
	s_wait_dscnt 0x2
	v_fma_f64 v[71:72], v[42:43], v[46:47], v[73:74]
	v_fma_f64 v[46:47], v[44:45], v[46:47], v[75:76]
	ds_load_2addr_b64 v[42:45], v62 offset0:32 offset1:48
	s_wait_dscnt 0x0
	v_fma_f64 v[50:51], v[42:43], v[40:41], v[50:51]
	v_fma_f64 v[73:74], v[44:45], v[40:41], v[38:39]
	v_fma_f64 v[42:43], v[42:43], v[48:49], v[71:72]
	v_fma_f64 v[44:45], v[44:45], v[48:49], v[46:47]
	ds_load_2addr_b64 v[38:41], v62 offset0:64 offset1:80
	s_wait_dscnt 0x0
	v_fma_f64 v[46:47], v[38:39], v[63:64], v[50:51]
	v_fma_f64 v[48:49], v[40:41], v[63:64], v[73:74]
	v_fma_f64 v[42:43], v[38:39], v[67:68], v[42:43]
	v_fma_f64 v[44:45], v[40:41], v[67:68], v[44:45]
	ds_load_2addr_b64 v[38:41], v62 offset0:96 offset1:112
	s_wait_dscnt 0x0
	v_fma_f64 v[50:51], v[38:39], v[65:66], v[46:47]
	v_fma_f64 v[71:72], v[40:41], v[65:66], v[48:49]
	v_fma_f64 v[73:74], v[38:39], v[69:70], v[42:43]
	v_fma_f64 v[75:76], v[40:41], v[69:70], v[44:45]
	ds_load_b128 v[38:41], v53 offset:224
	ds_load_2addr_b64 v[42:45], v62 offset0:128 offset1:144
	ds_load_b128 v[46:49], v53 offset:4320
	ds_load_b128 v[63:66], v53 offset:240
	;; [unrolled: 1-line block ×3, first 2 shown]
	s_wait_dscnt 0x3
	v_fma_f64 v[50:51], v[42:43], v[38:39], v[50:51]
	v_fma_f64 v[38:39], v[44:45], v[38:39], v[71:72]
	s_wait_dscnt 0x2
	v_fma_f64 v[71:72], v[42:43], v[46:47], v[73:74]
	v_fma_f64 v[46:47], v[44:45], v[46:47], v[75:76]
	ds_load_2addr_b64 v[42:45], v62 offset0:160 offset1:176
	s_wait_dscnt 0x0
	v_fma_f64 v[50:51], v[42:43], v[40:41], v[50:51]
	v_fma_f64 v[73:74], v[44:45], v[40:41], v[38:39]
	;; [unrolled: 1-line block ×4, first 2 shown]
	ds_load_2addr_b64 v[38:41], v62 offset0:192 offset1:208
	ds_load_2addr_b64 v[46:49], v62 offset0:224 offset1:240
	s_wait_loadcnt_dscnt 0x0
	s_barrier_signal -1
	s_barrier_wait -1
	global_inv scope:SCOPE_SE
	v_fma_f64 v[50:51], v[38:39], v[63:64], v[50:51]
	v_fma_f64 v[63:64], v[40:41], v[63:64], v[73:74]
	;; [unrolled: 1-line block ×4, first 2 shown]
	s_delay_alu instid0(VALU_DEP_4) | instskip(NEXT) | instid1(VALU_DEP_4)
	v_fma_f64 v[44:45], v[46:47], v[65:66], v[50:51]
	v_fma_f64 v[42:43], v[48:49], v[65:66], v[63:64]
	s_delay_alu instid0(VALU_DEP_4) | instskip(NEXT) | instid1(VALU_DEP_4)
	v_fma_f64 v[40:41], v[46:47], v[69:70], v[38:39]
	v_fma_f64 v[38:39], v[48:49], v[69:70], v[67:68]
	s_cbranch_scc1 .LBB48_48
.LBB48_11:                              ;   Parent Loop BB48_4 Depth=1
                                        ;     Parent Loop BB48_8 Depth=2
                                        ; =>    This Inner Loop Header: Depth=3
	s_wait_alu 0xfffe
	v_add_co_u32 v46, s5, v14, s52
	s_wait_alu 0xf1ff
	v_add_co_ci_u32_e64 v47, null, s53, v15, s5
	v_cmp_eq_u64_e64 s7, s[52:53], v[20:21]
	v_add_co_u32 v48, s8, v26, v28
	s_delay_alu instid0(VALU_DEP_3)
	v_cmp_lt_i64_e64 s5, v[46:47], v[16:17]
	v_cmp_le_i64_e64 s6, s[42:43], v[46:47]
	s_wait_alu 0xf1ff
	v_add_co_ci_u32_e64 v49, null, v27, v29, s8
	s_and_b32 s61, s56, s7
                                        ; implicit-def: $vgpr50_vgpr51
	s_or_b32 s8, vcc_lo, s5
	s_wait_alu 0xfffe
	s_or_b32 s7, s6, s8
	s_wait_alu 0xfffe
	s_nor_b32 s7, s7, s61
	s_wait_alu 0xfffe
	s_and_saveexec_b32 s8, s7
	s_wait_alu 0xfffe
	s_xor_b32 s7, exec_lo, s8
	s_cbranch_execz .LBB48_13
; %bb.12:                               ;   in Loop: Header=BB48_11 Depth=3
	global_load_b64 v[50:51], v[48:49], off
.LBB48_13:                              ;   in Loop: Header=BB48_11 Depth=3
	s_wait_alu 0xfffe
	s_and_not1_saveexec_b32 s7, s7
	s_cbranch_execz .LBB48_15
; %bb.14:                               ;   in Loop: Header=BB48_11 Depth=3
	v_cndmask_b32_e64 v7, 0, 0x3ff00000, s61
	s_wait_loadcnt 0x0
	s_delay_alu instid0(VALU_DEP_1)
	v_dual_mov_b32 v51, v7 :: v_dual_mov_b32 v50, v6
.LBB48_15:                              ;   in Loop: Header=BB48_11 Depth=3
	s_wait_alu 0xfffe
	s_or_b32 exec_lo, exec_lo, s7
	v_add_co_u32 v63, s7, v46, 16
	s_wait_alu 0xf1ff
	v_add_co_ci_u32_e64 v64, null, 0, v47, s7
	v_cmp_eq_u64_e64 s9, s[52:53], v[34:35]
	s_wait_loadcnt 0x0
	ds_store_b64 v55, v[50:51]
	v_cmp_lt_i64_e64 s8, v[63:64], v[16:17]
	v_cmp_le_i64_e64 s7, s[42:43], v[63:64]
	s_and_b32 s9, s56, s9
	s_or_b32 s8, vcc_lo, s8
	s_wait_alu 0xfffe
	s_or_b32 s8, s7, s8
	s_wait_alu 0xfffe
	s_nor_b32 s8, s8, s9
	s_wait_alu 0xfffe
	s_and_saveexec_b32 s62, s8
	s_wait_alu 0xfffe
	s_xor_b32 s8, exec_lo, s62
	s_cbranch_execz .LBB48_17
; %bb.16:                               ;   in Loop: Header=BB48_11 Depth=3
	global_load_b64 v[48:49], v[48:49], off offset:128
	s_wait_loadcnt 0x0
	ds_store_b64 v55, v[48:49] offset:128
.LBB48_17:                              ;   in Loop: Header=BB48_11 Depth=3
	s_wait_alu 0xfffe
	s_and_not1_saveexec_b32 s8, s8
	s_cbranch_execz .LBB48_23
; %bb.18:                               ;   in Loop: Header=BB48_11 Depth=3
	s_xor_b32 s9, s9, -1
	s_wait_alu 0xfffe
	s_and_saveexec_b32 s62, s9
	s_wait_alu 0xfffe
	s_xor_b32 s9, exec_lo, s62
; %bb.19:                               ;   in Loop: Header=BB48_11 Depth=3
	v_mov_b32_e32 v7, v6
	ds_store_b64 v55, v[6:7] offset:128
; %bb.20:                               ;   in Loop: Header=BB48_11 Depth=3
	s_wait_alu 0xfffe
	s_and_not1_saveexec_b32 s9, s9
; %bb.21:                               ;   in Loop: Header=BB48_11 Depth=3
	v_mov_b32_e32 v7, v59
	ds_store_b64 v55, v[6:7] offset:128
; %bb.22:                               ;   in Loop: Header=BB48_11 Depth=3
	s_wait_alu 0xfffe
	s_or_b32 exec_lo, exec_lo, s9
.LBB48_23:                              ;   in Loop: Header=BB48_11 Depth=3
	s_wait_alu 0xfffe
	s_or_b32 exec_lo, exec_lo, s8
	v_cmp_eq_u64_e64 s8, s[52:53], v[32:33]
	v_cmp_lt_i64_e64 s9, v[46:47], v[30:31]
                                        ; implicit-def: $vgpr48_vgpr49
	s_and_b32 s62, s56, s8
	v_add_co_u32 v46, s8, v22, v28
	s_or_b32 s9, s4, s9
	v_add_co_ci_u32_e64 v47, null, v23, v29, s8
	s_wait_alu 0xfffe
	s_or_b32 s8, s9, s62
	s_wait_alu 0xfffe
	s_nor_b32 s6, s6, s8
	s_wait_alu 0xfffe
	s_and_saveexec_b32 s8, s6
	s_wait_alu 0xfffe
	s_xor_b32 s6, exec_lo, s8
	s_cbranch_execz .LBB48_25
; %bb.24:                               ;   in Loop: Header=BB48_11 Depth=3
	global_load_b64 v[48:49], v[46:47], off
.LBB48_25:                              ;   in Loop: Header=BB48_11 Depth=3
	s_wait_alu 0xfffe
	s_and_not1_saveexec_b32 s6, s6
	s_cbranch_execz .LBB48_27
; %bb.26:                               ;   in Loop: Header=BB48_11 Depth=3
	v_cndmask_b32_e64 v7, 0, 0x3ff00000, s62
	s_wait_loadcnt 0x0
	s_delay_alu instid0(VALU_DEP_1)
	v_dual_mov_b32 v49, v7 :: v_dual_mov_b32 v48, v6
.LBB48_27:                              ;   in Loop: Header=BB48_11 Depth=3
	s_wait_alu 0xfffe
	s_or_b32 exec_lo, exec_lo, s6
	s_or_b32 s5, s4, s5
	s_wait_loadcnt 0x0
	ds_store_b64 v55, v[48:49] offset:4096
	s_wait_alu 0xfffe
	s_or_b32 s5, s7, s5
	s_wait_alu 0xfffe
	s_nor_b32 s5, s5, s61
	s_wait_alu 0xfffe
	s_and_saveexec_b32 s6, s5
	s_wait_alu 0xfffe
	s_xor_b32 s5, exec_lo, s6
	s_cbranch_execz .LBB48_29
; %bb.28:                               ;   in Loop: Header=BB48_11 Depth=3
	global_load_b64 v[46:47], v[46:47], off offset:128
	s_wait_loadcnt 0x0
	ds_store_b64 v55, v[46:47] offset:4224
.LBB48_29:                              ;   in Loop: Header=BB48_11 Depth=3
	s_wait_alu 0xfffe
	s_and_not1_saveexec_b32 s5, s5
	s_cbranch_execz .LBB48_35
; %bb.30:                               ;   in Loop: Header=BB48_11 Depth=3
	s_xor_b32 s6, s61, -1
	s_wait_alu 0xfffe
	s_and_saveexec_b32 s7, s6
	s_wait_alu 0xfffe
	s_xor_b32 s6, exec_lo, s7
; %bb.31:                               ;   in Loop: Header=BB48_11 Depth=3
	v_mov_b32_e32 v7, v6
	ds_store_b64 v55, v[6:7] offset:4224
; %bb.32:                               ;   in Loop: Header=BB48_11 Depth=3
	s_wait_alu 0xfffe
	s_and_not1_saveexec_b32 s6, s6
; %bb.33:                               ;   in Loop: Header=BB48_11 Depth=3
	v_mov_b32_e32 v7, v59
	ds_store_b64 v55, v[6:7] offset:4224
; %bb.34:                               ;   in Loop: Header=BB48_11 Depth=3
	s_wait_alu 0xfffe
	s_or_b32 exec_lo, exec_lo, s6
.LBB48_35:                              ;   in Loop: Header=BB48_11 Depth=3
	s_wait_alu 0xfffe
	s_or_b32 exec_lo, exec_lo, s5
	v_add_co_u32 v46, s5, v12, s52
	s_wait_alu 0xf1ff
	v_add_co_ci_u32_e64 v47, null, s53, v13, s5
	v_add_co_u32 v48, s6, v36, v18
	v_mov_b32_e32 v50, 0
	s_delay_alu instid0(VALU_DEP_3)
	v_cmp_le_i64_e64 s5, s[42:43], v[46:47]
	v_mov_b32_e32 v51, 0
	s_wait_alu 0xf1ff
	v_add_co_ci_u32_e64 v49, null, v37, v19, s6
	s_nor_b32 s7, s5, s2
	s_wait_alu 0xfffe
	s_and_saveexec_b32 s6, s7
	s_cbranch_execz .LBB48_37
; %bb.36:                               ;   in Loop: Header=BB48_11 Depth=3
	global_load_b64 v[50:51], v[48:49], off offset:-128
.LBB48_37:                              ;   in Loop: Header=BB48_11 Depth=3
	s_wait_alu 0xfffe
	s_or_b32 exec_lo, exec_lo, s6
	s_nor_b32 s5, s5, s3
	s_wait_loadcnt 0x0
	ds_store_b64 v56, v[50:51]
	s_wait_alu 0xfffe
	s_and_saveexec_b32 s6, s5
	s_wait_alu 0xfffe
	s_xor_b32 s5, exec_lo, s6
	s_cbranch_execz .LBB48_39
; %bb.38:                               ;   in Loop: Header=BB48_11 Depth=3
	global_load_b64 v[48:49], v[48:49], off
	s_wait_loadcnt 0x0
	ds_store_b64 v56, v[48:49] offset:128
.LBB48_39:                              ;   in Loop: Header=BB48_11 Depth=3
	s_wait_alu 0xfffe
	s_and_not1_saveexec_b32 s5, s5
; %bb.40:                               ;   in Loop: Header=BB48_11 Depth=3
	v_mov_b32_e32 v7, v6
	ds_store_b64 v56, v[6:7] offset:128
; %bb.41:                               ;   in Loop: Header=BB48_11 Depth=3
	s_wait_alu 0xfffe
	s_or_b32 exec_lo, exec_lo, s5
	v_cmp_le_i64_e64 s5, s[48:49], v[46:47]
	v_add_co_u32 v46, s6, v36, v24
	v_mov_b32_e32 v48, 0
	v_mov_b32_e32 v49, 0
	s_wait_alu 0xf1ff
	v_add_co_ci_u32_e64 v47, null, v37, v25, s6
	s_nor_b32 s7, s5, s2
	s_wait_alu 0xfffe
	s_and_saveexec_b32 s6, s7
	s_cbranch_execz .LBB48_43
; %bb.42:                               ;   in Loop: Header=BB48_11 Depth=3
	global_load_b64 v[48:49], v[46:47], off offset:-128
.LBB48_43:                              ;   in Loop: Header=BB48_11 Depth=3
	s_wait_alu 0xfffe
	s_or_b32 exec_lo, exec_lo, s6
	s_nor_b32 s5, s5, s3
	s_wait_loadcnt 0x0
	ds_store_b64 v56, v[48:49] offset:4096
	s_wait_alu 0xfffe
	s_and_saveexec_b32 s6, s5
	s_wait_alu 0xfffe
	s_xor_b32 s5, exec_lo, s6
	s_cbranch_execz .LBB48_45
; %bb.44:                               ;   in Loop: Header=BB48_11 Depth=3
	global_load_b64 v[46:47], v[46:47], off
	s_wait_loadcnt 0x0
	ds_store_b64 v56, v[46:47] offset:4224
.LBB48_45:                              ;   in Loop: Header=BB48_11 Depth=3
	s_wait_alu 0xfffe
	s_and_not1_saveexec_b32 s5, s5
	s_cbranch_execz .LBB48_10
; %bb.46:                               ;   in Loop: Header=BB48_11 Depth=3
	v_mov_b32_e32 v7, v6
	ds_store_b64 v56, v[6:7] offset:4224
	s_branch .LBB48_10
.LBB48_47:                              ;   in Loop: Header=BB48_8 Depth=2
	v_mov_b32_e32 v44, 0
	v_dual_mov_b32 v40, 0 :: v_dual_mov_b32 v45, 0
	v_dual_mov_b32 v42, 0 :: v_dual_mov_b32 v41, 0
	;; [unrolled: 1-line block ×3, first 2 shown]
	v_mov_b32_e32 v39, 0
.LBB48_48:                              ;   in Loop: Header=BB48_8 Depth=2
	v_mul_lo_u32 v7, s29, v16
	v_mul_lo_u32 v13, s28, v17
	v_mad_co_u64_u32 v[17:18], null, s28, v16, 0
	v_cmp_gt_i32_e32 vcc_lo, s10, v16
	s_delay_alu instid0(VALU_DEP_2) | instskip(NEXT) | instid1(VALU_DEP_1)
	v_add3_u32 v18, v18, v13, v7
	v_lshlrev_b64_e32 v[17:18], 3, v[17:18]
	s_delay_alu instid0(VALU_DEP_1) | instskip(SKIP_1) | instid1(VALU_DEP_2)
	v_add_co_u32 v7, s4, s38, v17
	s_wait_alu 0xf1ff
	v_add_co_ci_u32_e64 v13, null, s39, v18, s4
	s_and_b32 s4, s0, vcc_lo
	s_wait_alu 0xfffe
	s_and_saveexec_b32 s5, s4
	s_cbranch_execz .LBB48_50
; %bb.49:                               ;   in Loop: Header=BB48_8 Depth=2
	v_add_co_u32 v17, s4, v7, v2
	s_wait_alu 0xf1ff
	v_add_co_ci_u32_e64 v18, null, v13, v3, s4
	global_load_b64 v[19:20], v[17:18], off
	s_wait_loadcnt 0x0
	v_fma_f64 v[19:20], v[8:9], v[44:45], v[19:20]
	global_store_b64 v[17:18], v[19:20], off
.LBB48_50:                              ;   in Loop: Header=BB48_8 Depth=2
	s_wait_alu 0xfffe
	s_or_b32 exec_lo, exec_lo, s5
	s_and_b32 s5, s1, vcc_lo
	s_wait_alu 0xfffe
	s_and_saveexec_b32 s4, s5
	s_cbranch_execz .LBB48_52
; %bb.51:                               ;   in Loop: Header=BB48_8 Depth=2
	v_lshlrev_b64_e32 v[17:18], 3, v[0:1]
	s_delay_alu instid0(VALU_DEP_1) | instskip(SKIP_1) | instid1(VALU_DEP_2)
	v_add_co_u32 v17, vcc_lo, v7, v17
	s_wait_alu 0xfffd
	v_add_co_ci_u32_e64 v18, null, v13, v18, vcc_lo
	global_load_b64 v[19:20], v[17:18], off
	s_wait_loadcnt 0x0
	v_fma_f64 v[19:20], v[8:9], v[42:43], v[19:20]
	global_store_b64 v[17:18], v[19:20], off
.LBB48_52:                              ;   in Loop: Header=BB48_8 Depth=2
	s_wait_alu 0xfffe
	s_or_b32 exec_lo, exec_lo, s4
	v_add_nc_u32_e32 v7, 16, v16
	s_delay_alu instid0(VALU_DEP_1) | instskip(SKIP_3) | instid1(VALU_DEP_4)
	v_ashrrev_i32_e32 v13, 31, v7
	v_mul_lo_u32 v17, s29, v7
	v_mad_co_u64_u32 v[15:16], null, s28, v7, 0
	v_cmp_gt_i32_e32 vcc_lo, s10, v7
	v_mul_lo_u32 v13, s28, v13
	s_delay_alu instid0(VALU_DEP_1) | instskip(NEXT) | instid1(VALU_DEP_1)
	v_add3_u32 v16, v16, v13, v17
	v_lshlrev_b64_e32 v[15:16], 3, v[15:16]
	s_delay_alu instid0(VALU_DEP_1) | instskip(SKIP_1) | instid1(VALU_DEP_2)
	v_add_co_u32 v7, s4, s38, v15
	s_wait_alu 0xf1ff
	v_add_co_ci_u32_e64 v13, null, s39, v16, s4
	s_and_b32 s4, s0, vcc_lo
	s_wait_alu 0xfffe
	s_and_saveexec_b32 s5, s4
	s_cbranch_execz .LBB48_54
; %bb.53:                               ;   in Loop: Header=BB48_8 Depth=2
	v_add_co_u32 v15, s4, v7, v2
	s_wait_alu 0xf1ff
	v_add_co_ci_u32_e64 v16, null, v13, v3, s4
	global_load_b64 v[17:18], v[15:16], off
	s_wait_loadcnt 0x0
	v_fma_f64 v[17:18], v[8:9], v[40:41], v[17:18]
	global_store_b64 v[15:16], v[17:18], off
.LBB48_54:                              ;   in Loop: Header=BB48_8 Depth=2
	s_wait_alu 0xfffe
	s_or_b32 exec_lo, exec_lo, s5
	s_and_b32 s5, s1, vcc_lo
	s_wait_alu 0xfffe
	s_and_saveexec_b32 s4, s5
	s_cbranch_execz .LBB48_7
; %bb.55:                               ;   in Loop: Header=BB48_8 Depth=2
	v_lshlrev_b64_e32 v[15:16], 3, v[0:1]
	s_delay_alu instid0(VALU_DEP_1) | instskip(SKIP_1) | instid1(VALU_DEP_2)
	v_add_co_u32 v15, vcc_lo, v7, v15
	s_wait_alu 0xfffd
	v_add_co_ci_u32_e64 v16, null, v13, v16, vcc_lo
	global_load_b64 v[17:18], v[15:16], off
	s_wait_loadcnt 0x0
	v_fma_f64 v[17:18], v[8:9], v[38:39], v[17:18]
	global_store_b64 v[15:16], v[17:18], off
	s_branch .LBB48_7
.LBB48_56:
	s_endpgm
	.section	.rodata,"a",@progbits
	.p2align	6, 0x0
	.amdhsa_kernel _ZL30rocblas_trmm_outofplace_kernelIdLi32ELi2ELb0ELb0ELb0ELb0EPKdS0_dEv17rocblas_diagonal_iiT6_lPT7_lllS5_lllPT8_llli
		.amdhsa_group_segment_fixed_size 16384
		.amdhsa_private_segment_fixed_size 0
		.amdhsa_kernarg_size 392
		.amdhsa_user_sgpr_count 2
		.amdhsa_user_sgpr_dispatch_ptr 0
		.amdhsa_user_sgpr_queue_ptr 0
		.amdhsa_user_sgpr_kernarg_segment_ptr 1
		.amdhsa_user_sgpr_dispatch_id 0
		.amdhsa_user_sgpr_private_segment_size 0
		.amdhsa_wavefront_size32 1
		.amdhsa_uses_dynamic_stack 0
		.amdhsa_enable_private_segment 0
		.amdhsa_system_sgpr_workgroup_id_x 1
		.amdhsa_system_sgpr_workgroup_id_y 1
		.amdhsa_system_sgpr_workgroup_id_z 1
		.amdhsa_system_sgpr_workgroup_info 0
		.amdhsa_system_vgpr_workitem_id 1
		.amdhsa_next_free_vgpr 79
		.amdhsa_next_free_sgpr 63
		.amdhsa_reserve_vcc 1
		.amdhsa_float_round_mode_32 0
		.amdhsa_float_round_mode_16_64 0
		.amdhsa_float_denorm_mode_32 3
		.amdhsa_float_denorm_mode_16_64 3
		.amdhsa_fp16_overflow 0
		.amdhsa_workgroup_processor_mode 1
		.amdhsa_memory_ordered 1
		.amdhsa_forward_progress 1
		.amdhsa_inst_pref_size 34
		.amdhsa_round_robin_scheduling 0
		.amdhsa_exception_fp_ieee_invalid_op 0
		.amdhsa_exception_fp_denorm_src 0
		.amdhsa_exception_fp_ieee_div_zero 0
		.amdhsa_exception_fp_ieee_overflow 0
		.amdhsa_exception_fp_ieee_underflow 0
		.amdhsa_exception_fp_ieee_inexact 0
		.amdhsa_exception_int_div_zero 0
	.end_amdhsa_kernel
	.section	.text._ZL30rocblas_trmm_outofplace_kernelIdLi32ELi2ELb0ELb0ELb0ELb0EPKdS0_dEv17rocblas_diagonal_iiT6_lPT7_lllS5_lllPT8_llli,"axG",@progbits,_ZL30rocblas_trmm_outofplace_kernelIdLi32ELi2ELb0ELb0ELb0ELb0EPKdS0_dEv17rocblas_diagonal_iiT6_lPT7_lllS5_lllPT8_llli,comdat
.Lfunc_end48:
	.size	_ZL30rocblas_trmm_outofplace_kernelIdLi32ELi2ELb0ELb0ELb0ELb0EPKdS0_dEv17rocblas_diagonal_iiT6_lPT7_lllS5_lllPT8_llli, .Lfunc_end48-_ZL30rocblas_trmm_outofplace_kernelIdLi32ELi2ELb0ELb0ELb0ELb0EPKdS0_dEv17rocblas_diagonal_iiT6_lPT7_lllS5_lllPT8_llli
                                        ; -- End function
	.set _ZL30rocblas_trmm_outofplace_kernelIdLi32ELi2ELb0ELb0ELb0ELb0EPKdS0_dEv17rocblas_diagonal_iiT6_lPT7_lllS5_lllPT8_llli.num_vgpr, 79
	.set _ZL30rocblas_trmm_outofplace_kernelIdLi32ELi2ELb0ELb0ELb0ELb0EPKdS0_dEv17rocblas_diagonal_iiT6_lPT7_lllS5_lllPT8_llli.num_agpr, 0
	.set _ZL30rocblas_trmm_outofplace_kernelIdLi32ELi2ELb0ELb0ELb0ELb0EPKdS0_dEv17rocblas_diagonal_iiT6_lPT7_lllS5_lllPT8_llli.numbered_sgpr, 63
	.set _ZL30rocblas_trmm_outofplace_kernelIdLi32ELi2ELb0ELb0ELb0ELb0EPKdS0_dEv17rocblas_diagonal_iiT6_lPT7_lllS5_lllPT8_llli.num_named_barrier, 0
	.set _ZL30rocblas_trmm_outofplace_kernelIdLi32ELi2ELb0ELb0ELb0ELb0EPKdS0_dEv17rocblas_diagonal_iiT6_lPT7_lllS5_lllPT8_llli.private_seg_size, 0
	.set _ZL30rocblas_trmm_outofplace_kernelIdLi32ELi2ELb0ELb0ELb0ELb0EPKdS0_dEv17rocblas_diagonal_iiT6_lPT7_lllS5_lllPT8_llli.uses_vcc, 1
	.set _ZL30rocblas_trmm_outofplace_kernelIdLi32ELi2ELb0ELb0ELb0ELb0EPKdS0_dEv17rocblas_diagonal_iiT6_lPT7_lllS5_lllPT8_llli.uses_flat_scratch, 0
	.set _ZL30rocblas_trmm_outofplace_kernelIdLi32ELi2ELb0ELb0ELb0ELb0EPKdS0_dEv17rocblas_diagonal_iiT6_lPT7_lllS5_lllPT8_llli.has_dyn_sized_stack, 0
	.set _ZL30rocblas_trmm_outofplace_kernelIdLi32ELi2ELb0ELb0ELb0ELb0EPKdS0_dEv17rocblas_diagonal_iiT6_lPT7_lllS5_lllPT8_llli.has_recursion, 0
	.set _ZL30rocblas_trmm_outofplace_kernelIdLi32ELi2ELb0ELb0ELb0ELb0EPKdS0_dEv17rocblas_diagonal_iiT6_lPT7_lllS5_lllPT8_llli.has_indirect_call, 0
	.section	.AMDGPU.csdata,"",@progbits
; Kernel info:
; codeLenInByte = 4336
; TotalNumSgprs: 65
; NumVgprs: 79
; ScratchSize: 0
; MemoryBound: 0
; FloatMode: 240
; IeeeMode: 1
; LDSByteSize: 16384 bytes/workgroup (compile time only)
; SGPRBlocks: 0
; VGPRBlocks: 9
; NumSGPRsForWavesPerEU: 65
; NumVGPRsForWavesPerEU: 79
; Occupancy: 16
; WaveLimiterHint : 0
; COMPUTE_PGM_RSRC2:SCRATCH_EN: 0
; COMPUTE_PGM_RSRC2:USER_SGPR: 2
; COMPUTE_PGM_RSRC2:TRAP_HANDLER: 0
; COMPUTE_PGM_RSRC2:TGID_X_EN: 1
; COMPUTE_PGM_RSRC2:TGID_Y_EN: 1
; COMPUTE_PGM_RSRC2:TGID_Z_EN: 1
; COMPUTE_PGM_RSRC2:TIDIG_COMP_CNT: 1
	.section	.text._ZL30rocblas_trmm_outofplace_kernelIdLi32ELi2ELb0ELb0ELb0ELb0EdKddEv17rocblas_diagonal_iiT6_lPT7_lllS4_lllPT8_llli,"axG",@progbits,_ZL30rocblas_trmm_outofplace_kernelIdLi32ELi2ELb0ELb0ELb0ELb0EdKddEv17rocblas_diagonal_iiT6_lPT7_lllS4_lllPT8_llli,comdat
	.globl	_ZL30rocblas_trmm_outofplace_kernelIdLi32ELi2ELb0ELb0ELb0ELb0EdKddEv17rocblas_diagonal_iiT6_lPT7_lllS4_lllPT8_llli ; -- Begin function _ZL30rocblas_trmm_outofplace_kernelIdLi32ELi2ELb0ELb0ELb0ELb0EdKddEv17rocblas_diagonal_iiT6_lPT7_lllS4_lllPT8_llli
	.p2align	8
	.type	_ZL30rocblas_trmm_outofplace_kernelIdLi32ELi2ELb0ELb0ELb0ELb0EdKddEv17rocblas_diagonal_iiT6_lPT7_lllS4_lllPT8_llli,@function
_ZL30rocblas_trmm_outofplace_kernelIdLi32ELi2ELb0ELb0ELb0ELb0EdKddEv17rocblas_diagonal_iiT6_lPT7_lllS4_lllPT8_llli: ; @_ZL30rocblas_trmm_outofplace_kernelIdLi32ELi2ELb0ELb0ELb0ELb0EdKddEv17rocblas_diagonal_iiT6_lPT7_lllS4_lllPT8_llli
; %bb.0:
	s_load_b32 s33, s[0:1], 0x80
	s_lshr_b32 s34, ttmp7, 16
	s_wait_kmcnt 0x0
	s_cmp_ge_u32 s34, s33
	s_cbranch_scc1 .LBB49_55
; %bb.1:
	s_load_b64 s[40:41], s[0:1], 0x10
	s_wait_kmcnt 0x0
	v_cmp_eq_f64_e64 s2, s[40:41], 0
	s_and_b32 vcc_lo, exec_lo, s2
	s_cbranch_vccnz .LBB49_55
; %bb.2:
	s_clause 0x1
	s_load_b96 s[36:38], s[0:1], 0x0
	s_load_b512 s[8:23], s[0:1], 0x20
	s_add_nc_u64 s[42:43], s[0:1], 0x88
	s_load_b256 s[24:31], s[0:1], 0x60
	v_and_b32_e32 v6, 0x3ff, v0
	s_and_b32 s39, ttmp7, 0xffff
	v_bfe_u32 v50, v0, 10, 10
	s_mov_b32 s35, 0
	v_mov_b32_e32 v57, 0x3ff00000
	v_lshl_add_u32 v2, ttmp9, 5, v6
	v_lshlrev_b32_e32 v1, 3, v6
	v_lshlrev_b32_e32 v51, 8, v50
	s_delay_alu instid0(VALU_DEP_3)
	v_ashrrev_i32_e32 v3, 31, v2
	v_add_nc_u32_e32 v0, 16, v2
	s_wait_kmcnt 0x0
	s_add_co_i32 s0, s38, -1
	v_sub_co_u32 v4, vcc_lo, s37, v2
	s_wait_alu 0xfffe
	s_ashr_i32 s1, s0, 31
	s_mov_b32 s44, s38
	s_wait_alu 0xfffe
	s_lshr_b32 s1, s1, 27
	s_wait_alu 0xfffe
	s_add_co_i32 s0, s0, s1
	v_cmp_gt_i32_e64 s1, s37, v0
	s_wait_alu 0xfffe
	s_ashr_i32 s52, s0, 5
	v_cmp_gt_i32_e64 s0, s37, v2
	s_cmp_le_i32 s39, s52
	s_cselect_b32 s53, -1, 0
	s_cmp_eq_u32 s36, 0x84
	s_cselect_b32 s54, -1, 0
	s_ashr_i32 s4, s37, 31
	s_lshl_b64 s[2:3], s[26:27], 3
	v_sub_co_ci_u32_e64 v5, null, s4, v3, vcc_lo
	s_lshl_b32 s4, s39, 5
	v_lshlrev_b64_e32 v[2:3], 3, v[2:3]
	s_wait_alu 0xfffe
	v_add_nc_u32_e32 v55, s4, v6
	v_add_nc_u32_e32 v56, s4, v50
	s_lshl_b64 s[4:5], s[18:19], 3
	v_mov_b32_e32 v6, 0
	v_or_b32_e32 v52, 0x2000, v1
	s_wait_alu 0xfffe
	s_add_nc_u64 s[4:5], s[16:17], s[4:5]
	s_add_nc_u64 s[24:25], s[24:25], s[2:3]
	v_cmp_gt_i64_e64 s2, 1, v[4:5]
	v_cmp_gt_i64_e64 s3, 17, v[4:5]
	s_wait_alu 0xfffe
	v_add_co_u32 v4, vcc_lo, s4, v2
	v_add_nc_u32_e32 v53, v51, v1
	v_add_nc_u32_e32 v54, v52, v51
	v_ashrrev_i32_e32 v1, 31, v0
	s_wait_alu 0xfffd
	v_add_co_ci_u32_e64 v5, null, s5, v3, vcc_lo
	v_add_nc_u32_e32 v58, 0x800, v52
	v_add_nc_u32_e32 v59, 0x1000, v52
	;; [unrolled: 1-line block ×3, first 2 shown]
	s_ashr_i32 s45, s38, 31
	s_lshl_b64 s[4:5], s[10:11], 3
	s_lshl_b64 s[46:47], s[20:21], 8
	s_add_nc_u64 s[26:27], s[44:45], -16
	s_lshl_b64 s[18:19], s[20:21], 3
	s_lshl_b64 s[10:11], s[22:23], 3
	s_wait_alu 0xfffe
	s_add_nc_u64 s[16:17], s[8:9], s[4:5]
	s_lshl_b64 s[14:15], s[14:15], 3
	s_lshl_b64 s[22:23], s[12:13], 3
	s_branch .LBB49_4
.LBB49_3:                               ;   in Loop: Header=BB49_4 Depth=1
	s_add_co_i32 s34, s34, 0x10000
	s_wait_alu 0xfffe
	s_cmp_ge_u32 s34, s33
	s_cbranch_scc1 .LBB49_55
.LBB49_4:                               ; =>This Loop Header: Depth=1
                                        ;     Child Loop BB49_7 Depth 2
                                        ;       Child Loop BB49_10 Depth 3
	s_and_not1_b32 vcc_lo, exec_lo, s53
	s_wait_alu 0xfffe
	s_cbranch_vccnz .LBB49_3
; %bb.5:                                ;   in Loop: Header=BB49_4 Depth=1
	s_load_b32 s55, s[42:43], 0x4
	v_mad_co_u64_u32 v[8:9], null, s10, s34, v[4:5]
	s_mul_u64 s[4:5], s[30:31], s[34:35]
	v_mov_b32_e32 v12, v55
	s_mul_u64 s[6:7], s[14:15], s[34:35]
	s_wait_alu 0xfffe
	s_lshl_b64 s[4:5], s[4:5], 3
	s_add_nc_u64 s[48:49], s[16:17], s[6:7]
	s_wait_alu 0xfffe
	s_add_nc_u64 s[36:37], s[24:25], s[4:5]
	v_mov_b32_e32 v7, v9
	s_mov_b32 s57, s39
	s_delay_alu instid0(VALU_DEP_1)
	v_mad_co_u64_u32 v[9:10], null, s11, s34, v[7:8]
	v_mov_b32_e32 v10, v56
	s_wait_kmcnt 0x0
	s_lshl_b32 s56, s55, 5
	s_branch .LBB49_7
.LBB49_6:                               ;   in Loop: Header=BB49_7 Depth=2
	s_wait_alu 0xfffe
	s_or_b32 exec_lo, exec_lo, s4
	v_add_nc_u32_e32 v12, s56, v12
	v_add_nc_u32_e32 v10, s56, v10
	s_add_co_i32 s57, s55, s57
	s_wait_alu 0xfffe
	s_cmp_gt_i32 s57, s52
	s_cbranch_scc1 .LBB49_3
.LBB49_7:                               ;   Parent Loop BB49_4 Depth=1
                                        ; =>  This Loop Header: Depth=2
                                        ;       Child Loop BB49_10 Depth 3
	s_wait_alu 0xfffe
	s_lshl_b32 s4, s57, 5
	v_ashrrev_i32_e32 v13, 31, v12
	s_wait_alu 0xfffe
	v_add_nc_u32_e32 v14, s4, v50
	v_ashrrev_i32_e32 v11, 31, v10
	s_sub_co_i32 s58, s38, s4
	s_wait_alu 0xfffe
	s_cmp_lt_i32 s58, 1
	v_ashrrev_i32_e32 v15, 31, v14
	s_cbranch_scc1 .LBB49_46
; %bb.8:                                ;   in Loop: Header=BB49_7 Depth=2
	v_lshlrev_b64_e32 v[18:19], 3, v[10:11]
	v_mad_co_u64_u32 v[16:17], null, s18, v10, 0x80
	v_mul_lo_u32 v7, s18, v11
	v_mul_lo_u32 v20, s19, v10
	v_mad_co_u64_u32 v[24:25], null, s22, v10, s[48:49]
	v_add_co_u32 v22, vcc_lo, 0x80, v18
	s_wait_alu 0xfffd
	v_add_co_ci_u32_e64 v23, null, 0, v19, vcc_lo
	v_sub_co_u32 v18, vcc_lo, v10, v12
	v_add3_u32 v17, v20, v17, v7
	s_delay_alu instid0(VALU_DEP_3)
	v_mul_lo_u32 v7, s12, v23
	v_mul_lo_u32 v30, s13, v22
	v_mad_co_u64_u32 v[20:21], null, s12, v22, s[48:49]
	v_mul_lo_u32 v31, s20, v23
	v_mul_lo_u32 v32, s21, v22
	v_mad_co_u64_u32 v[22:23], null, s20, v22, 0x80
	s_wait_alu 0xfffd
	v_sub_co_ci_u32_e64 v19, null, v11, v13, vcc_lo
	v_mul_lo_u32 v33, s22, v11
	v_mul_lo_u32 v34, s23, v10
	v_add_co_u32 v28, vcc_lo, v14, 16
	s_wait_alu 0xfffd
	v_add_co_ci_u32_e64 v29, null, 0, v15, vcc_lo
	v_add3_u32 v21, v30, v21, v7
	v_add_co_u32 v30, s5, v18, 16
	v_add3_u32 v23, v32, v23, v31
	s_wait_alu 0xf1ff
	v_add_co_ci_u32_e64 v31, null, 0, v19, s5
	v_add_co_u32 v32, s5, v18, -16
	v_mov_b32_e32 v36, 0
	v_mov_b32_e32 v40, 0
	v_lshlrev_b64_e32 v[26:27], 3, v[12:13]
	v_cmp_le_i64_e64 s4, s[44:45], v[28:29]
	v_dual_mov_b32 v37, 0 :: v_dual_mov_b32 v38, 0
	v_dual_mov_b32 v41, 0 :: v_dual_mov_b32 v42, 0
	v_add3_u32 v25, v34, v25, v33
	s_wait_alu 0xf1ff
	v_add_co_ci_u32_e64 v33, null, -1, v19, s5
	v_mov_b32_e32 v39, 0
	v_mov_b32_e32 v43, 0
	v_dual_mov_b32 v35, v9 :: v_dual_mov_b32 v34, v8
	s_mov_b64 s[50:51], 0
	v_cmp_le_i32_e32 vcc_lo, s38, v14
	s_branch .LBB49_10
.LBB49_9:                               ;   in Loop: Header=BB49_10 Depth=3
	s_wait_alu 0xfffe
	s_or_b32 exec_lo, exec_lo, s5
	s_wait_dscnt 0x0
	s_barrier_signal -1
	s_barrier_wait -1
	global_inv scope:SCOPE_SE
	ds_load_b128 v[44:47], v51
	ds_load_2addr_b64 v[61:64], v52 offset1:16
	ds_load_b128 v[65:68], v51 offset:4096
	ds_load_b128 v[69:72], v51 offset:16
	ds_load_b128 v[73:76], v51 offset:4112
	v_add_co_u32 v34, s5, v34, s46
	s_wait_alu 0xf1ff
	v_add_co_ci_u32_e64 v35, null, s47, v35, s5
	v_add_co_u32 v20, s5, 0x100, v20
	s_wait_alu 0xf1ff
	v_add_co_ci_u32_e64 v21, null, 0, v21, s5
	;; [unrolled: 3-line block ×3, first 2 shown]
	s_add_nc_u64 s[50:51], s[50:51], 32
	s_wait_alu 0xfffe
	s_cmp_ge_i32 s50, s58
	s_wait_dscnt 0x3
	v_fma_f64 v[42:43], v[61:62], v[44:45], v[42:43]
	v_fma_f64 v[40:41], v[63:64], v[44:45], v[40:41]
	s_wait_dscnt 0x2
	v_fma_f64 v[44:45], v[61:62], v[65:66], v[38:39]
	v_fma_f64 v[48:49], v[63:64], v[65:66], v[36:37]
	ds_load_2addr_b64 v[36:39], v52 offset0:32 offset1:48
	s_wait_dscnt 0x0
	v_fma_f64 v[42:43], v[36:37], v[46:47], v[42:43]
	v_fma_f64 v[40:41], v[38:39], v[46:47], v[40:41]
	v_fma_f64 v[44:45], v[36:37], v[67:68], v[44:45]
	v_fma_f64 v[46:47], v[38:39], v[67:68], v[48:49]
	ds_load_2addr_b64 v[36:39], v52 offset0:64 offset1:80
	s_wait_dscnt 0x0
	v_fma_f64 v[42:43], v[36:37], v[69:70], v[42:43]
	v_fma_f64 v[40:41], v[38:39], v[69:70], v[40:41]
	v_fma_f64 v[44:45], v[36:37], v[73:74], v[44:45]
	v_fma_f64 v[46:47], v[38:39], v[73:74], v[46:47]
	ds_load_2addr_b64 v[36:39], v52 offset0:96 offset1:112
	s_wait_dscnt 0x0
	v_fma_f64 v[48:49], v[36:37], v[71:72], v[42:43]
	v_fma_f64 v[69:70], v[38:39], v[71:72], v[40:41]
	v_fma_f64 v[71:72], v[36:37], v[75:76], v[44:45]
	v_fma_f64 v[73:74], v[38:39], v[75:76], v[46:47]
	ds_load_b128 v[36:39], v51 offset:32
	ds_load_2addr_b64 v[40:43], v52 offset0:128 offset1:144
	ds_load_b128 v[44:47], v51 offset:4128
	ds_load_b128 v[61:64], v51 offset:48
	ds_load_b128 v[65:68], v51 offset:4144
	s_wait_dscnt 0x3
	v_fma_f64 v[48:49], v[40:41], v[36:37], v[48:49]
	v_fma_f64 v[36:37], v[42:43], v[36:37], v[69:70]
	s_wait_dscnt 0x2
	v_fma_f64 v[69:70], v[40:41], v[44:45], v[71:72]
	v_fma_f64 v[44:45], v[42:43], v[44:45], v[73:74]
	ds_load_2addr_b64 v[40:43], v52 offset0:160 offset1:176
	s_wait_dscnt 0x0
	v_fma_f64 v[48:49], v[40:41], v[38:39], v[48:49]
	v_fma_f64 v[71:72], v[42:43], v[38:39], v[36:37]
	v_fma_f64 v[40:41], v[40:41], v[46:47], v[69:70]
	v_fma_f64 v[42:43], v[42:43], v[46:47], v[44:45]
	ds_load_2addr_b64 v[36:39], v52 offset0:192 offset1:208
	s_wait_dscnt 0x0
	v_fma_f64 v[44:45], v[36:37], v[61:62], v[48:49]
	v_fma_f64 v[46:47], v[38:39], v[61:62], v[71:72]
	v_fma_f64 v[40:41], v[36:37], v[65:66], v[40:41]
	v_fma_f64 v[42:43], v[38:39], v[65:66], v[42:43]
	ds_load_2addr_b64 v[36:39], v52 offset0:224 offset1:240
	s_wait_dscnt 0x0
	v_fma_f64 v[48:49], v[36:37], v[63:64], v[44:45]
	v_fma_f64 v[69:70], v[38:39], v[63:64], v[46:47]
	v_fma_f64 v[71:72], v[36:37], v[67:68], v[40:41]
	v_fma_f64 v[73:74], v[38:39], v[67:68], v[42:43]
	ds_load_b128 v[36:39], v51 offset:64
	ds_load_2addr_b64 v[40:43], v58 offset1:16
	ds_load_b128 v[44:47], v51 offset:4160
	ds_load_b128 v[61:64], v51 offset:80
	ds_load_b128 v[65:68], v51 offset:4176
	s_wait_dscnt 0x3
	v_fma_f64 v[48:49], v[40:41], v[36:37], v[48:49]
	v_fma_f64 v[36:37], v[42:43], v[36:37], v[69:70]
	s_wait_dscnt 0x2
	v_fma_f64 v[69:70], v[40:41], v[44:45], v[71:72]
	v_fma_f64 v[44:45], v[42:43], v[44:45], v[73:74]
	ds_load_2addr_b64 v[40:43], v58 offset0:32 offset1:48
	s_wait_dscnt 0x0
	v_fma_f64 v[48:49], v[40:41], v[38:39], v[48:49]
	v_fma_f64 v[71:72], v[42:43], v[38:39], v[36:37]
	v_fma_f64 v[40:41], v[40:41], v[46:47], v[69:70]
	v_fma_f64 v[42:43], v[42:43], v[46:47], v[44:45]
	ds_load_2addr_b64 v[36:39], v58 offset0:64 offset1:80
	s_wait_dscnt 0x0
	v_fma_f64 v[44:45], v[36:37], v[61:62], v[48:49]
	v_fma_f64 v[46:47], v[38:39], v[61:62], v[71:72]
	v_fma_f64 v[40:41], v[36:37], v[65:66], v[40:41]
	v_fma_f64 v[42:43], v[38:39], v[65:66], v[42:43]
	ds_load_2addr_b64 v[36:39], v58 offset0:96 offset1:112
	s_wait_dscnt 0x0
	v_fma_f64 v[48:49], v[36:37], v[63:64], v[44:45]
	v_fma_f64 v[69:70], v[38:39], v[63:64], v[46:47]
	v_fma_f64 v[71:72], v[36:37], v[67:68], v[40:41]
	v_fma_f64 v[73:74], v[38:39], v[67:68], v[42:43]
	ds_load_b128 v[36:39], v51 offset:96
	ds_load_2addr_b64 v[40:43], v58 offset0:128 offset1:144
	ds_load_b128 v[44:47], v51 offset:4192
	ds_load_b128 v[61:64], v51 offset:112
	ds_load_b128 v[65:68], v51 offset:4208
	s_wait_dscnt 0x3
	v_fma_f64 v[48:49], v[40:41], v[36:37], v[48:49]
	v_fma_f64 v[36:37], v[42:43], v[36:37], v[69:70]
	s_wait_dscnt 0x2
	v_fma_f64 v[69:70], v[40:41], v[44:45], v[71:72]
	v_fma_f64 v[44:45], v[42:43], v[44:45], v[73:74]
	ds_load_2addr_b64 v[40:43], v58 offset0:160 offset1:176
	s_wait_dscnt 0x0
	v_fma_f64 v[48:49], v[40:41], v[38:39], v[48:49]
	v_fma_f64 v[71:72], v[42:43], v[38:39], v[36:37]
	v_fma_f64 v[40:41], v[40:41], v[46:47], v[69:70]
	v_fma_f64 v[42:43], v[42:43], v[46:47], v[44:45]
	ds_load_2addr_b64 v[36:39], v58 offset0:192 offset1:208
	s_wait_dscnt 0x0
	v_fma_f64 v[44:45], v[36:37], v[61:62], v[48:49]
	v_fma_f64 v[46:47], v[38:39], v[61:62], v[71:72]
	v_fma_f64 v[40:41], v[36:37], v[65:66], v[40:41]
	v_fma_f64 v[42:43], v[38:39], v[65:66], v[42:43]
	ds_load_2addr_b64 v[36:39], v58 offset0:224 offset1:240
	s_wait_dscnt 0x0
	v_fma_f64 v[48:49], v[36:37], v[63:64], v[44:45]
	v_fma_f64 v[69:70], v[38:39], v[63:64], v[46:47]
	v_fma_f64 v[71:72], v[36:37], v[67:68], v[40:41]
	v_fma_f64 v[73:74], v[38:39], v[67:68], v[42:43]
	ds_load_b128 v[36:39], v51 offset:128
	ds_load_2addr_b64 v[40:43], v59 offset1:16
	ds_load_b128 v[44:47], v51 offset:4224
	ds_load_b128 v[61:64], v51 offset:144
	ds_load_b128 v[65:68], v51 offset:4240
	;; [unrolled: 58-line block ×3, first 2 shown]
	s_wait_dscnt 0x3
	v_fma_f64 v[48:49], v[40:41], v[36:37], v[48:49]
	v_fma_f64 v[36:37], v[42:43], v[36:37], v[69:70]
	s_wait_dscnt 0x2
	v_fma_f64 v[69:70], v[40:41], v[44:45], v[71:72]
	v_fma_f64 v[44:45], v[42:43], v[44:45], v[73:74]
	ds_load_2addr_b64 v[40:43], v60 offset0:32 offset1:48
	s_wait_dscnt 0x0
	v_fma_f64 v[48:49], v[40:41], v[38:39], v[48:49]
	v_fma_f64 v[71:72], v[42:43], v[38:39], v[36:37]
	v_fma_f64 v[40:41], v[40:41], v[46:47], v[69:70]
	v_fma_f64 v[42:43], v[42:43], v[46:47], v[44:45]
	ds_load_2addr_b64 v[36:39], v60 offset0:64 offset1:80
	s_wait_dscnt 0x0
	v_fma_f64 v[44:45], v[36:37], v[61:62], v[48:49]
	v_fma_f64 v[46:47], v[38:39], v[61:62], v[71:72]
	;; [unrolled: 6-line block ×3, first 2 shown]
	v_fma_f64 v[71:72], v[36:37], v[67:68], v[40:41]
	v_fma_f64 v[73:74], v[38:39], v[67:68], v[42:43]
	ds_load_b128 v[36:39], v51 offset:224
	ds_load_2addr_b64 v[40:43], v60 offset0:128 offset1:144
	ds_load_b128 v[44:47], v51 offset:4320
	ds_load_b128 v[61:64], v51 offset:240
	;; [unrolled: 1-line block ×3, first 2 shown]
	s_wait_dscnt 0x3
	v_fma_f64 v[48:49], v[40:41], v[36:37], v[48:49]
	v_fma_f64 v[36:37], v[42:43], v[36:37], v[69:70]
	s_wait_dscnt 0x2
	v_fma_f64 v[69:70], v[40:41], v[44:45], v[71:72]
	v_fma_f64 v[44:45], v[42:43], v[44:45], v[73:74]
	ds_load_2addr_b64 v[40:43], v60 offset0:160 offset1:176
	s_wait_dscnt 0x0
	v_fma_f64 v[48:49], v[40:41], v[38:39], v[48:49]
	v_fma_f64 v[71:72], v[42:43], v[38:39], v[36:37]
	;; [unrolled: 1-line block ×4, first 2 shown]
	ds_load_2addr_b64 v[36:39], v60 offset0:192 offset1:208
	ds_load_2addr_b64 v[44:47], v60 offset0:224 offset1:240
	s_wait_loadcnt_dscnt 0x0
	s_barrier_signal -1
	s_barrier_wait -1
	global_inv scope:SCOPE_SE
	v_fma_f64 v[48:49], v[36:37], v[61:62], v[48:49]
	v_fma_f64 v[61:62], v[38:39], v[61:62], v[71:72]
	;; [unrolled: 1-line block ×4, first 2 shown]
	s_delay_alu instid0(VALU_DEP_4) | instskip(NEXT) | instid1(VALU_DEP_4)
	v_fma_f64 v[42:43], v[44:45], v[63:64], v[48:49]
	v_fma_f64 v[40:41], v[46:47], v[63:64], v[61:62]
	s_delay_alu instid0(VALU_DEP_4) | instskip(NEXT) | instid1(VALU_DEP_4)
	v_fma_f64 v[38:39], v[44:45], v[67:68], v[36:37]
	v_fma_f64 v[36:37], v[46:47], v[67:68], v[65:66]
	s_cbranch_scc1 .LBB49_47
.LBB49_10:                              ;   Parent Loop BB49_4 Depth=1
                                        ;     Parent Loop BB49_7 Depth=2
                                        ; =>    This Inner Loop Header: Depth=3
	s_wait_alu 0xfffe
	v_add_co_u32 v44, s5, v12, s50
	s_wait_alu 0xf1ff
	v_add_co_ci_u32_e64 v45, null, s51, v13, s5
	v_cmp_eq_u64_e64 s7, s[50:51], v[18:19]
	v_add_co_u32 v46, s8, v24, v26
	s_delay_alu instid0(VALU_DEP_3)
	v_cmp_lt_i64_e64 s5, v[44:45], v[14:15]
	v_cmp_le_i64_e64 s6, s[44:45], v[44:45]
	s_wait_alu 0xf1ff
	v_add_co_ci_u32_e64 v47, null, v25, v27, s8
	s_and_b32 s59, s54, s7
                                        ; implicit-def: $vgpr48_vgpr49
	s_or_b32 s8, vcc_lo, s5
	s_wait_alu 0xfffe
	s_or_b32 s7, s6, s8
	s_wait_alu 0xfffe
	s_nor_b32 s7, s7, s59
	s_wait_alu 0xfffe
	s_and_saveexec_b32 s8, s7
	s_wait_alu 0xfffe
	s_xor_b32 s7, exec_lo, s8
	s_cbranch_execz .LBB49_12
; %bb.11:                               ;   in Loop: Header=BB49_10 Depth=3
	global_load_b64 v[48:49], v[46:47], off
.LBB49_12:                              ;   in Loop: Header=BB49_10 Depth=3
	s_wait_alu 0xfffe
	s_and_not1_saveexec_b32 s7, s7
	s_cbranch_execz .LBB49_14
; %bb.13:                               ;   in Loop: Header=BB49_10 Depth=3
	v_cndmask_b32_e64 v7, 0, 0x3ff00000, s59
	s_wait_loadcnt 0x0
	s_delay_alu instid0(VALU_DEP_1)
	v_dual_mov_b32 v49, v7 :: v_dual_mov_b32 v48, v6
.LBB49_14:                              ;   in Loop: Header=BB49_10 Depth=3
	s_wait_alu 0xfffe
	s_or_b32 exec_lo, exec_lo, s7
	v_add_co_u32 v61, s7, v44, 16
	s_wait_alu 0xf1ff
	v_add_co_ci_u32_e64 v62, null, 0, v45, s7
	v_cmp_eq_u64_e64 s9, s[50:51], v[32:33]
	s_wait_loadcnt 0x0
	ds_store_b64 v53, v[48:49]
	v_cmp_lt_i64_e64 s8, v[61:62], v[14:15]
	v_cmp_le_i64_e64 s7, s[44:45], v[61:62]
	s_and_b32 s9, s54, s9
	s_or_b32 s8, vcc_lo, s8
	s_wait_alu 0xfffe
	s_or_b32 s8, s7, s8
	s_wait_alu 0xfffe
	s_nor_b32 s8, s8, s9
	s_wait_alu 0xfffe
	s_and_saveexec_b32 s60, s8
	s_wait_alu 0xfffe
	s_xor_b32 s8, exec_lo, s60
	s_cbranch_execz .LBB49_16
; %bb.15:                               ;   in Loop: Header=BB49_10 Depth=3
	global_load_b64 v[46:47], v[46:47], off offset:128
	s_wait_loadcnt 0x0
	ds_store_b64 v53, v[46:47] offset:128
.LBB49_16:                              ;   in Loop: Header=BB49_10 Depth=3
	s_wait_alu 0xfffe
	s_and_not1_saveexec_b32 s8, s8
	s_cbranch_execz .LBB49_22
; %bb.17:                               ;   in Loop: Header=BB49_10 Depth=3
	s_xor_b32 s9, s9, -1
	s_wait_alu 0xfffe
	s_and_saveexec_b32 s60, s9
	s_wait_alu 0xfffe
	s_xor_b32 s9, exec_lo, s60
; %bb.18:                               ;   in Loop: Header=BB49_10 Depth=3
	v_mov_b32_e32 v7, v6
	ds_store_b64 v53, v[6:7] offset:128
; %bb.19:                               ;   in Loop: Header=BB49_10 Depth=3
	s_wait_alu 0xfffe
	s_and_not1_saveexec_b32 s9, s9
; %bb.20:                               ;   in Loop: Header=BB49_10 Depth=3
	v_mov_b32_e32 v7, v57
	ds_store_b64 v53, v[6:7] offset:128
; %bb.21:                               ;   in Loop: Header=BB49_10 Depth=3
	s_wait_alu 0xfffe
	s_or_b32 exec_lo, exec_lo, s9
.LBB49_22:                              ;   in Loop: Header=BB49_10 Depth=3
	s_wait_alu 0xfffe
	s_or_b32 exec_lo, exec_lo, s8
	v_cmp_eq_u64_e64 s8, s[50:51], v[30:31]
	v_cmp_lt_i64_e64 s9, v[44:45], v[28:29]
                                        ; implicit-def: $vgpr46_vgpr47
	s_and_b32 s60, s54, s8
	v_add_co_u32 v44, s8, v20, v26
	s_or_b32 s9, s4, s9
	v_add_co_ci_u32_e64 v45, null, v21, v27, s8
	s_wait_alu 0xfffe
	s_or_b32 s8, s9, s60
	s_wait_alu 0xfffe
	s_nor_b32 s6, s6, s8
	s_wait_alu 0xfffe
	s_and_saveexec_b32 s8, s6
	s_wait_alu 0xfffe
	s_xor_b32 s6, exec_lo, s8
	s_cbranch_execz .LBB49_24
; %bb.23:                               ;   in Loop: Header=BB49_10 Depth=3
	global_load_b64 v[46:47], v[44:45], off
.LBB49_24:                              ;   in Loop: Header=BB49_10 Depth=3
	s_wait_alu 0xfffe
	s_and_not1_saveexec_b32 s6, s6
	s_cbranch_execz .LBB49_26
; %bb.25:                               ;   in Loop: Header=BB49_10 Depth=3
	v_cndmask_b32_e64 v7, 0, 0x3ff00000, s60
	s_wait_loadcnt 0x0
	s_delay_alu instid0(VALU_DEP_1)
	v_dual_mov_b32 v47, v7 :: v_dual_mov_b32 v46, v6
.LBB49_26:                              ;   in Loop: Header=BB49_10 Depth=3
	s_wait_alu 0xfffe
	s_or_b32 exec_lo, exec_lo, s6
	s_or_b32 s5, s4, s5
	s_wait_loadcnt 0x0
	ds_store_b64 v53, v[46:47] offset:4096
	s_wait_alu 0xfffe
	s_or_b32 s5, s7, s5
	s_wait_alu 0xfffe
	s_nor_b32 s5, s5, s59
	s_wait_alu 0xfffe
	s_and_saveexec_b32 s6, s5
	s_wait_alu 0xfffe
	s_xor_b32 s5, exec_lo, s6
	s_cbranch_execz .LBB49_28
; %bb.27:                               ;   in Loop: Header=BB49_10 Depth=3
	global_load_b64 v[44:45], v[44:45], off offset:128
	s_wait_loadcnt 0x0
	ds_store_b64 v53, v[44:45] offset:4224
.LBB49_28:                              ;   in Loop: Header=BB49_10 Depth=3
	s_wait_alu 0xfffe
	s_and_not1_saveexec_b32 s5, s5
	s_cbranch_execz .LBB49_34
; %bb.29:                               ;   in Loop: Header=BB49_10 Depth=3
	s_xor_b32 s6, s59, -1
	s_wait_alu 0xfffe
	s_and_saveexec_b32 s7, s6
	s_wait_alu 0xfffe
	s_xor_b32 s6, exec_lo, s7
; %bb.30:                               ;   in Loop: Header=BB49_10 Depth=3
	v_mov_b32_e32 v7, v6
	ds_store_b64 v53, v[6:7] offset:4224
; %bb.31:                               ;   in Loop: Header=BB49_10 Depth=3
	s_wait_alu 0xfffe
	s_and_not1_saveexec_b32 s6, s6
; %bb.32:                               ;   in Loop: Header=BB49_10 Depth=3
	v_mov_b32_e32 v7, v57
	ds_store_b64 v53, v[6:7] offset:4224
; %bb.33:                               ;   in Loop: Header=BB49_10 Depth=3
	s_wait_alu 0xfffe
	s_or_b32 exec_lo, exec_lo, s6
.LBB49_34:                              ;   in Loop: Header=BB49_10 Depth=3
	s_wait_alu 0xfffe
	s_or_b32 exec_lo, exec_lo, s5
	v_add_co_u32 v44, s5, v10, s50
	s_wait_alu 0xf1ff
	v_add_co_ci_u32_e64 v45, null, s51, v11, s5
	v_add_co_u32 v46, s6, v34, v16
	v_mov_b32_e32 v48, 0
	s_delay_alu instid0(VALU_DEP_3)
	v_cmp_le_i64_e64 s5, s[44:45], v[44:45]
	v_mov_b32_e32 v49, 0
	s_wait_alu 0xf1ff
	v_add_co_ci_u32_e64 v47, null, v35, v17, s6
	s_nor_b32 s7, s5, s2
	s_wait_alu 0xfffe
	s_and_saveexec_b32 s6, s7
	s_cbranch_execz .LBB49_36
; %bb.35:                               ;   in Loop: Header=BB49_10 Depth=3
	global_load_b64 v[48:49], v[46:47], off offset:-128
.LBB49_36:                              ;   in Loop: Header=BB49_10 Depth=3
	s_wait_alu 0xfffe
	s_or_b32 exec_lo, exec_lo, s6
	s_nor_b32 s5, s5, s3
	s_wait_loadcnt 0x0
	ds_store_b64 v54, v[48:49]
	s_wait_alu 0xfffe
	s_and_saveexec_b32 s6, s5
	s_wait_alu 0xfffe
	s_xor_b32 s5, exec_lo, s6
	s_cbranch_execz .LBB49_38
; %bb.37:                               ;   in Loop: Header=BB49_10 Depth=3
	global_load_b64 v[46:47], v[46:47], off
	s_wait_loadcnt 0x0
	ds_store_b64 v54, v[46:47] offset:128
.LBB49_38:                              ;   in Loop: Header=BB49_10 Depth=3
	s_wait_alu 0xfffe
	s_and_not1_saveexec_b32 s5, s5
; %bb.39:                               ;   in Loop: Header=BB49_10 Depth=3
	v_mov_b32_e32 v7, v6
	ds_store_b64 v54, v[6:7] offset:128
; %bb.40:                               ;   in Loop: Header=BB49_10 Depth=3
	s_wait_alu 0xfffe
	s_or_b32 exec_lo, exec_lo, s5
	v_cmp_le_i64_e64 s5, s[26:27], v[44:45]
	v_add_co_u32 v44, s6, v34, v22
	v_mov_b32_e32 v46, 0
	v_mov_b32_e32 v47, 0
	s_wait_alu 0xf1ff
	v_add_co_ci_u32_e64 v45, null, v35, v23, s6
	s_nor_b32 s7, s5, s2
	s_wait_alu 0xfffe
	s_and_saveexec_b32 s6, s7
	s_cbranch_execz .LBB49_42
; %bb.41:                               ;   in Loop: Header=BB49_10 Depth=3
	global_load_b64 v[46:47], v[44:45], off offset:-128
.LBB49_42:                              ;   in Loop: Header=BB49_10 Depth=3
	s_wait_alu 0xfffe
	s_or_b32 exec_lo, exec_lo, s6
	s_nor_b32 s5, s5, s3
	s_wait_loadcnt 0x0
	ds_store_b64 v54, v[46:47] offset:4096
	s_wait_alu 0xfffe
	s_and_saveexec_b32 s6, s5
	s_wait_alu 0xfffe
	s_xor_b32 s5, exec_lo, s6
	s_cbranch_execz .LBB49_44
; %bb.43:                               ;   in Loop: Header=BB49_10 Depth=3
	global_load_b64 v[44:45], v[44:45], off
	s_wait_loadcnt 0x0
	ds_store_b64 v54, v[44:45] offset:4224
.LBB49_44:                              ;   in Loop: Header=BB49_10 Depth=3
	s_wait_alu 0xfffe
	s_and_not1_saveexec_b32 s5, s5
	s_cbranch_execz .LBB49_9
; %bb.45:                               ;   in Loop: Header=BB49_10 Depth=3
	v_mov_b32_e32 v7, v6
	ds_store_b64 v54, v[6:7] offset:4224
	s_branch .LBB49_9
.LBB49_46:                              ;   in Loop: Header=BB49_7 Depth=2
	v_mov_b32_e32 v42, 0
	v_dual_mov_b32 v38, 0 :: v_dual_mov_b32 v43, 0
	v_dual_mov_b32 v40, 0 :: v_dual_mov_b32 v39, 0
	;; [unrolled: 1-line block ×3, first 2 shown]
	v_mov_b32_e32 v37, 0
.LBB49_47:                              ;   in Loop: Header=BB49_7 Depth=2
	v_mul_lo_u32 v7, s29, v14
	v_mul_lo_u32 v11, s28, v15
	v_mad_co_u64_u32 v[15:16], null, s28, v14, 0
	v_cmp_gt_i32_e32 vcc_lo, s38, v14
	s_delay_alu instid0(VALU_DEP_2) | instskip(NEXT) | instid1(VALU_DEP_1)
	v_add3_u32 v16, v16, v11, v7
	v_lshlrev_b64_e32 v[15:16], 3, v[15:16]
	s_delay_alu instid0(VALU_DEP_1) | instskip(SKIP_1) | instid1(VALU_DEP_2)
	v_add_co_u32 v7, s4, s36, v15
	s_wait_alu 0xf1ff
	v_add_co_ci_u32_e64 v11, null, s37, v16, s4
	s_and_b32 s4, s0, vcc_lo
	s_wait_alu 0xfffe
	s_and_saveexec_b32 s5, s4
	s_cbranch_execz .LBB49_49
; %bb.48:                               ;   in Loop: Header=BB49_7 Depth=2
	v_add_co_u32 v15, s4, v7, v2
	s_wait_alu 0xf1ff
	v_add_co_ci_u32_e64 v16, null, v11, v3, s4
	global_load_b64 v[17:18], v[15:16], off
	s_wait_loadcnt 0x0
	v_fma_f64 v[17:18], s[40:41], v[42:43], v[17:18]
	global_store_b64 v[15:16], v[17:18], off
.LBB49_49:                              ;   in Loop: Header=BB49_7 Depth=2
	s_wait_alu 0xfffe
	s_or_b32 exec_lo, exec_lo, s5
	s_and_b32 s5, s1, vcc_lo
	s_wait_alu 0xfffe
	s_and_saveexec_b32 s4, s5
	s_cbranch_execz .LBB49_51
; %bb.50:                               ;   in Loop: Header=BB49_7 Depth=2
	v_lshlrev_b64_e32 v[15:16], 3, v[0:1]
	s_delay_alu instid0(VALU_DEP_1) | instskip(SKIP_1) | instid1(VALU_DEP_2)
	v_add_co_u32 v15, vcc_lo, v7, v15
	s_wait_alu 0xfffd
	v_add_co_ci_u32_e64 v16, null, v11, v16, vcc_lo
	global_load_b64 v[17:18], v[15:16], off
	s_wait_loadcnt 0x0
	v_fma_f64 v[17:18], s[40:41], v[40:41], v[17:18]
	global_store_b64 v[15:16], v[17:18], off
.LBB49_51:                              ;   in Loop: Header=BB49_7 Depth=2
	s_wait_alu 0xfffe
	s_or_b32 exec_lo, exec_lo, s4
	v_add_nc_u32_e32 v7, 16, v14
	s_delay_alu instid0(VALU_DEP_1) | instskip(SKIP_3) | instid1(VALU_DEP_4)
	v_ashrrev_i32_e32 v11, 31, v7
	v_mul_lo_u32 v15, s29, v7
	v_mad_co_u64_u32 v[13:14], null, s28, v7, 0
	v_cmp_gt_i32_e32 vcc_lo, s38, v7
	v_mul_lo_u32 v11, s28, v11
	s_delay_alu instid0(VALU_DEP_1) | instskip(NEXT) | instid1(VALU_DEP_1)
	v_add3_u32 v14, v14, v11, v15
	v_lshlrev_b64_e32 v[13:14], 3, v[13:14]
	s_delay_alu instid0(VALU_DEP_1) | instskip(SKIP_1) | instid1(VALU_DEP_2)
	v_add_co_u32 v7, s4, s36, v13
	s_wait_alu 0xf1ff
	v_add_co_ci_u32_e64 v11, null, s37, v14, s4
	s_and_b32 s4, s0, vcc_lo
	s_wait_alu 0xfffe
	s_and_saveexec_b32 s5, s4
	s_cbranch_execz .LBB49_53
; %bb.52:                               ;   in Loop: Header=BB49_7 Depth=2
	v_add_co_u32 v13, s4, v7, v2
	s_wait_alu 0xf1ff
	v_add_co_ci_u32_e64 v14, null, v11, v3, s4
	global_load_b64 v[15:16], v[13:14], off
	s_wait_loadcnt 0x0
	v_fma_f64 v[15:16], s[40:41], v[38:39], v[15:16]
	global_store_b64 v[13:14], v[15:16], off
.LBB49_53:                              ;   in Loop: Header=BB49_7 Depth=2
	s_wait_alu 0xfffe
	s_or_b32 exec_lo, exec_lo, s5
	s_and_b32 s5, s1, vcc_lo
	s_wait_alu 0xfffe
	s_and_saveexec_b32 s4, s5
	s_cbranch_execz .LBB49_6
; %bb.54:                               ;   in Loop: Header=BB49_7 Depth=2
	v_lshlrev_b64_e32 v[13:14], 3, v[0:1]
	s_delay_alu instid0(VALU_DEP_1) | instskip(SKIP_1) | instid1(VALU_DEP_2)
	v_add_co_u32 v13, vcc_lo, v7, v13
	s_wait_alu 0xfffd
	v_add_co_ci_u32_e64 v14, null, v11, v14, vcc_lo
	global_load_b64 v[15:16], v[13:14], off
	s_wait_loadcnt 0x0
	v_fma_f64 v[15:16], s[40:41], v[36:37], v[15:16]
	global_store_b64 v[13:14], v[15:16], off
	s_branch .LBB49_6
.LBB49_55:
	s_endpgm
	.section	.rodata,"a",@progbits
	.p2align	6, 0x0
	.amdhsa_kernel _ZL30rocblas_trmm_outofplace_kernelIdLi32ELi2ELb0ELb0ELb0ELb0EdKddEv17rocblas_diagonal_iiT6_lPT7_lllS4_lllPT8_llli
		.amdhsa_group_segment_fixed_size 16384
		.amdhsa_private_segment_fixed_size 0
		.amdhsa_kernarg_size 392
		.amdhsa_user_sgpr_count 2
		.amdhsa_user_sgpr_dispatch_ptr 0
		.amdhsa_user_sgpr_queue_ptr 0
		.amdhsa_user_sgpr_kernarg_segment_ptr 1
		.amdhsa_user_sgpr_dispatch_id 0
		.amdhsa_user_sgpr_private_segment_size 0
		.amdhsa_wavefront_size32 1
		.amdhsa_uses_dynamic_stack 0
		.amdhsa_enable_private_segment 0
		.amdhsa_system_sgpr_workgroup_id_x 1
		.amdhsa_system_sgpr_workgroup_id_y 1
		.amdhsa_system_sgpr_workgroup_id_z 1
		.amdhsa_system_sgpr_workgroup_info 0
		.amdhsa_system_vgpr_workitem_id 1
		.amdhsa_next_free_vgpr 77
		.amdhsa_next_free_sgpr 61
		.amdhsa_reserve_vcc 1
		.amdhsa_float_round_mode_32 0
		.amdhsa_float_round_mode_16_64 0
		.amdhsa_float_denorm_mode_32 3
		.amdhsa_float_denorm_mode_16_64 3
		.amdhsa_fp16_overflow 0
		.amdhsa_workgroup_processor_mode 1
		.amdhsa_memory_ordered 1
		.amdhsa_forward_progress 1
		.amdhsa_inst_pref_size 34
		.amdhsa_round_robin_scheduling 0
		.amdhsa_exception_fp_ieee_invalid_op 0
		.amdhsa_exception_fp_denorm_src 0
		.amdhsa_exception_fp_ieee_div_zero 0
		.amdhsa_exception_fp_ieee_overflow 0
		.amdhsa_exception_fp_ieee_underflow 0
		.amdhsa_exception_fp_ieee_inexact 0
		.amdhsa_exception_int_div_zero 0
	.end_amdhsa_kernel
	.section	.text._ZL30rocblas_trmm_outofplace_kernelIdLi32ELi2ELb0ELb0ELb0ELb0EdKddEv17rocblas_diagonal_iiT6_lPT7_lllS4_lllPT8_llli,"axG",@progbits,_ZL30rocblas_trmm_outofplace_kernelIdLi32ELi2ELb0ELb0ELb0ELb0EdKddEv17rocblas_diagonal_iiT6_lPT7_lllS4_lllPT8_llli,comdat
.Lfunc_end49:
	.size	_ZL30rocblas_trmm_outofplace_kernelIdLi32ELi2ELb0ELb0ELb0ELb0EdKddEv17rocblas_diagonal_iiT6_lPT7_lllS4_lllPT8_llli, .Lfunc_end49-_ZL30rocblas_trmm_outofplace_kernelIdLi32ELi2ELb0ELb0ELb0ELb0EdKddEv17rocblas_diagonal_iiT6_lPT7_lllS4_lllPT8_llli
                                        ; -- End function
	.set _ZL30rocblas_trmm_outofplace_kernelIdLi32ELi2ELb0ELb0ELb0ELb0EdKddEv17rocblas_diagonal_iiT6_lPT7_lllS4_lllPT8_llli.num_vgpr, 77
	.set _ZL30rocblas_trmm_outofplace_kernelIdLi32ELi2ELb0ELb0ELb0ELb0EdKddEv17rocblas_diagonal_iiT6_lPT7_lllS4_lllPT8_llli.num_agpr, 0
	.set _ZL30rocblas_trmm_outofplace_kernelIdLi32ELi2ELb0ELb0ELb0ELb0EdKddEv17rocblas_diagonal_iiT6_lPT7_lllS4_lllPT8_llli.numbered_sgpr, 61
	.set _ZL30rocblas_trmm_outofplace_kernelIdLi32ELi2ELb0ELb0ELb0ELb0EdKddEv17rocblas_diagonal_iiT6_lPT7_lllS4_lllPT8_llli.num_named_barrier, 0
	.set _ZL30rocblas_trmm_outofplace_kernelIdLi32ELi2ELb0ELb0ELb0ELb0EdKddEv17rocblas_diagonal_iiT6_lPT7_lllS4_lllPT8_llli.private_seg_size, 0
	.set _ZL30rocblas_trmm_outofplace_kernelIdLi32ELi2ELb0ELb0ELb0ELb0EdKddEv17rocblas_diagonal_iiT6_lPT7_lllS4_lllPT8_llli.uses_vcc, 1
	.set _ZL30rocblas_trmm_outofplace_kernelIdLi32ELi2ELb0ELb0ELb0ELb0EdKddEv17rocblas_diagonal_iiT6_lPT7_lllS4_lllPT8_llli.uses_flat_scratch, 0
	.set _ZL30rocblas_trmm_outofplace_kernelIdLi32ELi2ELb0ELb0ELb0ELb0EdKddEv17rocblas_diagonal_iiT6_lPT7_lllS4_lllPT8_llli.has_dyn_sized_stack, 0
	.set _ZL30rocblas_trmm_outofplace_kernelIdLi32ELi2ELb0ELb0ELb0ELb0EdKddEv17rocblas_diagonal_iiT6_lPT7_lllS4_lllPT8_llli.has_recursion, 0
	.set _ZL30rocblas_trmm_outofplace_kernelIdLi32ELi2ELb0ELb0ELb0ELb0EdKddEv17rocblas_diagonal_iiT6_lPT7_lllS4_lllPT8_llli.has_indirect_call, 0
	.section	.AMDGPU.csdata,"",@progbits
; Kernel info:
; codeLenInByte = 4296
; TotalNumSgprs: 63
; NumVgprs: 77
; ScratchSize: 0
; MemoryBound: 0
; FloatMode: 240
; IeeeMode: 1
; LDSByteSize: 16384 bytes/workgroup (compile time only)
; SGPRBlocks: 0
; VGPRBlocks: 9
; NumSGPRsForWavesPerEU: 63
; NumVGPRsForWavesPerEU: 77
; Occupancy: 16
; WaveLimiterHint : 0
; COMPUTE_PGM_RSRC2:SCRATCH_EN: 0
; COMPUTE_PGM_RSRC2:USER_SGPR: 2
; COMPUTE_PGM_RSRC2:TRAP_HANDLER: 0
; COMPUTE_PGM_RSRC2:TGID_X_EN: 1
; COMPUTE_PGM_RSRC2:TGID_Y_EN: 1
; COMPUTE_PGM_RSRC2:TGID_Z_EN: 1
; COMPUTE_PGM_RSRC2:TIDIG_COMP_CNT: 1
	.section	.text._ZL30rocblas_trmm_outofplace_kernelIdLi32ELi2ELb0ELb1ELb0ELb0EPKdS0_dEv17rocblas_diagonal_iiT6_lPT7_lllS5_lllPT8_llli,"axG",@progbits,_ZL30rocblas_trmm_outofplace_kernelIdLi32ELi2ELb0ELb1ELb0ELb0EPKdS0_dEv17rocblas_diagonal_iiT6_lPT7_lllS5_lllPT8_llli,comdat
	.globl	_ZL30rocblas_trmm_outofplace_kernelIdLi32ELi2ELb0ELb1ELb0ELb0EPKdS0_dEv17rocblas_diagonal_iiT6_lPT7_lllS5_lllPT8_llli ; -- Begin function _ZL30rocblas_trmm_outofplace_kernelIdLi32ELi2ELb0ELb1ELb0ELb0EPKdS0_dEv17rocblas_diagonal_iiT6_lPT7_lllS5_lllPT8_llli
	.p2align	8
	.type	_ZL30rocblas_trmm_outofplace_kernelIdLi32ELi2ELb0ELb1ELb0ELb0EPKdS0_dEv17rocblas_diagonal_iiT6_lPT7_lllS5_lllPT8_llli,@function
_ZL30rocblas_trmm_outofplace_kernelIdLi32ELi2ELb0ELb1ELb0ELb0EPKdS0_dEv17rocblas_diagonal_iiT6_lPT7_lllS5_lllPT8_llli: ; @_ZL30rocblas_trmm_outofplace_kernelIdLi32ELi2ELb0ELb1ELb0ELb0EPKdS0_dEv17rocblas_diagonal_iiT6_lPT7_lllS5_lllPT8_llli
; %bb.0:
	s_load_b32 s33, s[0:1], 0x80
	s_lshr_b32 s34, ttmp7, 16
	s_wait_kmcnt 0x0
	s_cmp_ge_u32 s34, s33
	s_cbranch_scc1 .LBB50_55
; %bb.1:
	s_clause 0x1
	s_load_b96 s[36:38], s[0:1], 0x0
	s_load_b256 s[4:11], s[0:1], 0x50
	v_bfe_u32 v49, v0, 10, 10
	s_clause 0x1
	s_load_b512 s[12:27], s[0:1], 0x10
	s_load_b128 s[28:31], s[0:1], 0x70
	s_add_nc_u64 s[40:41], s[0:1], 0x88
	s_and_b32 s39, ttmp7, 0xffff
	v_lshlrev_b32_e32 v51, 8, v49
	v_lshl_add_u32 v57, s39, 5, v49
	s_mov_b32 s35, 0
	v_mov_b32_e32 v58, 0x3ff00000
	s_wait_kmcnt 0x0
	s_add_co_i32 s0, s38, -1
	v_mad_co_u64_u32 v[6:7], null, s4, v49, 0
	v_and_b32_e32 v48, 0x3ff, v0
	s_ashr_i32 s1, s0, 31
	v_mov_b32_e32 v0, 0
	s_lshr_b32 s1, s1, 27
	s_delay_alu instid0(SALU_CYCLE_1) | instskip(NEXT) | instid1(VALU_DEP_3)
	s_add_co_i32 s2, s0, s1
	v_mov_b32_e32 v1, v7
	v_lshl_add_u32 v4, ttmp9, 5, v48
	s_ashr_i32 s50, s2, 5
	s_lshl_b64 s[0:1], s[10:11], 3
	s_cmp_le_i32 s39, s50
	s_wait_alu 0xfffe
	s_add_nc_u64 s[42:43], s[8:9], s[0:1]
	v_sub_co_u32 v2, vcc_lo, s37, v4
	v_ashrrev_i32_e32 v5, 31, v4
	s_cselect_b32 s51, -1, 0
	s_cmp_eq_u32 s36, 0x84
	s_delay_alu instid0(VALU_DEP_2)
	v_mad_co_u64_u32 v[7:8], null, s5, v49, v[1:2]
	s_cselect_b32 s52, -1, 0
	s_ashr_i32 s0, s37, 31
	v_lshl_add_u32 v8, v49, 3, 0x80
	s_wait_alu 0xfffe
	v_sub_co_ci_u32_e64 v3, null, s0, v5, vcc_lo
	v_cmp_gt_i32_e64 s2, s37, v4
	s_lshl_b64 s[8:9], s[26:27], 3
	s_lshl_b64 s[44:45], s[4:5], 8
	v_cmp_gt_i64_e64 s0, 1, v[2:3]
	v_cmp_gt_i64_e64 s1, 17, v[2:3]
	v_mad_co_u64_u32 v[2:3], null, s4, v8, 0
	v_lshlrev_b32_e32 v50, 3, v48
	s_add_nc_u64 s[8:9], s[24:25], s[8:9]
	v_sub_co_u32 v55, s4, 0, v48
	v_lshlrev_b64_e32 v[6:7], 3, v[6:7]
	s_wait_alu 0xf1ff
	v_sub_co_ci_u32_e64 v56, null, 0, 0, s4
	v_mov_b32_e32 v1, v3
	v_or_b32_e32 v52, 0x2000, v50
	v_add_nc_u32_e32 v53, v51, v50
	s_mov_b32 s10, s38
	s_ashr_i32 s11, s38, 31
	v_mad_co_u64_u32 v[12:13], null, s5, v8, v[1:2]
	v_add_nc_u32_e32 v10, 16, v4
	v_lshlrev_b64_e32 v[4:5], 3, v[4:5]
	v_add_nc_u32_e32 v54, v52, v51
	v_add_nc_u32_e32 v59, 0x800, v52
	;; [unrolled: 1-line block ×4, first 2 shown]
	s_lshl_b64 s[4:5], s[18:19], 3
	v_add_co_u32 v3, vcc_lo, s8, v4
	s_wait_alu 0xfffd
	v_add_co_ci_u32_e64 v9, null, s9, v5, vcc_lo
	s_add_nc_u64 s[46:47], s[10:11], -16
	v_add_co_u32 v8, vcc_lo, 0x80, v3
	v_mov_b32_e32 v3, v12
	v_ashrrev_i32_e32 v11, 31, v10
	v_cmp_gt_i32_e64 s3, s37, v10
	s_wait_alu 0xfffd
	v_add_co_ci_u32_e64 v9, null, 0, v9, vcc_lo
	s_lshl_b64 s[18:19], s[6:7], 3
	v_lshlrev_b64_e32 v[10:11], 3, v[10:11]
	s_wait_alu 0xfffe
	s_add_nc_u64 s[16:17], s[16:17], s[4:5]
	s_lshl_b64 s[22:23], s[22:23], 3
	s_lshl_b64 s[24:25], s[20:21], 3
	s_branch .LBB50_4
.LBB50_2:                               ;   in Loop: Header=BB50_4 Depth=1
	s_add_co_i32 s34, s34, 0x10000
	s_wait_alu 0xfffe
	s_cmp_ge_u32 s34, s33
	s_cselect_b32 s4, -1, 0
.LBB50_3:                               ;   in Loop: Header=BB50_4 Depth=1
	s_wait_alu 0xfffe
	s_and_b32 vcc_lo, exec_lo, s4
	s_wait_alu 0xfffe
	s_cbranch_vccnz .LBB50_55
.LBB50_4:                               ; =>This Loop Header: Depth=1
                                        ;     Child Loop BB50_8 Depth 2
                                        ;       Child Loop BB50_11 Depth 3
	s_mul_u64 s[4:5], s[14:15], s[34:35]
	s_wait_alu 0xfffe
	s_lshl_b64 s[4:5], s[4:5], 3
	s_wait_alu 0xfffe
	s_add_nc_u64 s[4:5], s[12:13], s[4:5]
	global_load_b64 v[12:13], v0, s[4:5]
	s_mov_b32 s4, -1
	s_wait_loadcnt 0x0
	v_cmp_eq_f64_e32 vcc_lo, 0, v[12:13]
	s_cbranch_vccnz .LBB50_3
; %bb.5:                                ;   in Loop: Header=BB50_4 Depth=1
	s_and_not1_b32 vcc_lo, exec_lo, s51
	s_wait_alu 0xfffe
	s_cbranch_vccnz .LBB50_2
; %bb.6:                                ;   in Loop: Header=BB50_4 Depth=1
	s_load_b32 s53, s[40:41], 0x4
	v_mad_co_u64_u32 v[14:15], null, s18, s34, v[8:9]
	s_mul_u64 s[4:5], s[30:31], s[34:35]
	s_mul_u64 s[6:7], s[22:23], s[34:35]
	s_wait_alu 0xfffe
	s_lshl_b64 s[4:5], s[4:5], 3
	s_add_nc_u64 s[36:37], s[16:17], s[6:7]
	s_wait_alu 0xfffe
	s_add_nc_u64 s[26:27], s[42:43], s[4:5]
	s_mov_b32 s55, s39
	v_mov_b32_e32 v1, v15
	s_delay_alu instid0(VALU_DEP_1)
	v_mad_co_u64_u32 v[15:16], null, s19, s34, v[1:2]
	v_mov_b32_e32 v16, v57
	s_wait_kmcnt 0x0
	s_lshl_b32 s54, s53, 5
	s_branch .LBB50_8
.LBB50_7:                               ;   in Loop: Header=BB50_8 Depth=2
	s_wait_alu 0xfffe
	s_or_b32 exec_lo, exec_lo, s4
	v_add_nc_u32_e32 v16, s54, v16
	s_add_co_i32 s55, s53, s55
	s_wait_alu 0xfffe
	s_cmp_gt_i32 s55, s50
	s_cbranch_scc1 .LBB50_2
.LBB50_8:                               ;   Parent Loop BB50_4 Depth=1
                                        ; =>  This Loop Header: Depth=2
                                        ;       Child Loop BB50_11 Depth 3
	s_wait_alu 0xfffe
	s_lshl_b32 s56, s55, 5
	v_mov_b32_e32 v40, 0
	s_wait_alu 0xfffe
	v_dual_mov_b32 v41, 0 :: v_dual_add_nc_u32 v18, s56, v49
	v_mov_b32_e32 v38, 0
	v_mov_b32_e32 v36, 0
	v_dual_mov_b32 v34, 0 :: v_dual_mov_b32 v39, 0
	v_mov_b32_e32 v37, 0
	v_mov_b32_e32 v35, 0
	v_ashrrev_i32_e32 v19, 31, v18
	s_cmp_lt_i32 s55, 0
	s_cbranch_scc1 .LBB50_47
; %bb.9:                                ;   in Loop: Header=BB50_8 Depth=2
	v_ashrrev_i32_e32 v17, 31, v16
	v_mul_lo_u32 v28, s25, v16
	v_add_co_u32 v24, s4, v18, 16
	s_wait_alu 0xf1ff
	v_add_co_ci_u32_e64 v25, null, 0, v19, s4
	v_lshlrev_b64_e32 v[20:21], 3, v[16:17]
	v_mul_lo_u32 v29, s24, v17
	v_add_co_u32 v26, s4, v55, v16
	s_wait_alu 0xf1ff
	v_add_co_ci_u32_e64 v27, null, v56, v17, s4
	s_delay_alu instid0(VALU_DEP_4) | instskip(SKIP_3) | instid1(VALU_DEP_3)
	v_add_co_u32 v1, vcc_lo, 0x80, v20
	s_wait_alu 0xfffd
	v_add_co_ci_u32_e64 v22, null, 0, v21, vcc_lo
	v_mad_co_u64_u32 v[20:21], null, s24, v16, s[36:37]
	v_mul_lo_u32 v31, s21, v1
	s_delay_alu instid0(VALU_DEP_3)
	v_mul_lo_u32 v30, s20, v22
	v_mad_co_u64_u32 v[22:23], null, s20, v1, s[36:37]
	v_mov_b32_e32 v34, 0
	v_mov_b32_e32 v38, 0
	v_add3_u32 v21, v28, v21, v29
	v_add_co_u32 v28, s5, v26, 16
	s_wait_alu 0xf1ff
	v_add_co_ci_u32_e64 v29, null, 0, v27, s5
	v_add3_u32 v23, v31, v23, v30
	v_add_co_u32 v30, s5, v26, -16
	v_cmp_le_i64_e64 s4, s[10:11], v[24:25]
	v_dual_mov_b32 v35, 0 :: v_dual_mov_b32 v36, 0
	v_dual_mov_b32 v39, 0 :: v_dual_mov_b32 v40, 0
	s_wait_alu 0xf1ff
	v_add_co_ci_u32_e64 v31, null, -1, v27, s5
	v_mov_b32_e32 v37, 0
	v_mov_b32_e32 v41, 0
	v_dual_mov_b32 v33, v15 :: v_dual_mov_b32 v32, v14
	s_mov_b64 s[48:49], 0
	v_cmp_le_i32_e32 vcc_lo, s38, v18
	s_branch .LBB50_11
.LBB50_10:                              ;   in Loop: Header=BB50_11 Depth=3
	s_wait_alu 0xfffe
	s_or_b32 exec_lo, exec_lo, s5
	s_wait_dscnt 0x0
	s_barrier_signal -1
	s_barrier_wait -1
	global_inv scope:SCOPE_SE
	ds_load_b128 v[42:45], v51
	ds_load_2addr_b64 v[62:65], v52 offset1:16
	ds_load_b128 v[66:69], v51 offset:4096
	ds_load_b128 v[70:73], v51 offset:16
	;; [unrolled: 1-line block ×3, first 2 shown]
	v_add_co_u32 v32, s5, v32, s44
	s_wait_alu 0xf1ff
	v_add_co_ci_u32_e64 v33, null, s45, v33, s5
	v_add_co_u32 v22, s5, 0x100, v22
	s_wait_alu 0xf1ff
	v_add_co_ci_u32_e64 v23, null, 0, v23, s5
	v_add_co_u32 v20, s5, 0x100, v20
	s_add_nc_u64 s[48:49], s[48:49], 32
	v_add_co_ci_u32_e64 v21, null, 0, v21, s5
	s_wait_alu 0xfffe
	s_sub_co_i32 s5, s48, 32
	s_wait_alu 0xfffe
	s_cmp_ge_i32 s5, s56
	s_wait_dscnt 0x3
	v_fma_f64 v[40:41], v[62:63], v[42:43], v[40:41]
	v_fma_f64 v[38:39], v[64:65], v[42:43], v[38:39]
	s_wait_dscnt 0x2
	v_fma_f64 v[42:43], v[62:63], v[66:67], v[36:37]
	v_fma_f64 v[46:47], v[64:65], v[66:67], v[34:35]
	ds_load_2addr_b64 v[34:37], v52 offset0:32 offset1:48
	s_wait_dscnt 0x0
	v_fma_f64 v[40:41], v[34:35], v[44:45], v[40:41]
	v_fma_f64 v[38:39], v[36:37], v[44:45], v[38:39]
	v_fma_f64 v[42:43], v[34:35], v[68:69], v[42:43]
	v_fma_f64 v[44:45], v[36:37], v[68:69], v[46:47]
	ds_load_2addr_b64 v[34:37], v52 offset0:64 offset1:80
	s_wait_dscnt 0x0
	v_fma_f64 v[40:41], v[34:35], v[70:71], v[40:41]
	v_fma_f64 v[38:39], v[36:37], v[70:71], v[38:39]
	v_fma_f64 v[42:43], v[34:35], v[74:75], v[42:43]
	v_fma_f64 v[44:45], v[36:37], v[74:75], v[44:45]
	ds_load_2addr_b64 v[34:37], v52 offset0:96 offset1:112
	s_wait_dscnt 0x0
	v_fma_f64 v[46:47], v[34:35], v[72:73], v[40:41]
	v_fma_f64 v[70:71], v[36:37], v[72:73], v[38:39]
	v_fma_f64 v[72:73], v[34:35], v[76:77], v[42:43]
	v_fma_f64 v[74:75], v[36:37], v[76:77], v[44:45]
	ds_load_b128 v[34:37], v51 offset:32
	ds_load_2addr_b64 v[38:41], v52 offset0:128 offset1:144
	ds_load_b128 v[42:45], v51 offset:4128
	ds_load_b128 v[62:65], v51 offset:48
	ds_load_b128 v[66:69], v51 offset:4144
	s_wait_dscnt 0x3
	v_fma_f64 v[46:47], v[38:39], v[34:35], v[46:47]
	v_fma_f64 v[34:35], v[40:41], v[34:35], v[70:71]
	s_wait_dscnt 0x2
	v_fma_f64 v[70:71], v[38:39], v[42:43], v[72:73]
	v_fma_f64 v[42:43], v[40:41], v[42:43], v[74:75]
	ds_load_2addr_b64 v[38:41], v52 offset0:160 offset1:176
	s_wait_dscnt 0x0
	v_fma_f64 v[46:47], v[38:39], v[36:37], v[46:47]
	v_fma_f64 v[72:73], v[40:41], v[36:37], v[34:35]
	v_fma_f64 v[38:39], v[38:39], v[44:45], v[70:71]
	v_fma_f64 v[40:41], v[40:41], v[44:45], v[42:43]
	ds_load_2addr_b64 v[34:37], v52 offset0:192 offset1:208
	s_wait_dscnt 0x0
	v_fma_f64 v[42:43], v[34:35], v[62:63], v[46:47]
	v_fma_f64 v[44:45], v[36:37], v[62:63], v[72:73]
	v_fma_f64 v[38:39], v[34:35], v[66:67], v[38:39]
	v_fma_f64 v[40:41], v[36:37], v[66:67], v[40:41]
	ds_load_2addr_b64 v[34:37], v52 offset0:224 offset1:240
	s_wait_dscnt 0x0
	v_fma_f64 v[46:47], v[34:35], v[64:65], v[42:43]
	v_fma_f64 v[70:71], v[36:37], v[64:65], v[44:45]
	v_fma_f64 v[72:73], v[34:35], v[68:69], v[38:39]
	v_fma_f64 v[74:75], v[36:37], v[68:69], v[40:41]
	ds_load_b128 v[34:37], v51 offset:64
	ds_load_2addr_b64 v[38:41], v59 offset1:16
	ds_load_b128 v[42:45], v51 offset:4160
	ds_load_b128 v[62:65], v51 offset:80
	ds_load_b128 v[66:69], v51 offset:4176
	s_wait_dscnt 0x3
	v_fma_f64 v[46:47], v[38:39], v[34:35], v[46:47]
	v_fma_f64 v[34:35], v[40:41], v[34:35], v[70:71]
	s_wait_dscnt 0x2
	v_fma_f64 v[70:71], v[38:39], v[42:43], v[72:73]
	v_fma_f64 v[42:43], v[40:41], v[42:43], v[74:75]
	ds_load_2addr_b64 v[38:41], v59 offset0:32 offset1:48
	s_wait_dscnt 0x0
	v_fma_f64 v[46:47], v[38:39], v[36:37], v[46:47]
	v_fma_f64 v[72:73], v[40:41], v[36:37], v[34:35]
	v_fma_f64 v[38:39], v[38:39], v[44:45], v[70:71]
	v_fma_f64 v[40:41], v[40:41], v[44:45], v[42:43]
	ds_load_2addr_b64 v[34:37], v59 offset0:64 offset1:80
	s_wait_dscnt 0x0
	v_fma_f64 v[42:43], v[34:35], v[62:63], v[46:47]
	v_fma_f64 v[44:45], v[36:37], v[62:63], v[72:73]
	v_fma_f64 v[38:39], v[34:35], v[66:67], v[38:39]
	v_fma_f64 v[40:41], v[36:37], v[66:67], v[40:41]
	ds_load_2addr_b64 v[34:37], v59 offset0:96 offset1:112
	s_wait_dscnt 0x0
	v_fma_f64 v[46:47], v[34:35], v[64:65], v[42:43]
	v_fma_f64 v[70:71], v[36:37], v[64:65], v[44:45]
	v_fma_f64 v[72:73], v[34:35], v[68:69], v[38:39]
	v_fma_f64 v[74:75], v[36:37], v[68:69], v[40:41]
	ds_load_b128 v[34:37], v51 offset:96
	ds_load_2addr_b64 v[38:41], v59 offset0:128 offset1:144
	ds_load_b128 v[42:45], v51 offset:4192
	ds_load_b128 v[62:65], v51 offset:112
	ds_load_b128 v[66:69], v51 offset:4208
	s_wait_dscnt 0x3
	v_fma_f64 v[46:47], v[38:39], v[34:35], v[46:47]
	v_fma_f64 v[34:35], v[40:41], v[34:35], v[70:71]
	s_wait_dscnt 0x2
	v_fma_f64 v[70:71], v[38:39], v[42:43], v[72:73]
	v_fma_f64 v[42:43], v[40:41], v[42:43], v[74:75]
	ds_load_2addr_b64 v[38:41], v59 offset0:160 offset1:176
	s_wait_dscnt 0x0
	v_fma_f64 v[46:47], v[38:39], v[36:37], v[46:47]
	v_fma_f64 v[72:73], v[40:41], v[36:37], v[34:35]
	v_fma_f64 v[38:39], v[38:39], v[44:45], v[70:71]
	v_fma_f64 v[40:41], v[40:41], v[44:45], v[42:43]
	ds_load_2addr_b64 v[34:37], v59 offset0:192 offset1:208
	s_wait_dscnt 0x0
	v_fma_f64 v[42:43], v[34:35], v[62:63], v[46:47]
	v_fma_f64 v[44:45], v[36:37], v[62:63], v[72:73]
	v_fma_f64 v[38:39], v[34:35], v[66:67], v[38:39]
	v_fma_f64 v[40:41], v[36:37], v[66:67], v[40:41]
	ds_load_2addr_b64 v[34:37], v59 offset0:224 offset1:240
	s_wait_dscnt 0x0
	v_fma_f64 v[46:47], v[34:35], v[64:65], v[42:43]
	v_fma_f64 v[70:71], v[36:37], v[64:65], v[44:45]
	v_fma_f64 v[72:73], v[34:35], v[68:69], v[38:39]
	v_fma_f64 v[74:75], v[36:37], v[68:69], v[40:41]
	ds_load_b128 v[34:37], v51 offset:128
	ds_load_2addr_b64 v[38:41], v60 offset1:16
	ds_load_b128 v[42:45], v51 offset:4224
	ds_load_b128 v[62:65], v51 offset:144
	ds_load_b128 v[66:69], v51 offset:4240
	;; [unrolled: 58-line block ×3, first 2 shown]
	s_wait_dscnt 0x3
	v_fma_f64 v[46:47], v[38:39], v[34:35], v[46:47]
	v_fma_f64 v[34:35], v[40:41], v[34:35], v[70:71]
	s_wait_dscnt 0x2
	v_fma_f64 v[70:71], v[38:39], v[42:43], v[72:73]
	v_fma_f64 v[42:43], v[40:41], v[42:43], v[74:75]
	ds_load_2addr_b64 v[38:41], v61 offset0:32 offset1:48
	s_wait_dscnt 0x0
	v_fma_f64 v[46:47], v[38:39], v[36:37], v[46:47]
	v_fma_f64 v[72:73], v[40:41], v[36:37], v[34:35]
	v_fma_f64 v[38:39], v[38:39], v[44:45], v[70:71]
	v_fma_f64 v[40:41], v[40:41], v[44:45], v[42:43]
	ds_load_2addr_b64 v[34:37], v61 offset0:64 offset1:80
	s_wait_dscnt 0x0
	v_fma_f64 v[42:43], v[34:35], v[62:63], v[46:47]
	v_fma_f64 v[44:45], v[36:37], v[62:63], v[72:73]
	;; [unrolled: 6-line block ×3, first 2 shown]
	v_fma_f64 v[72:73], v[34:35], v[68:69], v[38:39]
	v_fma_f64 v[74:75], v[36:37], v[68:69], v[40:41]
	ds_load_b128 v[34:37], v51 offset:224
	ds_load_2addr_b64 v[38:41], v61 offset0:128 offset1:144
	ds_load_b128 v[42:45], v51 offset:4320
	ds_load_b128 v[62:65], v51 offset:240
	;; [unrolled: 1-line block ×3, first 2 shown]
	s_wait_dscnt 0x3
	v_fma_f64 v[46:47], v[38:39], v[34:35], v[46:47]
	v_fma_f64 v[34:35], v[40:41], v[34:35], v[70:71]
	s_wait_dscnt 0x2
	v_fma_f64 v[70:71], v[38:39], v[42:43], v[72:73]
	v_fma_f64 v[42:43], v[40:41], v[42:43], v[74:75]
	ds_load_2addr_b64 v[38:41], v61 offset0:160 offset1:176
	s_wait_dscnt 0x0
	v_fma_f64 v[46:47], v[38:39], v[36:37], v[46:47]
	v_fma_f64 v[72:73], v[40:41], v[36:37], v[34:35]
	;; [unrolled: 1-line block ×4, first 2 shown]
	ds_load_2addr_b64 v[34:37], v61 offset0:192 offset1:208
	ds_load_2addr_b64 v[42:45], v61 offset0:224 offset1:240
	s_wait_loadcnt_dscnt 0x0
	s_barrier_signal -1
	s_barrier_wait -1
	global_inv scope:SCOPE_SE
	v_fma_f64 v[46:47], v[34:35], v[62:63], v[46:47]
	v_fma_f64 v[62:63], v[36:37], v[62:63], v[72:73]
	;; [unrolled: 1-line block ×4, first 2 shown]
	s_delay_alu instid0(VALU_DEP_4) | instskip(NEXT) | instid1(VALU_DEP_4)
	v_fma_f64 v[40:41], v[42:43], v[64:65], v[46:47]
	v_fma_f64 v[38:39], v[44:45], v[64:65], v[62:63]
	s_delay_alu instid0(VALU_DEP_4) | instskip(NEXT) | instid1(VALU_DEP_4)
	v_fma_f64 v[36:37], v[42:43], v[68:69], v[34:35]
	v_fma_f64 v[34:35], v[44:45], v[68:69], v[66:67]
	s_cbranch_scc1 .LBB50_47
.LBB50_11:                              ;   Parent Loop BB50_4 Depth=1
                                        ;     Parent Loop BB50_8 Depth=2
                                        ; =>    This Inner Loop Header: Depth=3
	s_wait_alu 0xfffe
	v_add_co_u32 v42, s5, v48, s48
	s_wait_alu 0xf1ff
	v_add_co_ci_u32_e64 v43, null, 0, s49, s5
	v_cmp_eq_u64_e64 s7, s[48:49], v[26:27]
                                        ; implicit-def: $vgpr46_vgpr47
	s_delay_alu instid0(VALU_DEP_2)
	v_cmp_gt_i64_e64 s5, v[42:43], v[18:19]
	v_cmp_le_i64_e64 s6, s[10:11], v[42:43]
	s_and_b32 s57, s52, s7
	v_add_co_u32 v44, s7, v20, v50
	s_or_b32 s8, vcc_lo, s5
	v_add_co_ci_u32_e64 v45, null, 0, v21, s7
	s_wait_alu 0xfffe
	s_or_b32 s7, s8, s57
	s_wait_alu 0xfffe
	s_nor_b32 s7, s6, s7
	s_wait_alu 0xfffe
	s_and_saveexec_b32 s8, s7
	s_wait_alu 0xfffe
	s_xor_b32 s7, exec_lo, s8
	s_cbranch_execz .LBB50_13
; %bb.12:                               ;   in Loop: Header=BB50_11 Depth=3
	global_load_b64 v[46:47], v[44:45], off
.LBB50_13:                              ;   in Loop: Header=BB50_11 Depth=3
	s_wait_alu 0xfffe
	s_and_not1_saveexec_b32 s7, s7
	s_cbranch_execz .LBB50_15
; %bb.14:                               ;   in Loop: Header=BB50_11 Depth=3
	v_cndmask_b32_e64 v1, 0, 0x3ff00000, s57
	s_wait_loadcnt 0x0
	s_delay_alu instid0(VALU_DEP_1)
	v_dual_mov_b32 v47, v1 :: v_dual_mov_b32 v46, v0
.LBB50_15:                              ;   in Loop: Header=BB50_11 Depth=3
	s_wait_alu 0xfffe
	s_or_b32 exec_lo, exec_lo, s7
	v_add_co_u32 v62, s7, v42, 16
	s_wait_alu 0xf1ff
	v_add_co_ci_u32_e64 v63, null, 0, v43, s7
	v_cmp_eq_u64_e64 s8, s[48:49], v[30:31]
	s_wait_loadcnt 0x0
	ds_store_b64 v53, v[46:47]
	v_cmp_gt_i64_e64 s9, v[62:63], v[18:19]
	v_cmp_le_i64_e64 s7, s[10:11], v[62:63]
	s_and_b32 s58, s52, s8
	s_or_b32 s8, vcc_lo, s9
	s_wait_alu 0xfffe
	s_or_b32 s8, s8, s58
	s_wait_alu 0xfffe
	s_nor_b32 s8, s7, s8
	s_wait_alu 0xfffe
	s_and_saveexec_b32 s9, s8
	s_wait_alu 0xfffe
	s_xor_b32 s8, exec_lo, s9
	s_cbranch_execz .LBB50_17
; %bb.16:                               ;   in Loop: Header=BB50_11 Depth=3
	global_load_b64 v[44:45], v[44:45], off offset:128
	s_wait_loadcnt 0x0
	ds_store_b64 v53, v[44:45] offset:128
.LBB50_17:                              ;   in Loop: Header=BB50_11 Depth=3
	s_wait_alu 0xfffe
	s_and_not1_saveexec_b32 s8, s8
	s_cbranch_execz .LBB50_23
; %bb.18:                               ;   in Loop: Header=BB50_11 Depth=3
	s_xor_b32 s9, s58, -1
	s_wait_alu 0xfffe
	s_and_saveexec_b32 s58, s9
	s_wait_alu 0xfffe
	s_xor_b32 s9, exec_lo, s58
; %bb.19:                               ;   in Loop: Header=BB50_11 Depth=3
	v_mov_b32_e32 v1, v0
	ds_store_b64 v53, v[0:1] offset:128
; %bb.20:                               ;   in Loop: Header=BB50_11 Depth=3
	s_wait_alu 0xfffe
	s_and_not1_saveexec_b32 s9, s9
; %bb.21:                               ;   in Loop: Header=BB50_11 Depth=3
	v_mov_b32_e32 v1, v58
	ds_store_b64 v53, v[0:1] offset:128
; %bb.22:                               ;   in Loop: Header=BB50_11 Depth=3
	s_wait_alu 0xfffe
	s_or_b32 exec_lo, exec_lo, s9
.LBB50_23:                              ;   in Loop: Header=BB50_11 Depth=3
	s_wait_alu 0xfffe
	s_or_b32 exec_lo, exec_lo, s8
	v_cmp_eq_u64_e64 s8, s[48:49], v[28:29]
	v_cmp_gt_i64_e64 s9, v[42:43], v[24:25]
                                        ; implicit-def: $vgpr44_vgpr45
	s_and_b32 s58, s52, s8
	v_add_co_u32 v42, s8, v22, v50
	s_or_b32 s9, s4, s9
	v_add_co_ci_u32_e64 v43, null, 0, v23, s8
	s_wait_alu 0xfffe
	s_or_b32 s8, s9, s58
	s_wait_alu 0xfffe
	s_nor_b32 s6, s6, s8
	s_wait_alu 0xfffe
	s_and_saveexec_b32 s8, s6
	s_wait_alu 0xfffe
	s_xor_b32 s6, exec_lo, s8
	s_cbranch_execz .LBB50_25
; %bb.24:                               ;   in Loop: Header=BB50_11 Depth=3
	global_load_b64 v[44:45], v[42:43], off
.LBB50_25:                              ;   in Loop: Header=BB50_11 Depth=3
	s_wait_alu 0xfffe
	s_and_not1_saveexec_b32 s6, s6
	s_cbranch_execz .LBB50_27
; %bb.26:                               ;   in Loop: Header=BB50_11 Depth=3
	v_cndmask_b32_e64 v1, 0, 0x3ff00000, s58
	s_wait_loadcnt 0x0
	s_delay_alu instid0(VALU_DEP_1)
	v_dual_mov_b32 v45, v1 :: v_dual_mov_b32 v44, v0
.LBB50_27:                              ;   in Loop: Header=BB50_11 Depth=3
	s_wait_alu 0xfffe
	s_or_b32 exec_lo, exec_lo, s6
	s_or_b32 s5, s4, s5
	s_wait_loadcnt 0x0
	ds_store_b64 v53, v[44:45] offset:4096
	s_wait_alu 0xfffe
	s_or_b32 s5, s5, s57
	s_wait_alu 0xfffe
	s_nor_b32 s5, s7, s5
	s_wait_alu 0xfffe
	s_and_saveexec_b32 s6, s5
	s_wait_alu 0xfffe
	s_xor_b32 s5, exec_lo, s6
	s_cbranch_execz .LBB50_29
; %bb.28:                               ;   in Loop: Header=BB50_11 Depth=3
	global_load_b64 v[42:43], v[42:43], off offset:128
	s_wait_loadcnt 0x0
	ds_store_b64 v53, v[42:43] offset:4224
.LBB50_29:                              ;   in Loop: Header=BB50_11 Depth=3
	s_wait_alu 0xfffe
	s_and_not1_saveexec_b32 s5, s5
	s_cbranch_execz .LBB50_35
; %bb.30:                               ;   in Loop: Header=BB50_11 Depth=3
	s_xor_b32 s6, s57, -1
	s_wait_alu 0xfffe
	s_and_saveexec_b32 s7, s6
	s_wait_alu 0xfffe
	s_xor_b32 s6, exec_lo, s7
; %bb.31:                               ;   in Loop: Header=BB50_11 Depth=3
	v_mov_b32_e32 v1, v0
	ds_store_b64 v53, v[0:1] offset:4224
; %bb.32:                               ;   in Loop: Header=BB50_11 Depth=3
	s_wait_alu 0xfffe
	s_and_not1_saveexec_b32 s6, s6
; %bb.33:                               ;   in Loop: Header=BB50_11 Depth=3
	v_mov_b32_e32 v1, v58
	ds_store_b64 v53, v[0:1] offset:4224
; %bb.34:                               ;   in Loop: Header=BB50_11 Depth=3
	s_wait_alu 0xfffe
	s_or_b32 exec_lo, exec_lo, s6
.LBB50_35:                              ;   in Loop: Header=BB50_11 Depth=3
	s_wait_alu 0xfffe
	s_or_b32 exec_lo, exec_lo, s5
	v_add_co_u32 v42, s5, v49, s48
	s_wait_alu 0xf1ff
	v_add_co_ci_u32_e64 v43, null, 0, s49, s5
	v_add_co_u32 v44, s6, v32, v6
	v_mov_b32_e32 v46, 0
	s_delay_alu instid0(VALU_DEP_3)
	v_cmp_le_i64_e64 s5, s[10:11], v[42:43]
	v_mov_b32_e32 v47, 0
	s_wait_alu 0xf1ff
	v_add_co_ci_u32_e64 v45, null, v33, v7, s6
	s_nor_b32 s7, s5, s0
	s_wait_alu 0xfffe
	s_and_saveexec_b32 s6, s7
	s_cbranch_execz .LBB50_37
; %bb.36:                               ;   in Loop: Header=BB50_11 Depth=3
	global_load_b64 v[46:47], v[44:45], off offset:-128
.LBB50_37:                              ;   in Loop: Header=BB50_11 Depth=3
	s_wait_alu 0xfffe
	s_or_b32 exec_lo, exec_lo, s6
	s_nor_b32 s5, s5, s1
	s_wait_loadcnt 0x0
	ds_store_b64 v54, v[46:47]
	s_wait_alu 0xfffe
	s_and_saveexec_b32 s6, s5
	s_wait_alu 0xfffe
	s_xor_b32 s5, exec_lo, s6
	s_cbranch_execz .LBB50_39
; %bb.38:                               ;   in Loop: Header=BB50_11 Depth=3
	global_load_b64 v[44:45], v[44:45], off
	s_wait_loadcnt 0x0
	ds_store_b64 v54, v[44:45] offset:128
.LBB50_39:                              ;   in Loop: Header=BB50_11 Depth=3
	s_wait_alu 0xfffe
	s_and_not1_saveexec_b32 s5, s5
; %bb.40:                               ;   in Loop: Header=BB50_11 Depth=3
	v_mov_b32_e32 v1, v0
	ds_store_b64 v54, v[0:1] offset:128
; %bb.41:                               ;   in Loop: Header=BB50_11 Depth=3
	s_wait_alu 0xfffe
	s_or_b32 exec_lo, exec_lo, s5
	v_cmp_le_i64_e64 s5, s[46:47], v[42:43]
	v_add_co_u32 v42, s6, v32, v2
	v_mov_b32_e32 v44, 0
	v_mov_b32_e32 v45, 0
	s_wait_alu 0xf1ff
	v_add_co_ci_u32_e64 v43, null, v33, v3, s6
	s_nor_b32 s7, s5, s0
	s_wait_alu 0xfffe
	s_and_saveexec_b32 s6, s7
	s_cbranch_execz .LBB50_43
; %bb.42:                               ;   in Loop: Header=BB50_11 Depth=3
	global_load_b64 v[44:45], v[42:43], off offset:-128
.LBB50_43:                              ;   in Loop: Header=BB50_11 Depth=3
	s_wait_alu 0xfffe
	s_or_b32 exec_lo, exec_lo, s6
	s_nor_b32 s5, s5, s1
	s_wait_loadcnt 0x0
	ds_store_b64 v54, v[44:45] offset:4096
	s_wait_alu 0xfffe
	s_and_saveexec_b32 s6, s5
	s_wait_alu 0xfffe
	s_xor_b32 s5, exec_lo, s6
	s_cbranch_execz .LBB50_45
; %bb.44:                               ;   in Loop: Header=BB50_11 Depth=3
	global_load_b64 v[42:43], v[42:43], off
	s_wait_loadcnt 0x0
	ds_store_b64 v54, v[42:43] offset:4224
.LBB50_45:                              ;   in Loop: Header=BB50_11 Depth=3
	s_wait_alu 0xfffe
	s_and_not1_saveexec_b32 s5, s5
	s_cbranch_execz .LBB50_10
; %bb.46:                               ;   in Loop: Header=BB50_11 Depth=3
	v_mov_b32_e32 v1, v0
	ds_store_b64 v54, v[0:1] offset:4224
	s_branch .LBB50_10
.LBB50_47:                              ;   in Loop: Header=BB50_8 Depth=2
	v_mul_lo_u32 v1, s29, v18
	s_delay_alu instid0(VALU_DEP_2) | instskip(SKIP_2) | instid1(VALU_DEP_2)
	v_mul_lo_u32 v17, s28, v19
	v_mad_co_u64_u32 v[19:20], null, s28, v18, 0
	v_cmp_gt_i32_e32 vcc_lo, s38, v18
	v_add3_u32 v20, v20, v17, v1
	s_delay_alu instid0(VALU_DEP_1) | instskip(NEXT) | instid1(VALU_DEP_1)
	v_lshlrev_b64_e32 v[19:20], 3, v[19:20]
	v_add_co_u32 v1, s4, s26, v19
	s_wait_alu 0xf1ff
	s_delay_alu instid0(VALU_DEP_2)
	v_add_co_ci_u32_e64 v17, null, s27, v20, s4
	s_and_b32 s4, s2, vcc_lo
	s_wait_alu 0xfffe
	s_and_saveexec_b32 s5, s4
	s_cbranch_execz .LBB50_49
; %bb.48:                               ;   in Loop: Header=BB50_8 Depth=2
	v_add_co_u32 v19, s4, v1, v4
	s_wait_alu 0xf1ff
	v_add_co_ci_u32_e64 v20, null, v17, v5, s4
	global_load_b64 v[21:22], v[19:20], off
	s_wait_loadcnt 0x0
	v_fma_f64 v[21:22], v[12:13], v[40:41], v[21:22]
	global_store_b64 v[19:20], v[21:22], off
.LBB50_49:                              ;   in Loop: Header=BB50_8 Depth=2
	s_wait_alu 0xfffe
	s_or_b32 exec_lo, exec_lo, s5
	s_and_b32 s5, s3, vcc_lo
	s_wait_alu 0xfffe
	s_and_saveexec_b32 s4, s5
	s_cbranch_execz .LBB50_51
; %bb.50:                               ;   in Loop: Header=BB50_8 Depth=2
	v_add_co_u32 v19, vcc_lo, v1, v10
	s_wait_alu 0xfffd
	v_add_co_ci_u32_e64 v20, null, v17, v11, vcc_lo
	global_load_b64 v[21:22], v[19:20], off
	s_wait_loadcnt 0x0
	v_fma_f64 v[21:22], v[12:13], v[38:39], v[21:22]
	global_store_b64 v[19:20], v[21:22], off
.LBB50_51:                              ;   in Loop: Header=BB50_8 Depth=2
	s_wait_alu 0xfffe
	s_or_b32 exec_lo, exec_lo, s4
	v_add_nc_u32_e32 v1, 16, v18
	s_delay_alu instid0(VALU_DEP_1) | instskip(SKIP_3) | instid1(VALU_DEP_4)
	v_ashrrev_i32_e32 v19, 31, v1
	v_mul_lo_u32 v20, s29, v1
	v_mad_co_u64_u32 v[17:18], null, s28, v1, 0
	v_cmp_gt_i32_e32 vcc_lo, s38, v1
	v_mul_lo_u32 v19, s28, v19
	s_delay_alu instid0(VALU_DEP_1) | instskip(NEXT) | instid1(VALU_DEP_1)
	v_add3_u32 v18, v18, v19, v20
	v_lshlrev_b64_e32 v[17:18], 3, v[17:18]
	s_delay_alu instid0(VALU_DEP_1) | instskip(SKIP_1) | instid1(VALU_DEP_2)
	v_add_co_u32 v1, s4, s26, v17
	s_wait_alu 0xf1ff
	v_add_co_ci_u32_e64 v17, null, s27, v18, s4
	s_and_b32 s4, s2, vcc_lo
	s_wait_alu 0xfffe
	s_and_saveexec_b32 s5, s4
	s_cbranch_execz .LBB50_53
; %bb.52:                               ;   in Loop: Header=BB50_8 Depth=2
	v_add_co_u32 v18, s4, v1, v4
	s_wait_alu 0xf1ff
	v_add_co_ci_u32_e64 v19, null, v17, v5, s4
	global_load_b64 v[20:21], v[18:19], off
	s_wait_loadcnt 0x0
	v_fma_f64 v[20:21], v[12:13], v[36:37], v[20:21]
	global_store_b64 v[18:19], v[20:21], off
.LBB50_53:                              ;   in Loop: Header=BB50_8 Depth=2
	s_wait_alu 0xfffe
	s_or_b32 exec_lo, exec_lo, s5
	s_and_b32 s5, s3, vcc_lo
	s_wait_alu 0xfffe
	s_and_saveexec_b32 s4, s5
	s_cbranch_execz .LBB50_7
; %bb.54:                               ;   in Loop: Header=BB50_8 Depth=2
	v_add_co_u32 v18, vcc_lo, v1, v10
	s_wait_alu 0xfffd
	v_add_co_ci_u32_e64 v19, null, v17, v11, vcc_lo
	global_load_b64 v[20:21], v[18:19], off
	s_wait_loadcnt 0x0
	v_fma_f64 v[20:21], v[12:13], v[34:35], v[20:21]
	global_store_b64 v[18:19], v[20:21], off
	s_branch .LBB50_7
.LBB50_55:
	s_endpgm
	.section	.rodata,"a",@progbits
	.p2align	6, 0x0
	.amdhsa_kernel _ZL30rocblas_trmm_outofplace_kernelIdLi32ELi2ELb0ELb1ELb0ELb0EPKdS0_dEv17rocblas_diagonal_iiT6_lPT7_lllS5_lllPT8_llli
		.amdhsa_group_segment_fixed_size 16384
		.amdhsa_private_segment_fixed_size 0
		.amdhsa_kernarg_size 392
		.amdhsa_user_sgpr_count 2
		.amdhsa_user_sgpr_dispatch_ptr 0
		.amdhsa_user_sgpr_queue_ptr 0
		.amdhsa_user_sgpr_kernarg_segment_ptr 1
		.amdhsa_user_sgpr_dispatch_id 0
		.amdhsa_user_sgpr_private_segment_size 0
		.amdhsa_wavefront_size32 1
		.amdhsa_uses_dynamic_stack 0
		.amdhsa_enable_private_segment 0
		.amdhsa_system_sgpr_workgroup_id_x 1
		.amdhsa_system_sgpr_workgroup_id_y 1
		.amdhsa_system_sgpr_workgroup_id_z 1
		.amdhsa_system_sgpr_workgroup_info 0
		.amdhsa_system_vgpr_workitem_id 1
		.amdhsa_next_free_vgpr 78
		.amdhsa_next_free_sgpr 59
		.amdhsa_reserve_vcc 1
		.amdhsa_float_round_mode_32 0
		.amdhsa_float_round_mode_16_64 0
		.amdhsa_float_denorm_mode_32 3
		.amdhsa_float_denorm_mode_16_64 3
		.amdhsa_fp16_overflow 0
		.amdhsa_workgroup_processor_mode 1
		.amdhsa_memory_ordered 1
		.amdhsa_forward_progress 1
		.amdhsa_inst_pref_size 34
		.amdhsa_round_robin_scheduling 0
		.amdhsa_exception_fp_ieee_invalid_op 0
		.amdhsa_exception_fp_denorm_src 0
		.amdhsa_exception_fp_ieee_div_zero 0
		.amdhsa_exception_fp_ieee_overflow 0
		.amdhsa_exception_fp_ieee_underflow 0
		.amdhsa_exception_fp_ieee_inexact 0
		.amdhsa_exception_int_div_zero 0
	.end_amdhsa_kernel
	.section	.text._ZL30rocblas_trmm_outofplace_kernelIdLi32ELi2ELb0ELb1ELb0ELb0EPKdS0_dEv17rocblas_diagonal_iiT6_lPT7_lllS5_lllPT8_llli,"axG",@progbits,_ZL30rocblas_trmm_outofplace_kernelIdLi32ELi2ELb0ELb1ELb0ELb0EPKdS0_dEv17rocblas_diagonal_iiT6_lPT7_lllS5_lllPT8_llli,comdat
.Lfunc_end50:
	.size	_ZL30rocblas_trmm_outofplace_kernelIdLi32ELi2ELb0ELb1ELb0ELb0EPKdS0_dEv17rocblas_diagonal_iiT6_lPT7_lllS5_lllPT8_llli, .Lfunc_end50-_ZL30rocblas_trmm_outofplace_kernelIdLi32ELi2ELb0ELb1ELb0ELb0EPKdS0_dEv17rocblas_diagonal_iiT6_lPT7_lllS5_lllPT8_llli
                                        ; -- End function
	.set _ZL30rocblas_trmm_outofplace_kernelIdLi32ELi2ELb0ELb1ELb0ELb0EPKdS0_dEv17rocblas_diagonal_iiT6_lPT7_lllS5_lllPT8_llli.num_vgpr, 78
	.set _ZL30rocblas_trmm_outofplace_kernelIdLi32ELi2ELb0ELb1ELb0ELb0EPKdS0_dEv17rocblas_diagonal_iiT6_lPT7_lllS5_lllPT8_llli.num_agpr, 0
	.set _ZL30rocblas_trmm_outofplace_kernelIdLi32ELi2ELb0ELb1ELb0ELb0EPKdS0_dEv17rocblas_diagonal_iiT6_lPT7_lllS5_lllPT8_llli.numbered_sgpr, 59
	.set _ZL30rocblas_trmm_outofplace_kernelIdLi32ELi2ELb0ELb1ELb0ELb0EPKdS0_dEv17rocblas_diagonal_iiT6_lPT7_lllS5_lllPT8_llli.num_named_barrier, 0
	.set _ZL30rocblas_trmm_outofplace_kernelIdLi32ELi2ELb0ELb1ELb0ELb0EPKdS0_dEv17rocblas_diagonal_iiT6_lPT7_lllS5_lllPT8_llli.private_seg_size, 0
	.set _ZL30rocblas_trmm_outofplace_kernelIdLi32ELi2ELb0ELb1ELb0ELb0EPKdS0_dEv17rocblas_diagonal_iiT6_lPT7_lllS5_lllPT8_llli.uses_vcc, 1
	.set _ZL30rocblas_trmm_outofplace_kernelIdLi32ELi2ELb0ELb1ELb0ELb0EPKdS0_dEv17rocblas_diagonal_iiT6_lPT7_lllS5_lllPT8_llli.uses_flat_scratch, 0
	.set _ZL30rocblas_trmm_outofplace_kernelIdLi32ELi2ELb0ELb1ELb0ELb0EPKdS0_dEv17rocblas_diagonal_iiT6_lPT7_lllS5_lllPT8_llli.has_dyn_sized_stack, 0
	.set _ZL30rocblas_trmm_outofplace_kernelIdLi32ELi2ELb0ELb1ELb0ELb0EPKdS0_dEv17rocblas_diagonal_iiT6_lPT7_lllS5_lllPT8_llli.has_recursion, 0
	.set _ZL30rocblas_trmm_outofplace_kernelIdLi32ELi2ELb0ELb1ELb0ELb0EPKdS0_dEv17rocblas_diagonal_iiT6_lPT7_lllS5_lllPT8_llli.has_indirect_call, 0
	.section	.AMDGPU.csdata,"",@progbits
; Kernel info:
; codeLenInByte = 4324
; TotalNumSgprs: 61
; NumVgprs: 78
; ScratchSize: 0
; MemoryBound: 0
; FloatMode: 240
; IeeeMode: 1
; LDSByteSize: 16384 bytes/workgroup (compile time only)
; SGPRBlocks: 0
; VGPRBlocks: 9
; NumSGPRsForWavesPerEU: 61
; NumVGPRsForWavesPerEU: 78
; Occupancy: 16
; WaveLimiterHint : 0
; COMPUTE_PGM_RSRC2:SCRATCH_EN: 0
; COMPUTE_PGM_RSRC2:USER_SGPR: 2
; COMPUTE_PGM_RSRC2:TRAP_HANDLER: 0
; COMPUTE_PGM_RSRC2:TGID_X_EN: 1
; COMPUTE_PGM_RSRC2:TGID_Y_EN: 1
; COMPUTE_PGM_RSRC2:TGID_Z_EN: 1
; COMPUTE_PGM_RSRC2:TIDIG_COMP_CNT: 1
	.section	.text._ZL30rocblas_trmm_outofplace_kernelIdLi32ELi2ELb0ELb1ELb0ELb0EdKddEv17rocblas_diagonal_iiT6_lPT7_lllS4_lllPT8_llli,"axG",@progbits,_ZL30rocblas_trmm_outofplace_kernelIdLi32ELi2ELb0ELb1ELb0ELb0EdKddEv17rocblas_diagonal_iiT6_lPT7_lllS4_lllPT8_llli,comdat
	.globl	_ZL30rocblas_trmm_outofplace_kernelIdLi32ELi2ELb0ELb1ELb0ELb0EdKddEv17rocblas_diagonal_iiT6_lPT7_lllS4_lllPT8_llli ; -- Begin function _ZL30rocblas_trmm_outofplace_kernelIdLi32ELi2ELb0ELb1ELb0ELb0EdKddEv17rocblas_diagonal_iiT6_lPT7_lllS4_lllPT8_llli
	.p2align	8
	.type	_ZL30rocblas_trmm_outofplace_kernelIdLi32ELi2ELb0ELb1ELb0ELb0EdKddEv17rocblas_diagonal_iiT6_lPT7_lllS4_lllPT8_llli,@function
_ZL30rocblas_trmm_outofplace_kernelIdLi32ELi2ELb0ELb1ELb0ELb0EdKddEv17rocblas_diagonal_iiT6_lPT7_lllS4_lllPT8_llli: ; @_ZL30rocblas_trmm_outofplace_kernelIdLi32ELi2ELb0ELb1ELb0ELb0EdKddEv17rocblas_diagonal_iiT6_lPT7_lllS4_lllPT8_llli
; %bb.0:
	s_load_b32 s33, s[0:1], 0x80
	s_lshr_b32 s34, ttmp7, 16
	s_wait_kmcnt 0x0
	s_cmp_ge_u32 s34, s33
	s_cbranch_scc1 .LBB51_54
; %bb.1:
	s_load_b64 s[40:41], s[0:1], 0x10
	s_wait_kmcnt 0x0
	v_cmp_eq_f64_e64 s2, s[40:41], 0
	s_and_b32 vcc_lo, exec_lo, s2
	s_cbranch_vccnz .LBB51_54
; %bb.2:
	s_clause 0x1
	s_load_b96 s[36:38], s[0:1], 0x0
	s_load_b512 s[8:23], s[0:1], 0x20
	v_and_b32_e32 v47, 0x3ff, v0
	v_bfe_u32 v0, v0, 10, 10
	s_load_b256 s[24:31], s[0:1], 0x60
	s_add_nc_u64 s[42:43], s[0:1], 0x88
	s_and_b32 s39, ttmp7, 0xffff
	v_mov_b32_e32 v56, 0x3ff00000
	v_lshl_add_u32 v9, v0, 3, 0x80
	v_lshl_add_u32 v55, s39, 5, v0
	s_mov_b32 s35, 0
	s_wait_kmcnt 0x0
	s_add_co_i32 s0, s38, -1
	v_mad_co_u64_u32 v[7:8], null, s20, v0, 0
	s_ashr_i32 s1, s0, 31
	s_mov_b32 s44, s38
	s_lshr_b32 s1, s1, 27
	s_delay_alu instid0(SALU_CYCLE_1) | instskip(NEXT) | instid1(SALU_CYCLE_1)
	s_add_co_i32 s0, s0, s1
	s_ashr_i32 s48, s0, 5
	v_mov_b32_e32 v2, v8
	v_lshl_add_u32 v5, ttmp9, 5, v47
	s_cmp_le_i32 s39, s48
	v_dual_mov_b32 v1, 0 :: v_dual_lshlrev_b32 v48, 3, v47
	s_cselect_b32 s49, -1, 0
	s_delay_alu instid0(VALU_DEP_2)
	v_ashrrev_i32_e32 v6, 31, v5
	s_cmp_eq_u32 s36, 0x84
	v_mad_co_u64_u32 v[2:3], null, s21, v0, v[2:3]
	s_cselect_b32 s50, -1, 0
	s_ashr_i32 s0, s37, 31
	v_sub_co_u32 v3, vcc_lo, s37, v5
	s_wait_alu 0xfffe
	v_sub_co_ci_u32_e64 v4, null, s0, v6, vcc_lo
	s_lshl_b64 s[0:1], s[26:27], 3
	v_dual_mov_b32 v8, v2 :: v_dual_lshlrev_b32 v49, 8, v0
	s_wait_alu 0xfffe
	s_add_nc_u64 s[24:25], s[24:25], s[0:1]
	v_cmp_gt_i64_e64 s0, 1, v[3:4]
	v_cmp_gt_i64_e64 s1, 17, v[3:4]
	v_mad_co_u64_u32 v[3:4], null, s20, v9, 0
	v_add_nc_u32_e32 v51, v49, v48
	v_cmp_gt_i32_e64 s2, s37, v5
	v_sub_co_u32 v53, s4, 0, v47
	s_delay_alu instid0(VALU_DEP_1)
	v_sub_co_ci_u32_e64 v54, null, 0, 0, s4
	v_mov_b32_e32 v2, v4
	s_lshl_b64 s[4:5], s[18:19], 3
	v_or_b32_e32 v50, 0x2000, v48
	s_wait_alu 0xfffe
	s_add_nc_u64 s[4:5], s[16:17], s[4:5]
	v_lshlrev_b64_e32 v[7:8], 3, v[7:8]
	v_mad_co_u64_u32 v[13:14], null, s21, v9, v[2:3]
	v_add_nc_u32_e32 v11, 16, v5
	v_lshlrev_b64_e32 v[5:6], 3, v[5:6]
	v_add_nc_u32_e32 v52, v50, v49
	v_add_nc_u32_e32 v57, 0x800, v50
	;; [unrolled: 1-line block ×4, first 2 shown]
	s_ashr_i32 s45, s38, 31
	s_wait_alu 0xfffe
	v_add_co_u32 v4, vcc_lo, s4, v5
	s_wait_alu 0xfffd
	v_add_co_ci_u32_e64 v10, null, s5, v6, vcc_lo
	s_lshl_b64 s[4:5], s[10:11], 3
	v_add_co_u32 v9, vcc_lo, 0x80, v4
	v_mov_b32_e32 v4, v13
	v_ashrrev_i32_e32 v12, 31, v11
	v_cmp_gt_i32_e64 s3, s37, v11
	s_wait_alu 0xfffd
	v_add_co_ci_u32_e64 v10, null, 0, v10, vcc_lo
	s_lshl_b64 s[26:27], s[20:21], 8
	v_lshlrev_b64_e32 v[11:12], 3, v[11:12]
	s_add_nc_u64 s[46:47], s[44:45], -16
	s_lshl_b64 s[10:11], s[22:23], 3
	s_wait_alu 0xfffe
	s_add_nc_u64 s[16:17], s[8:9], s[4:5]
	s_lshl_b64 s[14:15], s[14:15], 3
	s_lshl_b64 s[18:19], s[12:13], 3
	s_branch .LBB51_4
.LBB51_3:                               ;   in Loop: Header=BB51_4 Depth=1
	s_add_co_i32 s34, s34, 0x10000
	s_wait_alu 0xfffe
	s_cmp_ge_u32 s34, s33
	s_cbranch_scc1 .LBB51_54
.LBB51_4:                               ; =>This Loop Header: Depth=1
                                        ;     Child Loop BB51_7 Depth 2
                                        ;       Child Loop BB51_10 Depth 3
	s_and_not1_b32 vcc_lo, exec_lo, s49
	s_wait_alu 0xfffe
	s_cbranch_vccnz .LBB51_3
; %bb.5:                                ;   in Loop: Header=BB51_4 Depth=1
	s_load_b32 s51, s[42:43], 0x4
	v_mad_co_u64_u32 v[13:14], null, s10, s34, v[9:10]
	s_mul_u64 s[4:5], s[30:31], s[34:35]
	s_mul_u64 s[6:7], s[14:15], s[34:35]
	s_wait_alu 0xfffe
	s_lshl_b64 s[4:5], s[4:5], 3
	s_add_nc_u64 s[22:23], s[16:17], s[6:7]
	s_wait_alu 0xfffe
	s_add_nc_u64 s[20:21], s[24:25], s[4:5]
	s_mov_b32 s53, s39
	v_mov_b32_e32 v2, v14
	s_delay_alu instid0(VALU_DEP_1)
	v_mad_co_u64_u32 v[14:15], null, s11, s34, v[2:3]
	v_mov_b32_e32 v15, v55
	s_wait_kmcnt 0x0
	s_lshl_b32 s52, s51, 5
	s_branch .LBB51_7
.LBB51_6:                               ;   in Loop: Header=BB51_7 Depth=2
	s_wait_alu 0xfffe
	s_or_b32 exec_lo, exec_lo, s4
	v_add_nc_u32_e32 v15, s52, v15
	s_add_co_i32 s53, s51, s53
	s_wait_alu 0xfffe
	s_cmp_gt_i32 s53, s48
	s_cbranch_scc1 .LBB51_3
.LBB51_7:                               ;   Parent Loop BB51_4 Depth=1
                                        ; =>  This Loop Header: Depth=2
                                        ;       Child Loop BB51_10 Depth 3
	s_wait_alu 0xfffe
	s_lshl_b32 s54, s53, 5
	v_mov_b32_e32 v39, 0
	s_wait_alu 0xfffe
	v_dual_mov_b32 v40, 0 :: v_dual_add_nc_u32 v17, s54, v0
	v_mov_b32_e32 v37, 0
	v_mov_b32_e32 v35, 0
	v_dual_mov_b32 v33, 0 :: v_dual_mov_b32 v38, 0
	v_mov_b32_e32 v36, 0
	v_mov_b32_e32 v34, 0
	v_ashrrev_i32_e32 v18, 31, v17
	s_cmp_lt_i32 s53, 0
	s_cbranch_scc1 .LBB51_46
; %bb.8:                                ;   in Loop: Header=BB51_7 Depth=2
	v_ashrrev_i32_e32 v16, 31, v15
	v_mul_lo_u32 v27, s19, v15
	v_add_co_u32 v23, s4, v17, 16
	s_wait_alu 0xf1ff
	v_add_co_ci_u32_e64 v24, null, 0, v18, s4
	v_lshlrev_b64_e32 v[19:20], 3, v[15:16]
	v_mul_lo_u32 v28, s18, v16
	v_add_co_u32 v25, s4, v53, v15
	s_wait_alu 0xf1ff
	v_add_co_ci_u32_e64 v26, null, v54, v16, s4
	s_delay_alu instid0(VALU_DEP_4) | instskip(SKIP_3) | instid1(VALU_DEP_3)
	v_add_co_u32 v2, vcc_lo, 0x80, v19
	s_wait_alu 0xfffd
	v_add_co_ci_u32_e64 v21, null, 0, v20, vcc_lo
	v_mad_co_u64_u32 v[19:20], null, s18, v15, s[22:23]
	v_mul_lo_u32 v30, s13, v2
	s_delay_alu instid0(VALU_DEP_3)
	v_mul_lo_u32 v29, s12, v21
	v_mad_co_u64_u32 v[21:22], null, s12, v2, s[22:23]
	v_mov_b32_e32 v33, 0
	v_mov_b32_e32 v37, 0
	v_add3_u32 v20, v27, v20, v28
	v_add_co_u32 v27, s5, v25, 16
	s_wait_alu 0xf1ff
	v_add_co_ci_u32_e64 v28, null, 0, v26, s5
	v_add3_u32 v22, v30, v22, v29
	v_add_co_u32 v29, s5, v25, -16
	v_cmp_le_i64_e64 s4, s[44:45], v[23:24]
	v_dual_mov_b32 v34, 0 :: v_dual_mov_b32 v35, 0
	v_dual_mov_b32 v38, 0 :: v_dual_mov_b32 v39, 0
	s_wait_alu 0xf1ff
	v_add_co_ci_u32_e64 v30, null, -1, v26, s5
	v_mov_b32_e32 v36, 0
	v_mov_b32_e32 v40, 0
	v_dual_mov_b32 v32, v14 :: v_dual_mov_b32 v31, v13
	s_mov_b64 s[36:37], 0
	v_cmp_le_i32_e32 vcc_lo, s38, v17
	s_branch .LBB51_10
.LBB51_9:                               ;   in Loop: Header=BB51_10 Depth=3
	s_wait_alu 0xfffe
	s_or_b32 exec_lo, exec_lo, s5
	s_wait_dscnt 0x0
	s_barrier_signal -1
	s_barrier_wait -1
	global_inv scope:SCOPE_SE
	ds_load_b128 v[41:44], v49
	ds_load_2addr_b64 v[60:63], v50 offset1:16
	ds_load_b128 v[64:67], v49 offset:4096
	ds_load_b128 v[68:71], v49 offset:16
	;; [unrolled: 1-line block ×3, first 2 shown]
	v_add_co_u32 v31, s5, v31, s26
	s_wait_alu 0xf1ff
	v_add_co_ci_u32_e64 v32, null, s27, v32, s5
	v_add_co_u32 v21, s5, 0x100, v21
	s_wait_alu 0xf1ff
	v_add_co_ci_u32_e64 v22, null, 0, v22, s5
	v_add_co_u32 v19, s5, 0x100, v19
	s_add_nc_u64 s[36:37], s[36:37], 32
	v_add_co_ci_u32_e64 v20, null, 0, v20, s5
	s_wait_alu 0xfffe
	s_sub_co_i32 s5, s36, 32
	s_wait_alu 0xfffe
	s_cmp_ge_i32 s5, s54
	s_wait_dscnt 0x3
	v_fma_f64 v[39:40], v[60:61], v[41:42], v[39:40]
	v_fma_f64 v[37:38], v[62:63], v[41:42], v[37:38]
	s_wait_dscnt 0x2
	v_fma_f64 v[41:42], v[60:61], v[64:65], v[35:36]
	v_fma_f64 v[45:46], v[62:63], v[64:65], v[33:34]
	ds_load_2addr_b64 v[33:36], v50 offset0:32 offset1:48
	s_wait_dscnt 0x0
	v_fma_f64 v[39:40], v[33:34], v[43:44], v[39:40]
	v_fma_f64 v[37:38], v[35:36], v[43:44], v[37:38]
	v_fma_f64 v[41:42], v[33:34], v[66:67], v[41:42]
	v_fma_f64 v[43:44], v[35:36], v[66:67], v[45:46]
	ds_load_2addr_b64 v[33:36], v50 offset0:64 offset1:80
	s_wait_dscnt 0x0
	v_fma_f64 v[39:40], v[33:34], v[68:69], v[39:40]
	v_fma_f64 v[37:38], v[35:36], v[68:69], v[37:38]
	v_fma_f64 v[41:42], v[33:34], v[72:73], v[41:42]
	v_fma_f64 v[43:44], v[35:36], v[72:73], v[43:44]
	ds_load_2addr_b64 v[33:36], v50 offset0:96 offset1:112
	s_wait_dscnt 0x0
	v_fma_f64 v[45:46], v[33:34], v[70:71], v[39:40]
	v_fma_f64 v[68:69], v[35:36], v[70:71], v[37:38]
	v_fma_f64 v[70:71], v[33:34], v[74:75], v[41:42]
	v_fma_f64 v[72:73], v[35:36], v[74:75], v[43:44]
	ds_load_b128 v[33:36], v49 offset:32
	ds_load_2addr_b64 v[37:40], v50 offset0:128 offset1:144
	ds_load_b128 v[41:44], v49 offset:4128
	ds_load_b128 v[60:63], v49 offset:48
	ds_load_b128 v[64:67], v49 offset:4144
	s_wait_dscnt 0x3
	v_fma_f64 v[45:46], v[37:38], v[33:34], v[45:46]
	v_fma_f64 v[33:34], v[39:40], v[33:34], v[68:69]
	s_wait_dscnt 0x2
	v_fma_f64 v[68:69], v[37:38], v[41:42], v[70:71]
	v_fma_f64 v[41:42], v[39:40], v[41:42], v[72:73]
	ds_load_2addr_b64 v[37:40], v50 offset0:160 offset1:176
	s_wait_dscnt 0x0
	v_fma_f64 v[45:46], v[37:38], v[35:36], v[45:46]
	v_fma_f64 v[70:71], v[39:40], v[35:36], v[33:34]
	v_fma_f64 v[37:38], v[37:38], v[43:44], v[68:69]
	v_fma_f64 v[39:40], v[39:40], v[43:44], v[41:42]
	ds_load_2addr_b64 v[33:36], v50 offset0:192 offset1:208
	s_wait_dscnt 0x0
	v_fma_f64 v[41:42], v[33:34], v[60:61], v[45:46]
	v_fma_f64 v[43:44], v[35:36], v[60:61], v[70:71]
	v_fma_f64 v[37:38], v[33:34], v[64:65], v[37:38]
	v_fma_f64 v[39:40], v[35:36], v[64:65], v[39:40]
	ds_load_2addr_b64 v[33:36], v50 offset0:224 offset1:240
	s_wait_dscnt 0x0
	v_fma_f64 v[45:46], v[33:34], v[62:63], v[41:42]
	v_fma_f64 v[68:69], v[35:36], v[62:63], v[43:44]
	v_fma_f64 v[70:71], v[33:34], v[66:67], v[37:38]
	v_fma_f64 v[72:73], v[35:36], v[66:67], v[39:40]
	ds_load_b128 v[33:36], v49 offset:64
	ds_load_2addr_b64 v[37:40], v57 offset1:16
	ds_load_b128 v[41:44], v49 offset:4160
	ds_load_b128 v[60:63], v49 offset:80
	ds_load_b128 v[64:67], v49 offset:4176
	s_wait_dscnt 0x3
	v_fma_f64 v[45:46], v[37:38], v[33:34], v[45:46]
	v_fma_f64 v[33:34], v[39:40], v[33:34], v[68:69]
	s_wait_dscnt 0x2
	v_fma_f64 v[68:69], v[37:38], v[41:42], v[70:71]
	v_fma_f64 v[41:42], v[39:40], v[41:42], v[72:73]
	ds_load_2addr_b64 v[37:40], v57 offset0:32 offset1:48
	s_wait_dscnt 0x0
	v_fma_f64 v[45:46], v[37:38], v[35:36], v[45:46]
	v_fma_f64 v[70:71], v[39:40], v[35:36], v[33:34]
	v_fma_f64 v[37:38], v[37:38], v[43:44], v[68:69]
	v_fma_f64 v[39:40], v[39:40], v[43:44], v[41:42]
	ds_load_2addr_b64 v[33:36], v57 offset0:64 offset1:80
	s_wait_dscnt 0x0
	v_fma_f64 v[41:42], v[33:34], v[60:61], v[45:46]
	v_fma_f64 v[43:44], v[35:36], v[60:61], v[70:71]
	v_fma_f64 v[37:38], v[33:34], v[64:65], v[37:38]
	v_fma_f64 v[39:40], v[35:36], v[64:65], v[39:40]
	ds_load_2addr_b64 v[33:36], v57 offset0:96 offset1:112
	s_wait_dscnt 0x0
	v_fma_f64 v[45:46], v[33:34], v[62:63], v[41:42]
	v_fma_f64 v[68:69], v[35:36], v[62:63], v[43:44]
	v_fma_f64 v[70:71], v[33:34], v[66:67], v[37:38]
	v_fma_f64 v[72:73], v[35:36], v[66:67], v[39:40]
	ds_load_b128 v[33:36], v49 offset:96
	ds_load_2addr_b64 v[37:40], v57 offset0:128 offset1:144
	ds_load_b128 v[41:44], v49 offset:4192
	ds_load_b128 v[60:63], v49 offset:112
	ds_load_b128 v[64:67], v49 offset:4208
	s_wait_dscnt 0x3
	v_fma_f64 v[45:46], v[37:38], v[33:34], v[45:46]
	v_fma_f64 v[33:34], v[39:40], v[33:34], v[68:69]
	s_wait_dscnt 0x2
	v_fma_f64 v[68:69], v[37:38], v[41:42], v[70:71]
	v_fma_f64 v[41:42], v[39:40], v[41:42], v[72:73]
	ds_load_2addr_b64 v[37:40], v57 offset0:160 offset1:176
	s_wait_dscnt 0x0
	v_fma_f64 v[45:46], v[37:38], v[35:36], v[45:46]
	v_fma_f64 v[70:71], v[39:40], v[35:36], v[33:34]
	v_fma_f64 v[37:38], v[37:38], v[43:44], v[68:69]
	v_fma_f64 v[39:40], v[39:40], v[43:44], v[41:42]
	ds_load_2addr_b64 v[33:36], v57 offset0:192 offset1:208
	s_wait_dscnt 0x0
	v_fma_f64 v[41:42], v[33:34], v[60:61], v[45:46]
	v_fma_f64 v[43:44], v[35:36], v[60:61], v[70:71]
	v_fma_f64 v[37:38], v[33:34], v[64:65], v[37:38]
	v_fma_f64 v[39:40], v[35:36], v[64:65], v[39:40]
	ds_load_2addr_b64 v[33:36], v57 offset0:224 offset1:240
	s_wait_dscnt 0x0
	v_fma_f64 v[45:46], v[33:34], v[62:63], v[41:42]
	v_fma_f64 v[68:69], v[35:36], v[62:63], v[43:44]
	v_fma_f64 v[70:71], v[33:34], v[66:67], v[37:38]
	v_fma_f64 v[72:73], v[35:36], v[66:67], v[39:40]
	ds_load_b128 v[33:36], v49 offset:128
	ds_load_2addr_b64 v[37:40], v58 offset1:16
	ds_load_b128 v[41:44], v49 offset:4224
	ds_load_b128 v[60:63], v49 offset:144
	ds_load_b128 v[64:67], v49 offset:4240
	;; [unrolled: 58-line block ×3, first 2 shown]
	s_wait_dscnt 0x3
	v_fma_f64 v[45:46], v[37:38], v[33:34], v[45:46]
	v_fma_f64 v[33:34], v[39:40], v[33:34], v[68:69]
	s_wait_dscnt 0x2
	v_fma_f64 v[68:69], v[37:38], v[41:42], v[70:71]
	v_fma_f64 v[41:42], v[39:40], v[41:42], v[72:73]
	ds_load_2addr_b64 v[37:40], v59 offset0:32 offset1:48
	s_wait_dscnt 0x0
	v_fma_f64 v[45:46], v[37:38], v[35:36], v[45:46]
	v_fma_f64 v[70:71], v[39:40], v[35:36], v[33:34]
	v_fma_f64 v[37:38], v[37:38], v[43:44], v[68:69]
	v_fma_f64 v[39:40], v[39:40], v[43:44], v[41:42]
	ds_load_2addr_b64 v[33:36], v59 offset0:64 offset1:80
	s_wait_dscnt 0x0
	v_fma_f64 v[41:42], v[33:34], v[60:61], v[45:46]
	v_fma_f64 v[43:44], v[35:36], v[60:61], v[70:71]
	;; [unrolled: 6-line block ×3, first 2 shown]
	v_fma_f64 v[70:71], v[33:34], v[66:67], v[37:38]
	v_fma_f64 v[72:73], v[35:36], v[66:67], v[39:40]
	ds_load_b128 v[33:36], v49 offset:224
	ds_load_2addr_b64 v[37:40], v59 offset0:128 offset1:144
	ds_load_b128 v[41:44], v49 offset:4320
	ds_load_b128 v[60:63], v49 offset:240
	;; [unrolled: 1-line block ×3, first 2 shown]
	s_wait_dscnt 0x3
	v_fma_f64 v[45:46], v[37:38], v[33:34], v[45:46]
	v_fma_f64 v[33:34], v[39:40], v[33:34], v[68:69]
	s_wait_dscnt 0x2
	v_fma_f64 v[68:69], v[37:38], v[41:42], v[70:71]
	v_fma_f64 v[41:42], v[39:40], v[41:42], v[72:73]
	ds_load_2addr_b64 v[37:40], v59 offset0:160 offset1:176
	s_wait_dscnt 0x0
	v_fma_f64 v[45:46], v[37:38], v[35:36], v[45:46]
	v_fma_f64 v[70:71], v[39:40], v[35:36], v[33:34]
	;; [unrolled: 1-line block ×4, first 2 shown]
	ds_load_2addr_b64 v[33:36], v59 offset0:192 offset1:208
	ds_load_2addr_b64 v[41:44], v59 offset0:224 offset1:240
	s_wait_loadcnt_dscnt 0x0
	s_barrier_signal -1
	s_barrier_wait -1
	global_inv scope:SCOPE_SE
	v_fma_f64 v[45:46], v[33:34], v[60:61], v[45:46]
	v_fma_f64 v[60:61], v[35:36], v[60:61], v[70:71]
	;; [unrolled: 1-line block ×4, first 2 shown]
	s_delay_alu instid0(VALU_DEP_4) | instskip(NEXT) | instid1(VALU_DEP_4)
	v_fma_f64 v[39:40], v[41:42], v[62:63], v[45:46]
	v_fma_f64 v[37:38], v[43:44], v[62:63], v[60:61]
	s_delay_alu instid0(VALU_DEP_4) | instskip(NEXT) | instid1(VALU_DEP_4)
	v_fma_f64 v[35:36], v[41:42], v[66:67], v[33:34]
	v_fma_f64 v[33:34], v[43:44], v[66:67], v[64:65]
	s_cbranch_scc1 .LBB51_46
.LBB51_10:                              ;   Parent Loop BB51_4 Depth=1
                                        ;     Parent Loop BB51_7 Depth=2
                                        ; =>    This Inner Loop Header: Depth=3
	s_wait_alu 0xfffe
	v_add_co_u32 v41, s5, v47, s36
	s_wait_alu 0xf1ff
	v_add_co_ci_u32_e64 v42, null, 0, s37, s5
	v_cmp_eq_u64_e64 s7, s[36:37], v[25:26]
                                        ; implicit-def: $vgpr45_vgpr46
	s_delay_alu instid0(VALU_DEP_2)
	v_cmp_gt_i64_e64 s5, v[41:42], v[17:18]
	v_cmp_le_i64_e64 s6, s[44:45], v[41:42]
	s_and_b32 s55, s50, s7
	v_add_co_u32 v43, s7, v19, v48
	s_or_b32 s8, vcc_lo, s5
	v_add_co_ci_u32_e64 v44, null, 0, v20, s7
	s_wait_alu 0xfffe
	s_or_b32 s7, s8, s55
	s_wait_alu 0xfffe
	s_nor_b32 s7, s6, s7
	s_wait_alu 0xfffe
	s_and_saveexec_b32 s8, s7
	s_wait_alu 0xfffe
	s_xor_b32 s7, exec_lo, s8
	s_cbranch_execz .LBB51_12
; %bb.11:                               ;   in Loop: Header=BB51_10 Depth=3
	global_load_b64 v[45:46], v[43:44], off
.LBB51_12:                              ;   in Loop: Header=BB51_10 Depth=3
	s_wait_alu 0xfffe
	s_and_not1_saveexec_b32 s7, s7
	s_cbranch_execz .LBB51_14
; %bb.13:                               ;   in Loop: Header=BB51_10 Depth=3
	v_cndmask_b32_e64 v2, 0, 0x3ff00000, s55
	s_wait_loadcnt 0x0
	s_delay_alu instid0(VALU_DEP_1)
	v_dual_mov_b32 v46, v2 :: v_dual_mov_b32 v45, v1
.LBB51_14:                              ;   in Loop: Header=BB51_10 Depth=3
	s_wait_alu 0xfffe
	s_or_b32 exec_lo, exec_lo, s7
	v_add_co_u32 v60, s7, v41, 16
	s_wait_alu 0xf1ff
	v_add_co_ci_u32_e64 v61, null, 0, v42, s7
	v_cmp_eq_u64_e64 s8, s[36:37], v[29:30]
	s_wait_loadcnt 0x0
	ds_store_b64 v51, v[45:46]
	v_cmp_gt_i64_e64 s9, v[60:61], v[17:18]
	v_cmp_le_i64_e64 s7, s[44:45], v[60:61]
	s_and_b32 s56, s50, s8
	s_or_b32 s8, vcc_lo, s9
	s_wait_alu 0xfffe
	s_or_b32 s8, s8, s56
	s_wait_alu 0xfffe
	s_nor_b32 s8, s7, s8
	s_wait_alu 0xfffe
	s_and_saveexec_b32 s9, s8
	s_wait_alu 0xfffe
	s_xor_b32 s8, exec_lo, s9
	s_cbranch_execz .LBB51_16
; %bb.15:                               ;   in Loop: Header=BB51_10 Depth=3
	global_load_b64 v[43:44], v[43:44], off offset:128
	s_wait_loadcnt 0x0
	ds_store_b64 v51, v[43:44] offset:128
.LBB51_16:                              ;   in Loop: Header=BB51_10 Depth=3
	s_wait_alu 0xfffe
	s_and_not1_saveexec_b32 s8, s8
	s_cbranch_execz .LBB51_22
; %bb.17:                               ;   in Loop: Header=BB51_10 Depth=3
	s_xor_b32 s9, s56, -1
	s_wait_alu 0xfffe
	s_and_saveexec_b32 s56, s9
	s_wait_alu 0xfffe
	s_xor_b32 s9, exec_lo, s56
; %bb.18:                               ;   in Loop: Header=BB51_10 Depth=3
	v_mov_b32_e32 v2, v1
	ds_store_b64 v51, v[1:2] offset:128
; %bb.19:                               ;   in Loop: Header=BB51_10 Depth=3
	s_wait_alu 0xfffe
	s_and_not1_saveexec_b32 s9, s9
; %bb.20:                               ;   in Loop: Header=BB51_10 Depth=3
	v_mov_b32_e32 v2, v56
	ds_store_b64 v51, v[1:2] offset:128
; %bb.21:                               ;   in Loop: Header=BB51_10 Depth=3
	s_wait_alu 0xfffe
	s_or_b32 exec_lo, exec_lo, s9
.LBB51_22:                              ;   in Loop: Header=BB51_10 Depth=3
	s_wait_alu 0xfffe
	s_or_b32 exec_lo, exec_lo, s8
	v_cmp_eq_u64_e64 s8, s[36:37], v[27:28]
	v_cmp_gt_i64_e64 s9, v[41:42], v[23:24]
                                        ; implicit-def: $vgpr43_vgpr44
	s_and_b32 s56, s50, s8
	v_add_co_u32 v41, s8, v21, v48
	s_or_b32 s9, s4, s9
	v_add_co_ci_u32_e64 v42, null, 0, v22, s8
	s_wait_alu 0xfffe
	s_or_b32 s8, s9, s56
	s_wait_alu 0xfffe
	s_nor_b32 s6, s6, s8
	s_wait_alu 0xfffe
	s_and_saveexec_b32 s8, s6
	s_wait_alu 0xfffe
	s_xor_b32 s6, exec_lo, s8
	s_cbranch_execz .LBB51_24
; %bb.23:                               ;   in Loop: Header=BB51_10 Depth=3
	global_load_b64 v[43:44], v[41:42], off
.LBB51_24:                              ;   in Loop: Header=BB51_10 Depth=3
	s_wait_alu 0xfffe
	s_and_not1_saveexec_b32 s6, s6
	s_cbranch_execz .LBB51_26
; %bb.25:                               ;   in Loop: Header=BB51_10 Depth=3
	v_cndmask_b32_e64 v2, 0, 0x3ff00000, s56
	s_wait_loadcnt 0x0
	s_delay_alu instid0(VALU_DEP_1)
	v_dual_mov_b32 v44, v2 :: v_dual_mov_b32 v43, v1
.LBB51_26:                              ;   in Loop: Header=BB51_10 Depth=3
	s_wait_alu 0xfffe
	s_or_b32 exec_lo, exec_lo, s6
	s_or_b32 s5, s4, s5
	s_wait_loadcnt 0x0
	ds_store_b64 v51, v[43:44] offset:4096
	s_wait_alu 0xfffe
	s_or_b32 s5, s5, s55
	s_wait_alu 0xfffe
	s_nor_b32 s5, s7, s5
	s_wait_alu 0xfffe
	s_and_saveexec_b32 s6, s5
	s_wait_alu 0xfffe
	s_xor_b32 s5, exec_lo, s6
	s_cbranch_execz .LBB51_28
; %bb.27:                               ;   in Loop: Header=BB51_10 Depth=3
	global_load_b64 v[41:42], v[41:42], off offset:128
	s_wait_loadcnt 0x0
	ds_store_b64 v51, v[41:42] offset:4224
.LBB51_28:                              ;   in Loop: Header=BB51_10 Depth=3
	s_wait_alu 0xfffe
	s_and_not1_saveexec_b32 s5, s5
	s_cbranch_execz .LBB51_34
; %bb.29:                               ;   in Loop: Header=BB51_10 Depth=3
	s_xor_b32 s6, s55, -1
	s_wait_alu 0xfffe
	s_and_saveexec_b32 s7, s6
	s_wait_alu 0xfffe
	s_xor_b32 s6, exec_lo, s7
; %bb.30:                               ;   in Loop: Header=BB51_10 Depth=3
	v_mov_b32_e32 v2, v1
	ds_store_b64 v51, v[1:2] offset:4224
; %bb.31:                               ;   in Loop: Header=BB51_10 Depth=3
	s_wait_alu 0xfffe
	s_and_not1_saveexec_b32 s6, s6
; %bb.32:                               ;   in Loop: Header=BB51_10 Depth=3
	v_mov_b32_e32 v2, v56
	ds_store_b64 v51, v[1:2] offset:4224
; %bb.33:                               ;   in Loop: Header=BB51_10 Depth=3
	s_wait_alu 0xfffe
	s_or_b32 exec_lo, exec_lo, s6
.LBB51_34:                              ;   in Loop: Header=BB51_10 Depth=3
	s_wait_alu 0xfffe
	s_or_b32 exec_lo, exec_lo, s5
	v_add_co_u32 v41, s5, v0, s36
	s_wait_alu 0xf1ff
	v_add_co_ci_u32_e64 v42, null, 0, s37, s5
	v_add_co_u32 v43, s6, v31, v7
	v_mov_b32_e32 v45, 0
	s_delay_alu instid0(VALU_DEP_3)
	v_cmp_le_i64_e64 s5, s[44:45], v[41:42]
	v_mov_b32_e32 v46, 0
	s_wait_alu 0xf1ff
	v_add_co_ci_u32_e64 v44, null, v32, v8, s6
	s_nor_b32 s7, s5, s0
	s_wait_alu 0xfffe
	s_and_saveexec_b32 s6, s7
	s_cbranch_execz .LBB51_36
; %bb.35:                               ;   in Loop: Header=BB51_10 Depth=3
	global_load_b64 v[45:46], v[43:44], off offset:-128
.LBB51_36:                              ;   in Loop: Header=BB51_10 Depth=3
	s_wait_alu 0xfffe
	s_or_b32 exec_lo, exec_lo, s6
	s_nor_b32 s5, s5, s1
	s_wait_loadcnt 0x0
	ds_store_b64 v52, v[45:46]
	s_wait_alu 0xfffe
	s_and_saveexec_b32 s6, s5
	s_wait_alu 0xfffe
	s_xor_b32 s5, exec_lo, s6
	s_cbranch_execz .LBB51_38
; %bb.37:                               ;   in Loop: Header=BB51_10 Depth=3
	global_load_b64 v[43:44], v[43:44], off
	s_wait_loadcnt 0x0
	ds_store_b64 v52, v[43:44] offset:128
.LBB51_38:                              ;   in Loop: Header=BB51_10 Depth=3
	s_wait_alu 0xfffe
	s_and_not1_saveexec_b32 s5, s5
; %bb.39:                               ;   in Loop: Header=BB51_10 Depth=3
	v_mov_b32_e32 v2, v1
	ds_store_b64 v52, v[1:2] offset:128
; %bb.40:                               ;   in Loop: Header=BB51_10 Depth=3
	s_wait_alu 0xfffe
	s_or_b32 exec_lo, exec_lo, s5
	v_cmp_le_i64_e64 s5, s[46:47], v[41:42]
	v_add_co_u32 v41, s6, v31, v3
	v_mov_b32_e32 v43, 0
	v_mov_b32_e32 v44, 0
	s_wait_alu 0xf1ff
	v_add_co_ci_u32_e64 v42, null, v32, v4, s6
	s_nor_b32 s7, s5, s0
	s_wait_alu 0xfffe
	s_and_saveexec_b32 s6, s7
	s_cbranch_execz .LBB51_42
; %bb.41:                               ;   in Loop: Header=BB51_10 Depth=3
	global_load_b64 v[43:44], v[41:42], off offset:-128
.LBB51_42:                              ;   in Loop: Header=BB51_10 Depth=3
	s_wait_alu 0xfffe
	s_or_b32 exec_lo, exec_lo, s6
	s_nor_b32 s5, s5, s1
	s_wait_loadcnt 0x0
	ds_store_b64 v52, v[43:44] offset:4096
	s_wait_alu 0xfffe
	s_and_saveexec_b32 s6, s5
	s_wait_alu 0xfffe
	s_xor_b32 s5, exec_lo, s6
	s_cbranch_execz .LBB51_44
; %bb.43:                               ;   in Loop: Header=BB51_10 Depth=3
	global_load_b64 v[41:42], v[41:42], off
	s_wait_loadcnt 0x0
	ds_store_b64 v52, v[41:42] offset:4224
.LBB51_44:                              ;   in Loop: Header=BB51_10 Depth=3
	s_wait_alu 0xfffe
	s_and_not1_saveexec_b32 s5, s5
	s_cbranch_execz .LBB51_9
; %bb.45:                               ;   in Loop: Header=BB51_10 Depth=3
	v_mov_b32_e32 v2, v1
	ds_store_b64 v52, v[1:2] offset:4224
	s_branch .LBB51_9
.LBB51_46:                              ;   in Loop: Header=BB51_7 Depth=2
	v_mul_lo_u32 v2, s29, v17
	s_delay_alu instid0(VALU_DEP_2) | instskip(SKIP_2) | instid1(VALU_DEP_2)
	v_mul_lo_u32 v16, s28, v18
	v_mad_co_u64_u32 v[18:19], null, s28, v17, 0
	v_cmp_gt_i32_e32 vcc_lo, s38, v17
	v_add3_u32 v19, v19, v16, v2
	s_delay_alu instid0(VALU_DEP_1) | instskip(NEXT) | instid1(VALU_DEP_1)
	v_lshlrev_b64_e32 v[18:19], 3, v[18:19]
	v_add_co_u32 v2, s4, s20, v18
	s_wait_alu 0xf1ff
	s_delay_alu instid0(VALU_DEP_2)
	v_add_co_ci_u32_e64 v16, null, s21, v19, s4
	s_and_b32 s4, s2, vcc_lo
	s_wait_alu 0xfffe
	s_and_saveexec_b32 s5, s4
	s_cbranch_execz .LBB51_48
; %bb.47:                               ;   in Loop: Header=BB51_7 Depth=2
	v_add_co_u32 v18, s4, v2, v5
	s_wait_alu 0xf1ff
	v_add_co_ci_u32_e64 v19, null, v16, v6, s4
	global_load_b64 v[20:21], v[18:19], off
	s_wait_loadcnt 0x0
	v_fma_f64 v[20:21], s[40:41], v[39:40], v[20:21]
	global_store_b64 v[18:19], v[20:21], off
.LBB51_48:                              ;   in Loop: Header=BB51_7 Depth=2
	s_wait_alu 0xfffe
	s_or_b32 exec_lo, exec_lo, s5
	s_and_b32 s5, s3, vcc_lo
	s_wait_alu 0xfffe
	s_and_saveexec_b32 s4, s5
	s_cbranch_execz .LBB51_50
; %bb.49:                               ;   in Loop: Header=BB51_7 Depth=2
	v_add_co_u32 v18, vcc_lo, v2, v11
	s_wait_alu 0xfffd
	v_add_co_ci_u32_e64 v19, null, v16, v12, vcc_lo
	global_load_b64 v[20:21], v[18:19], off
	s_wait_loadcnt 0x0
	v_fma_f64 v[20:21], s[40:41], v[37:38], v[20:21]
	global_store_b64 v[18:19], v[20:21], off
.LBB51_50:                              ;   in Loop: Header=BB51_7 Depth=2
	s_wait_alu 0xfffe
	s_or_b32 exec_lo, exec_lo, s4
	v_add_nc_u32_e32 v2, 16, v17
	s_delay_alu instid0(VALU_DEP_1) | instskip(SKIP_3) | instid1(VALU_DEP_4)
	v_ashrrev_i32_e32 v18, 31, v2
	v_mul_lo_u32 v19, s29, v2
	v_mad_co_u64_u32 v[16:17], null, s28, v2, 0
	v_cmp_gt_i32_e32 vcc_lo, s38, v2
	v_mul_lo_u32 v18, s28, v18
	s_delay_alu instid0(VALU_DEP_1) | instskip(NEXT) | instid1(VALU_DEP_1)
	v_add3_u32 v17, v17, v18, v19
	v_lshlrev_b64_e32 v[16:17], 3, v[16:17]
	s_delay_alu instid0(VALU_DEP_1) | instskip(SKIP_1) | instid1(VALU_DEP_2)
	v_add_co_u32 v2, s4, s20, v16
	s_wait_alu 0xf1ff
	v_add_co_ci_u32_e64 v16, null, s21, v17, s4
	s_and_b32 s4, s2, vcc_lo
	s_wait_alu 0xfffe
	s_and_saveexec_b32 s5, s4
	s_cbranch_execz .LBB51_52
; %bb.51:                               ;   in Loop: Header=BB51_7 Depth=2
	v_add_co_u32 v17, s4, v2, v5
	s_wait_alu 0xf1ff
	v_add_co_ci_u32_e64 v18, null, v16, v6, s4
	global_load_b64 v[19:20], v[17:18], off
	s_wait_loadcnt 0x0
	v_fma_f64 v[19:20], s[40:41], v[35:36], v[19:20]
	global_store_b64 v[17:18], v[19:20], off
.LBB51_52:                              ;   in Loop: Header=BB51_7 Depth=2
	s_wait_alu 0xfffe
	s_or_b32 exec_lo, exec_lo, s5
	s_and_b32 s5, s3, vcc_lo
	s_wait_alu 0xfffe
	s_and_saveexec_b32 s4, s5
	s_cbranch_execz .LBB51_6
; %bb.53:                               ;   in Loop: Header=BB51_7 Depth=2
	v_add_co_u32 v17, vcc_lo, v2, v11
	s_wait_alu 0xfffd
	v_add_co_ci_u32_e64 v18, null, v16, v12, vcc_lo
	global_load_b64 v[19:20], v[17:18], off
	s_wait_loadcnt 0x0
	v_fma_f64 v[19:20], s[40:41], v[33:34], v[19:20]
	global_store_b64 v[17:18], v[19:20], off
	s_branch .LBB51_6
.LBB51_54:
	s_endpgm
	.section	.rodata,"a",@progbits
	.p2align	6, 0x0
	.amdhsa_kernel _ZL30rocblas_trmm_outofplace_kernelIdLi32ELi2ELb0ELb1ELb0ELb0EdKddEv17rocblas_diagonal_iiT6_lPT7_lllS4_lllPT8_llli
		.amdhsa_group_segment_fixed_size 16384
		.amdhsa_private_segment_fixed_size 0
		.amdhsa_kernarg_size 392
		.amdhsa_user_sgpr_count 2
		.amdhsa_user_sgpr_dispatch_ptr 0
		.amdhsa_user_sgpr_queue_ptr 0
		.amdhsa_user_sgpr_kernarg_segment_ptr 1
		.amdhsa_user_sgpr_dispatch_id 0
		.amdhsa_user_sgpr_private_segment_size 0
		.amdhsa_wavefront_size32 1
		.amdhsa_uses_dynamic_stack 0
		.amdhsa_enable_private_segment 0
		.amdhsa_system_sgpr_workgroup_id_x 1
		.amdhsa_system_sgpr_workgroup_id_y 1
		.amdhsa_system_sgpr_workgroup_id_z 1
		.amdhsa_system_sgpr_workgroup_info 0
		.amdhsa_system_vgpr_workitem_id 1
		.amdhsa_next_free_vgpr 76
		.amdhsa_next_free_sgpr 57
		.amdhsa_reserve_vcc 1
		.amdhsa_float_round_mode_32 0
		.amdhsa_float_round_mode_16_64 0
		.amdhsa_float_denorm_mode_32 3
		.amdhsa_float_denorm_mode_16_64 3
		.amdhsa_fp16_overflow 0
		.amdhsa_workgroup_processor_mode 1
		.amdhsa_memory_ordered 1
		.amdhsa_forward_progress 1
		.amdhsa_inst_pref_size 34
		.amdhsa_round_robin_scheduling 0
		.amdhsa_exception_fp_ieee_invalid_op 0
		.amdhsa_exception_fp_denorm_src 0
		.amdhsa_exception_fp_ieee_div_zero 0
		.amdhsa_exception_fp_ieee_overflow 0
		.amdhsa_exception_fp_ieee_underflow 0
		.amdhsa_exception_fp_ieee_inexact 0
		.amdhsa_exception_int_div_zero 0
	.end_amdhsa_kernel
	.section	.text._ZL30rocblas_trmm_outofplace_kernelIdLi32ELi2ELb0ELb1ELb0ELb0EdKddEv17rocblas_diagonal_iiT6_lPT7_lllS4_lllPT8_llli,"axG",@progbits,_ZL30rocblas_trmm_outofplace_kernelIdLi32ELi2ELb0ELb1ELb0ELb0EdKddEv17rocblas_diagonal_iiT6_lPT7_lllS4_lllPT8_llli,comdat
.Lfunc_end51:
	.size	_ZL30rocblas_trmm_outofplace_kernelIdLi32ELi2ELb0ELb1ELb0ELb0EdKddEv17rocblas_diagonal_iiT6_lPT7_lllS4_lllPT8_llli, .Lfunc_end51-_ZL30rocblas_trmm_outofplace_kernelIdLi32ELi2ELb0ELb1ELb0ELb0EdKddEv17rocblas_diagonal_iiT6_lPT7_lllS4_lllPT8_llli
                                        ; -- End function
	.set _ZL30rocblas_trmm_outofplace_kernelIdLi32ELi2ELb0ELb1ELb0ELb0EdKddEv17rocblas_diagonal_iiT6_lPT7_lllS4_lllPT8_llli.num_vgpr, 76
	.set _ZL30rocblas_trmm_outofplace_kernelIdLi32ELi2ELb0ELb1ELb0ELb0EdKddEv17rocblas_diagonal_iiT6_lPT7_lllS4_lllPT8_llli.num_agpr, 0
	.set _ZL30rocblas_trmm_outofplace_kernelIdLi32ELi2ELb0ELb1ELb0ELb0EdKddEv17rocblas_diagonal_iiT6_lPT7_lllS4_lllPT8_llli.numbered_sgpr, 57
	.set _ZL30rocblas_trmm_outofplace_kernelIdLi32ELi2ELb0ELb1ELb0ELb0EdKddEv17rocblas_diagonal_iiT6_lPT7_lllS4_lllPT8_llli.num_named_barrier, 0
	.set _ZL30rocblas_trmm_outofplace_kernelIdLi32ELi2ELb0ELb1ELb0ELb0EdKddEv17rocblas_diagonal_iiT6_lPT7_lllS4_lllPT8_llli.private_seg_size, 0
	.set _ZL30rocblas_trmm_outofplace_kernelIdLi32ELi2ELb0ELb1ELb0ELb0EdKddEv17rocblas_diagonal_iiT6_lPT7_lllS4_lllPT8_llli.uses_vcc, 1
	.set _ZL30rocblas_trmm_outofplace_kernelIdLi32ELi2ELb0ELb1ELb0ELb0EdKddEv17rocblas_diagonal_iiT6_lPT7_lllS4_lllPT8_llli.uses_flat_scratch, 0
	.set _ZL30rocblas_trmm_outofplace_kernelIdLi32ELi2ELb0ELb1ELb0ELb0EdKddEv17rocblas_diagonal_iiT6_lPT7_lllS4_lllPT8_llli.has_dyn_sized_stack, 0
	.set _ZL30rocblas_trmm_outofplace_kernelIdLi32ELi2ELb0ELb1ELb0ELb0EdKddEv17rocblas_diagonal_iiT6_lPT7_lllS4_lllPT8_llli.has_recursion, 0
	.set _ZL30rocblas_trmm_outofplace_kernelIdLi32ELi2ELb0ELb1ELb0ELb0EdKddEv17rocblas_diagonal_iiT6_lPT7_lllS4_lllPT8_llli.has_indirect_call, 0
	.section	.AMDGPU.csdata,"",@progbits
; Kernel info:
; codeLenInByte = 4288
; TotalNumSgprs: 59
; NumVgprs: 76
; ScratchSize: 0
; MemoryBound: 0
; FloatMode: 240
; IeeeMode: 1
; LDSByteSize: 16384 bytes/workgroup (compile time only)
; SGPRBlocks: 0
; VGPRBlocks: 9
; NumSGPRsForWavesPerEU: 59
; NumVGPRsForWavesPerEU: 76
; Occupancy: 16
; WaveLimiterHint : 0
; COMPUTE_PGM_RSRC2:SCRATCH_EN: 0
; COMPUTE_PGM_RSRC2:USER_SGPR: 2
; COMPUTE_PGM_RSRC2:TRAP_HANDLER: 0
; COMPUTE_PGM_RSRC2:TGID_X_EN: 1
; COMPUTE_PGM_RSRC2:TGID_Y_EN: 1
; COMPUTE_PGM_RSRC2:TGID_Z_EN: 1
; COMPUTE_PGM_RSRC2:TIDIG_COMP_CNT: 1
	.section	.text._ZL30rocblas_trmm_outofplace_kernelIdLi32ELi2ELb0ELb0ELb1ELb0EPKdS0_dEv17rocblas_diagonal_iiT6_lPT7_lllS5_lllPT8_llli,"axG",@progbits,_ZL30rocblas_trmm_outofplace_kernelIdLi32ELi2ELb0ELb0ELb1ELb0EPKdS0_dEv17rocblas_diagonal_iiT6_lPT7_lllS5_lllPT8_llli,comdat
	.globl	_ZL30rocblas_trmm_outofplace_kernelIdLi32ELi2ELb0ELb0ELb1ELb0EPKdS0_dEv17rocblas_diagonal_iiT6_lPT7_lllS5_lllPT8_llli ; -- Begin function _ZL30rocblas_trmm_outofplace_kernelIdLi32ELi2ELb0ELb0ELb1ELb0EPKdS0_dEv17rocblas_diagonal_iiT6_lPT7_lllS5_lllPT8_llli
	.p2align	8
	.type	_ZL30rocblas_trmm_outofplace_kernelIdLi32ELi2ELb0ELb0ELb1ELb0EPKdS0_dEv17rocblas_diagonal_iiT6_lPT7_lllS5_lllPT8_llli,@function
_ZL30rocblas_trmm_outofplace_kernelIdLi32ELi2ELb0ELb0ELb1ELb0EPKdS0_dEv17rocblas_diagonal_iiT6_lPT7_lllS5_lllPT8_llli: ; @_ZL30rocblas_trmm_outofplace_kernelIdLi32ELi2ELb0ELb0ELb1ELb0EPKdS0_dEv17rocblas_diagonal_iiT6_lPT7_lllS5_lllPT8_llli
; %bb.0:
	s_load_b32 s33, s[0:1], 0x80
	s_lshr_b32 s34, ttmp7, 16
	s_wait_kmcnt 0x0
	s_cmp_ge_u32 s34, s33
	s_cbranch_scc1 .LBB52_55
; %bb.1:
	s_clause 0x1
	s_load_b96 s[36:38], s[0:1], 0x0
	s_load_b256 s[4:11], s[0:1], 0x50
	v_bfe_u32 v59, v0, 10, 10
	s_clause 0x1
	s_load_b512 s[12:27], s[0:1], 0x10
	s_load_b128 s[28:31], s[0:1], 0x70
	s_add_nc_u64 s[40:41], s[0:1], 0x88
	s_and_b32 s39, ttmp7, 0xffff
	v_mov_b32_e32 v67, 0x3ff00000
	v_lshl_add_u32 v13, v59, 3, 0x80
	v_lshl_add_u32 v66, s39, 5, v59
	s_mov_b32 s35, 0
	s_wait_kmcnt 0x0
	s_add_co_i32 s0, s38, -1
	v_mad_co_u64_u32 v[6:7], null, s4, v59, 0
	v_and_b32_e32 v58, 0x3ff, v0
	s_ashr_i32 s1, s0, 31
	s_delay_alu instid0(SALU_CYCLE_1) | instskip(NEXT) | instid1(VALU_DEP_1)
	s_lshr_b32 s1, s1, 27
	v_lshl_add_u32 v8, ttmp9, 5, v58
	s_add_co_i32 s2, s0, s1
	s_lshl_b64 s[0:1], s[10:11], 3
	s_ashr_i32 s50, s2, 5
	s_wait_alu 0xfffe
	s_add_nc_u64 s[42:43], s[8:9], s[0:1]
	s_cmp_le_i32 s39, s50
	v_ashrrev_i32_e32 v9, 31, v8
	s_cselect_b32 s51, -1, 0
	s_cmp_eq_u32 s36, 0x84
	v_sub_co_u32 v1, vcc_lo, s37, v8
	s_cselect_b32 s36, -1, 0
	s_ashr_i32 s0, s37, 31
	v_cmp_gt_i32_e64 s2, s37, v8
	s_wait_alu 0xfffe
	v_sub_co_ci_u32_e64 v2, null, s0, v9, vcc_lo
	s_mov_b32 s10, s38
	s_ashr_i32 s11, s38, 31
	s_lshl_b64 s[44:45], s[20:21], 8
	v_cmp_gt_i64_e64 s0, 1, v[1:2]
	v_cmp_gt_i64_e64 s1, 17, v[1:2]
	v_mov_b32_e32 v1, v7
	v_mad_co_u64_u32 v[10:11], null, s20, v58, 0
	v_sub_co_u32 v64, s8, 0, v58
	s_delay_alu instid0(VALU_DEP_3)
	v_mad_co_u64_u32 v[1:2], null, s5, v59, v[1:2]
	v_lshlrev_b32_e32 v4, 3, v58
	v_lshlrev_b32_e32 v60, 8, v59
	v_sub_co_ci_u32_e64 v65, null, 0, 0, s8
	s_lshl_b64 s[8:9], s[18:19], 3
	v_mad_co_u64_u32 v[2:3], null, s4, v13, 0
	v_dual_mov_b32 v7, v1 :: v_dual_add_nc_u32 v16, 0x80, v4
	s_wait_alu 0xfffe
	s_add_nc_u64 s[8:9], s[16:17], s[8:9]
	v_or_b32_e32 v61, 0x2000, v4
	v_dual_mov_b32 v1, v11 :: v_dual_add_nc_u32 v62, v60, v4
	s_wait_alu 0xfffe
	v_mad_co_u64_u32 v[4:5], null, s20, v16, s[8:9]
	s_lshl_b64 s[16:17], s[26:27], 3
	v_mad_co_u64_u32 v[11:12], null, s21, v58, v[1:2]
	s_add_nc_u64 s[16:17], s[24:25], s[16:17]
	v_lshlrev_b64_e32 v[6:7], 3, v[6:7]
	v_dual_mov_b32 v0, 0 :: v_dual_add_nc_u32 v63, v61, v60
	v_mad_co_u64_u32 v[12:13], null, s5, v13, v[3:4]
	v_add_nc_u32_e32 v14, 16, v8
	v_lshlrev_b64_e32 v[8:9], 3, v[8:9]
	v_dual_mov_b32 v1, v5 :: v_dual_add_nc_u32 v68, 0x800, v61
	v_add_nc_u32_e32 v69, 0x1000, v61
	v_add_nc_u32_e32 v70, 0x1800, v61
	s_lshl_b64 s[46:47], s[4:5], 8
	s_delay_alu instid0(VALU_DEP_3) | instskip(SKIP_4) | instid1(VALU_DEP_3)
	v_mad_co_u64_u32 v[16:17], null, s21, v16, v[1:2]
	v_add_co_u32 v1, vcc_lo, s16, v8
	s_wait_alu 0xfffd
	v_add_co_ci_u32_e64 v3, null, s17, v9, vcc_lo
	v_lshlrev_b64_e32 v[17:18], 3, v[10:11]
	v_add_co_u32 v10, vcc_lo, 0x80, v1
	s_wait_alu 0xfffd
	s_delay_alu instid0(VALU_DEP_3)
	v_add_co_ci_u32_e64 v11, null, 0, v3, vcc_lo
	v_mov_b32_e32 v3, v12
	v_ashrrev_i32_e32 v15, 31, v14
	v_add_co_u32 v12, vcc_lo, s8, v17
	v_cmp_gt_i32_e64 s3, s37, v14
	v_mov_b32_e32 v5, v16
	s_delay_alu instid0(VALU_DEP_4)
	v_lshlrev_b64_e32 v[14:15], 3, v[14:15]
	s_wait_alu 0xfffd
	v_add_co_ci_u32_e64 v13, null, s9, v18, vcc_lo
	s_add_nc_u64 s[48:49], s[10:11], -16
	s_lshl_b64 s[16:17], s[6:7], 3
	s_lshl_b64 s[18:19], s[22:23], 3
	s_branch .LBB52_4
.LBB52_2:                               ;   in Loop: Header=BB52_4 Depth=1
	s_add_co_i32 s34, s34, 0x10000
	s_wait_alu 0xfffe
	s_cmp_ge_u32 s34, s33
	s_cselect_b32 s4, -1, 0
.LBB52_3:                               ;   in Loop: Header=BB52_4 Depth=1
	s_wait_alu 0xfffe
	s_and_b32 vcc_lo, exec_lo, s4
	s_wait_alu 0xfffe
	s_cbranch_vccnz .LBB52_55
.LBB52_4:                               ; =>This Loop Header: Depth=1
                                        ;     Child Loop BB52_8 Depth 2
                                        ;       Child Loop BB52_11 Depth 3
	s_mul_u64 s[4:5], s[14:15], s[34:35]
	s_wait_alu 0xfffe
	s_lshl_b64 s[4:5], s[4:5], 3
	s_wait_alu 0xfffe
	s_add_nc_u64 s[4:5], s[12:13], s[4:5]
	global_load_b64 v[16:17], v0, s[4:5]
	s_mov_b32 s4, -1
	s_wait_loadcnt 0x0
	v_cmp_eq_f64_e32 vcc_lo, 0, v[16:17]
	s_cbranch_vccnz .LBB52_3
; %bb.5:                                ;   in Loop: Header=BB52_4 Depth=1
	s_and_not1_b32 vcc_lo, exec_lo, s51
	s_wait_alu 0xfffe
	s_cbranch_vccnz .LBB52_2
; %bb.6:                                ;   in Loop: Header=BB52_4 Depth=1
	v_mad_co_u64_u32 v[18:19], null, s16, s34, v[10:11]
	s_load_b32 s24, s[40:41], 0x4
	v_mad_co_u64_u32 v[20:21], null, s18, s34, v[4:5]
	v_mad_co_u64_u32 v[22:23], null, s18, s34, v[12:13]
	s_mul_i32 s6, s19, s34
	v_mov_b32_e32 v1, v19
	s_mul_u64 s[4:5], s[30:31], s[34:35]
	s_mov_b32 s26, s39
	s_wait_alu 0xfffe
	v_add_nc_u32_e32 v21, s6, v21
	s_lshl_b64 s[4:5], s[4:5], 3
	v_mad_co_u64_u32 v[24:25], null, s17, s34, v[1:2]
	v_add_nc_u32_e32 v23, s6, v23
	s_wait_alu 0xfffe
	s_add_nc_u64 s[20:21], s[42:43], s[4:5]
	s_delay_alu instid0(VALU_DEP_2)
	v_dual_mov_b32 v19, v24 :: v_dual_mov_b32 v24, v66
	s_wait_kmcnt 0x0
	s_lshl_b32 s25, s24, 5
	s_branch .LBB52_8
.LBB52_7:                               ;   in Loop: Header=BB52_8 Depth=2
	s_wait_alu 0xfffe
	s_or_b32 exec_lo, exec_lo, s4
	v_add_nc_u32_e32 v24, s25, v24
	s_add_co_i32 s26, s24, s26
	s_wait_alu 0xfffe
	s_cmp_gt_i32 s26, s50
	s_cbranch_scc1 .LBB52_2
.LBB52_8:                               ;   Parent Loop BB52_4 Depth=1
                                        ; =>  This Loop Header: Depth=2
                                        ;       Child Loop BB52_11 Depth 3
	s_lshl_b32 s27, s26, 5
	v_mov_b32_e32 v50, 0
	s_wait_alu 0xfffe
	v_dual_mov_b32 v51, 0 :: v_dual_add_nc_u32 v26, s27, v59
	v_mov_b32_e32 v48, 0
	v_mov_b32_e32 v46, 0
	v_dual_mov_b32 v44, 0 :: v_dual_mov_b32 v49, 0
	v_mov_b32_e32 v47, 0
	v_mov_b32_e32 v45, 0
	v_ashrrev_i32_e32 v27, 31, v26
	s_cmp_lt_i32 s26, 0
	s_cbranch_scc1 .LBB52_47
; %bb.9:                                ;   in Loop: Header=BB52_8 Depth=2
	v_ashrrev_i32_e32 v25, 31, v24
	v_add_co_u32 v28, vcc_lo, v26, 16
	s_wait_alu 0xfffd
	v_add_co_ci_u32_e64 v29, null, 0, v27, vcc_lo
	v_add_co_u32 v30, vcc_lo, v64, v24
	s_wait_alu 0xfffd
	v_add_co_ci_u32_e64 v31, null, v65, v25, vcc_lo
	v_mov_b32_e32 v46, 0
	s_delay_alu instid0(VALU_DEP_3) | instskip(SKIP_1) | instid1(VALU_DEP_3)
	v_add_co_u32 v34, s5, v30, 16
	s_wait_alu 0xf1ff
	v_add_co_ci_u32_e64 v35, null, 0, v31, s5
	v_add_co_u32 v36, s5, v30, -16
	v_lshlrev_b64_e32 v[32:33], 3, v[24:25]
	v_cmp_le_i64_e64 s4, s[10:11], v[28:29]
	v_dual_mov_b32 v44, 0 :: v_dual_mov_b32 v39, v23
	v_dual_mov_b32 v47, 0 :: v_dual_mov_b32 v48, 0
	;; [unrolled: 1-line block ×3, first 2 shown]
	s_wait_alu 0xf1ff
	v_add_co_ci_u32_e64 v37, null, -1, v31, s5
	v_dual_mov_b32 v45, 0 :: v_dual_mov_b32 v38, v22
	v_dual_mov_b32 v41, v21 :: v_dual_mov_b32 v40, v20
	v_mov_b32_e32 v49, 0
	v_dual_mov_b32 v51, 0 :: v_dual_mov_b32 v42, v18
	s_mov_b64 s[22:23], 0
	v_cmp_le_i32_e32 vcc_lo, s38, v26
	s_branch .LBB52_11
.LBB52_10:                              ;   in Loop: Header=BB52_11 Depth=3
	s_wait_alu 0xfffe
	s_or_b32 exec_lo, exec_lo, s5
	s_wait_dscnt 0x0
	s_barrier_signal -1
	s_barrier_wait -1
	global_inv scope:SCOPE_SE
	ds_load_b128 v[52:55], v60
	ds_load_2addr_b64 v[71:74], v61 offset1:16
	ds_load_b128 v[75:78], v60 offset:4096
	ds_load_b128 v[79:82], v60 offset:16
	;; [unrolled: 1-line block ×3, first 2 shown]
	v_add_co_u32 v42, s5, v42, s46
	s_wait_alu 0xf1ff
	v_add_co_ci_u32_e64 v43, null, s47, v43, s5
	v_add_co_u32 v40, s5, v40, s44
	s_wait_alu 0xf1ff
	v_add_co_ci_u32_e64 v41, null, s45, v41, s5
	v_add_co_u32 v38, s5, v38, s44
	s_add_nc_u64 s[22:23], s[22:23], 32
	v_add_co_ci_u32_e64 v39, null, s45, v39, s5
	s_wait_alu 0xfffe
	s_sub_co_i32 s5, s22, 32
	s_wait_alu 0xfffe
	s_cmp_ge_i32 s5, s27
	s_wait_dscnt 0x3
	v_fma_f64 v[50:51], v[71:72], v[52:53], v[50:51]
	v_fma_f64 v[48:49], v[73:74], v[52:53], v[48:49]
	s_wait_dscnt 0x2
	v_fma_f64 v[52:53], v[71:72], v[75:76], v[46:47]
	v_fma_f64 v[56:57], v[73:74], v[75:76], v[44:45]
	ds_load_2addr_b64 v[44:47], v61 offset0:32 offset1:48
	s_wait_dscnt 0x0
	v_fma_f64 v[50:51], v[44:45], v[54:55], v[50:51]
	v_fma_f64 v[48:49], v[46:47], v[54:55], v[48:49]
	v_fma_f64 v[52:53], v[44:45], v[77:78], v[52:53]
	v_fma_f64 v[54:55], v[46:47], v[77:78], v[56:57]
	ds_load_2addr_b64 v[44:47], v61 offset0:64 offset1:80
	s_wait_dscnt 0x0
	v_fma_f64 v[50:51], v[44:45], v[79:80], v[50:51]
	v_fma_f64 v[48:49], v[46:47], v[79:80], v[48:49]
	v_fma_f64 v[52:53], v[44:45], v[83:84], v[52:53]
	v_fma_f64 v[54:55], v[46:47], v[83:84], v[54:55]
	ds_load_2addr_b64 v[44:47], v61 offset0:96 offset1:112
	s_wait_dscnt 0x0
	v_fma_f64 v[56:57], v[44:45], v[81:82], v[50:51]
	v_fma_f64 v[79:80], v[46:47], v[81:82], v[48:49]
	v_fma_f64 v[81:82], v[44:45], v[85:86], v[52:53]
	v_fma_f64 v[83:84], v[46:47], v[85:86], v[54:55]
	ds_load_b128 v[44:47], v60 offset:32
	ds_load_2addr_b64 v[48:51], v61 offset0:128 offset1:144
	ds_load_b128 v[52:55], v60 offset:4128
	ds_load_b128 v[71:74], v60 offset:48
	ds_load_b128 v[75:78], v60 offset:4144
	s_wait_dscnt 0x3
	v_fma_f64 v[56:57], v[48:49], v[44:45], v[56:57]
	v_fma_f64 v[44:45], v[50:51], v[44:45], v[79:80]
	s_wait_dscnt 0x2
	v_fma_f64 v[79:80], v[48:49], v[52:53], v[81:82]
	v_fma_f64 v[52:53], v[50:51], v[52:53], v[83:84]
	ds_load_2addr_b64 v[48:51], v61 offset0:160 offset1:176
	s_wait_dscnt 0x0
	v_fma_f64 v[56:57], v[48:49], v[46:47], v[56:57]
	v_fma_f64 v[81:82], v[50:51], v[46:47], v[44:45]
	v_fma_f64 v[48:49], v[48:49], v[54:55], v[79:80]
	v_fma_f64 v[50:51], v[50:51], v[54:55], v[52:53]
	ds_load_2addr_b64 v[44:47], v61 offset0:192 offset1:208
	s_wait_dscnt 0x0
	v_fma_f64 v[52:53], v[44:45], v[71:72], v[56:57]
	v_fma_f64 v[54:55], v[46:47], v[71:72], v[81:82]
	v_fma_f64 v[48:49], v[44:45], v[75:76], v[48:49]
	v_fma_f64 v[50:51], v[46:47], v[75:76], v[50:51]
	ds_load_2addr_b64 v[44:47], v61 offset0:224 offset1:240
	s_wait_dscnt 0x0
	v_fma_f64 v[56:57], v[44:45], v[73:74], v[52:53]
	v_fma_f64 v[79:80], v[46:47], v[73:74], v[54:55]
	v_fma_f64 v[81:82], v[44:45], v[77:78], v[48:49]
	v_fma_f64 v[83:84], v[46:47], v[77:78], v[50:51]
	ds_load_b128 v[44:47], v60 offset:64
	ds_load_2addr_b64 v[48:51], v68 offset1:16
	ds_load_b128 v[52:55], v60 offset:4160
	ds_load_b128 v[71:74], v60 offset:80
	ds_load_b128 v[75:78], v60 offset:4176
	s_wait_dscnt 0x3
	v_fma_f64 v[56:57], v[48:49], v[44:45], v[56:57]
	v_fma_f64 v[44:45], v[50:51], v[44:45], v[79:80]
	s_wait_dscnt 0x2
	v_fma_f64 v[79:80], v[48:49], v[52:53], v[81:82]
	v_fma_f64 v[52:53], v[50:51], v[52:53], v[83:84]
	ds_load_2addr_b64 v[48:51], v68 offset0:32 offset1:48
	s_wait_dscnt 0x0
	v_fma_f64 v[56:57], v[48:49], v[46:47], v[56:57]
	v_fma_f64 v[81:82], v[50:51], v[46:47], v[44:45]
	v_fma_f64 v[48:49], v[48:49], v[54:55], v[79:80]
	v_fma_f64 v[50:51], v[50:51], v[54:55], v[52:53]
	ds_load_2addr_b64 v[44:47], v68 offset0:64 offset1:80
	s_wait_dscnt 0x0
	v_fma_f64 v[52:53], v[44:45], v[71:72], v[56:57]
	v_fma_f64 v[54:55], v[46:47], v[71:72], v[81:82]
	v_fma_f64 v[48:49], v[44:45], v[75:76], v[48:49]
	v_fma_f64 v[50:51], v[46:47], v[75:76], v[50:51]
	ds_load_2addr_b64 v[44:47], v68 offset0:96 offset1:112
	s_wait_dscnt 0x0
	v_fma_f64 v[56:57], v[44:45], v[73:74], v[52:53]
	v_fma_f64 v[79:80], v[46:47], v[73:74], v[54:55]
	v_fma_f64 v[81:82], v[44:45], v[77:78], v[48:49]
	v_fma_f64 v[83:84], v[46:47], v[77:78], v[50:51]
	ds_load_b128 v[44:47], v60 offset:96
	ds_load_2addr_b64 v[48:51], v68 offset0:128 offset1:144
	ds_load_b128 v[52:55], v60 offset:4192
	ds_load_b128 v[71:74], v60 offset:112
	ds_load_b128 v[75:78], v60 offset:4208
	s_wait_dscnt 0x3
	v_fma_f64 v[56:57], v[48:49], v[44:45], v[56:57]
	v_fma_f64 v[44:45], v[50:51], v[44:45], v[79:80]
	s_wait_dscnt 0x2
	v_fma_f64 v[79:80], v[48:49], v[52:53], v[81:82]
	v_fma_f64 v[52:53], v[50:51], v[52:53], v[83:84]
	ds_load_2addr_b64 v[48:51], v68 offset0:160 offset1:176
	s_wait_dscnt 0x0
	v_fma_f64 v[56:57], v[48:49], v[46:47], v[56:57]
	v_fma_f64 v[81:82], v[50:51], v[46:47], v[44:45]
	v_fma_f64 v[48:49], v[48:49], v[54:55], v[79:80]
	v_fma_f64 v[50:51], v[50:51], v[54:55], v[52:53]
	ds_load_2addr_b64 v[44:47], v68 offset0:192 offset1:208
	s_wait_dscnt 0x0
	v_fma_f64 v[52:53], v[44:45], v[71:72], v[56:57]
	v_fma_f64 v[54:55], v[46:47], v[71:72], v[81:82]
	v_fma_f64 v[48:49], v[44:45], v[75:76], v[48:49]
	v_fma_f64 v[50:51], v[46:47], v[75:76], v[50:51]
	ds_load_2addr_b64 v[44:47], v68 offset0:224 offset1:240
	s_wait_dscnt 0x0
	v_fma_f64 v[56:57], v[44:45], v[73:74], v[52:53]
	v_fma_f64 v[79:80], v[46:47], v[73:74], v[54:55]
	v_fma_f64 v[81:82], v[44:45], v[77:78], v[48:49]
	v_fma_f64 v[83:84], v[46:47], v[77:78], v[50:51]
	ds_load_b128 v[44:47], v60 offset:128
	ds_load_2addr_b64 v[48:51], v69 offset1:16
	ds_load_b128 v[52:55], v60 offset:4224
	ds_load_b128 v[71:74], v60 offset:144
	ds_load_b128 v[75:78], v60 offset:4240
	;; [unrolled: 58-line block ×3, first 2 shown]
	s_wait_dscnt 0x3
	v_fma_f64 v[56:57], v[48:49], v[44:45], v[56:57]
	v_fma_f64 v[44:45], v[50:51], v[44:45], v[79:80]
	s_wait_dscnt 0x2
	v_fma_f64 v[79:80], v[48:49], v[52:53], v[81:82]
	v_fma_f64 v[52:53], v[50:51], v[52:53], v[83:84]
	ds_load_2addr_b64 v[48:51], v70 offset0:32 offset1:48
	s_wait_dscnt 0x0
	v_fma_f64 v[56:57], v[48:49], v[46:47], v[56:57]
	v_fma_f64 v[81:82], v[50:51], v[46:47], v[44:45]
	v_fma_f64 v[48:49], v[48:49], v[54:55], v[79:80]
	v_fma_f64 v[50:51], v[50:51], v[54:55], v[52:53]
	ds_load_2addr_b64 v[44:47], v70 offset0:64 offset1:80
	s_wait_dscnt 0x0
	v_fma_f64 v[52:53], v[44:45], v[71:72], v[56:57]
	v_fma_f64 v[54:55], v[46:47], v[71:72], v[81:82]
	;; [unrolled: 6-line block ×3, first 2 shown]
	v_fma_f64 v[81:82], v[44:45], v[77:78], v[48:49]
	v_fma_f64 v[83:84], v[46:47], v[77:78], v[50:51]
	ds_load_b128 v[44:47], v60 offset:224
	ds_load_2addr_b64 v[48:51], v70 offset0:128 offset1:144
	ds_load_b128 v[52:55], v60 offset:4320
	ds_load_b128 v[71:74], v60 offset:240
	;; [unrolled: 1-line block ×3, first 2 shown]
	s_wait_dscnt 0x3
	v_fma_f64 v[56:57], v[48:49], v[44:45], v[56:57]
	v_fma_f64 v[44:45], v[50:51], v[44:45], v[79:80]
	s_wait_dscnt 0x2
	v_fma_f64 v[79:80], v[48:49], v[52:53], v[81:82]
	v_fma_f64 v[52:53], v[50:51], v[52:53], v[83:84]
	ds_load_2addr_b64 v[48:51], v70 offset0:160 offset1:176
	s_wait_dscnt 0x0
	v_fma_f64 v[56:57], v[48:49], v[46:47], v[56:57]
	v_fma_f64 v[81:82], v[50:51], v[46:47], v[44:45]
	;; [unrolled: 1-line block ×4, first 2 shown]
	ds_load_2addr_b64 v[44:47], v70 offset0:192 offset1:208
	ds_load_2addr_b64 v[52:55], v70 offset0:224 offset1:240
	s_wait_loadcnt_dscnt 0x0
	s_barrier_signal -1
	s_barrier_wait -1
	global_inv scope:SCOPE_SE
	v_fma_f64 v[56:57], v[44:45], v[71:72], v[56:57]
	v_fma_f64 v[71:72], v[46:47], v[71:72], v[81:82]
	v_fma_f64 v[44:45], v[44:45], v[75:76], v[48:49]
	v_fma_f64 v[75:76], v[46:47], v[75:76], v[50:51]
	s_delay_alu instid0(VALU_DEP_4) | instskip(NEXT) | instid1(VALU_DEP_4)
	v_fma_f64 v[50:51], v[52:53], v[73:74], v[56:57]
	v_fma_f64 v[48:49], v[54:55], v[73:74], v[71:72]
	s_delay_alu instid0(VALU_DEP_4) | instskip(NEXT) | instid1(VALU_DEP_4)
	v_fma_f64 v[46:47], v[52:53], v[77:78], v[44:45]
	v_fma_f64 v[44:45], v[54:55], v[77:78], v[75:76]
	s_cbranch_scc1 .LBB52_47
.LBB52_11:                              ;   Parent Loop BB52_4 Depth=1
                                        ;     Parent Loop BB52_8 Depth=2
                                        ; =>    This Inner Loop Header: Depth=3
	s_wait_alu 0xfffe
	v_add_co_u32 v52, s5, v58, s22
	s_wait_alu 0xf1ff
	v_add_co_ci_u32_e64 v53, null, 0, s23, s5
	v_cmp_eq_u64_e64 s7, s[22:23], v[30:31]
                                        ; implicit-def: $vgpr56_vgpr57
	s_delay_alu instid0(VALU_DEP_2)
	v_cmp_gt_i64_e64 s5, v[52:53], v[26:27]
	v_cmp_le_i64_e64 s6, s[10:11], v[52:53]
	s_and_b32 s37, s36, s7
	v_add_co_u32 v54, s7, v38, v32
	s_or_b32 s8, vcc_lo, s5
	v_add_co_ci_u32_e64 v55, null, v39, v33, s7
	s_wait_alu 0xfffe
	s_or_b32 s7, s8, s37
	s_wait_alu 0xfffe
	s_nor_b32 s7, s6, s7
	s_wait_alu 0xfffe
	s_and_saveexec_b32 s8, s7
	s_wait_alu 0xfffe
	s_xor_b32 s7, exec_lo, s8
	s_cbranch_execz .LBB52_13
; %bb.12:                               ;   in Loop: Header=BB52_11 Depth=3
	global_load_b64 v[56:57], v[54:55], off
.LBB52_13:                              ;   in Loop: Header=BB52_11 Depth=3
	s_wait_alu 0xfffe
	s_and_not1_saveexec_b32 s7, s7
	s_cbranch_execz .LBB52_15
; %bb.14:                               ;   in Loop: Header=BB52_11 Depth=3
	v_cndmask_b32_e64 v1, 0, 0x3ff00000, s37
	s_wait_loadcnt 0x0
	s_delay_alu instid0(VALU_DEP_1)
	v_dual_mov_b32 v57, v1 :: v_dual_mov_b32 v56, v0
.LBB52_15:                              ;   in Loop: Header=BB52_11 Depth=3
	s_wait_alu 0xfffe
	s_or_b32 exec_lo, exec_lo, s7
	v_add_co_u32 v71, s7, v52, 16
	s_wait_alu 0xf1ff
	v_add_co_ci_u32_e64 v72, null, 0, v53, s7
	v_cmp_eq_u64_e64 s8, s[22:23], v[36:37]
	s_wait_loadcnt 0x0
	ds_store_b64 v62, v[56:57]
	v_cmp_gt_i64_e64 s9, v[71:72], v[26:27]
	v_cmp_le_i64_e64 s7, s[10:11], v[71:72]
	s_and_b32 s52, s36, s8
	s_or_b32 s8, vcc_lo, s9
	s_wait_alu 0xfffe
	s_or_b32 s8, s8, s52
	s_wait_alu 0xfffe
	s_nor_b32 s8, s7, s8
	s_wait_alu 0xfffe
	s_and_saveexec_b32 s9, s8
	s_wait_alu 0xfffe
	s_xor_b32 s9, exec_lo, s9
	s_cbranch_execz .LBB52_17
; %bb.16:                               ;   in Loop: Header=BB52_11 Depth=3
	v_add_co_u32 v56, s8, v40, v32
	s_wait_alu 0xf1ff
	v_add_co_ci_u32_e64 v57, null, v41, v33, s8
	global_load_b64 v[56:57], v[56:57], off
	s_wait_loadcnt 0x0
	ds_store_b64 v62, v[56:57] offset:128
.LBB52_17:                              ;   in Loop: Header=BB52_11 Depth=3
	s_wait_alu 0xfffe
	s_and_not1_saveexec_b32 s8, s9
	s_cbranch_execz .LBB52_23
; %bb.18:                               ;   in Loop: Header=BB52_11 Depth=3
	s_xor_b32 s9, s52, -1
	s_wait_alu 0xfffe
	s_and_saveexec_b32 s52, s9
	s_delay_alu instid0(SALU_CYCLE_1)
	s_xor_b32 s9, exec_lo, s52
; %bb.19:                               ;   in Loop: Header=BB52_11 Depth=3
	v_mov_b32_e32 v1, v0
	ds_store_b64 v62, v[0:1] offset:128
; %bb.20:                               ;   in Loop: Header=BB52_11 Depth=3
	s_wait_alu 0xfffe
	s_and_not1_saveexec_b32 s9, s9
; %bb.21:                               ;   in Loop: Header=BB52_11 Depth=3
	v_mov_b32_e32 v1, v67
	ds_store_b64 v62, v[0:1] offset:128
; %bb.22:                               ;   in Loop: Header=BB52_11 Depth=3
	s_wait_alu 0xfffe
	s_or_b32 exec_lo, exec_lo, s9
.LBB52_23:                              ;   in Loop: Header=BB52_11 Depth=3
	s_wait_alu 0xfffe
	s_or_b32 exec_lo, exec_lo, s8
	v_cmp_eq_u64_e64 s8, s[22:23], v[34:35]
	v_cmp_gt_i64_e64 s9, v[52:53], v[28:29]
                                        ; implicit-def: $vgpr52_vgpr53
	s_and_b32 s8, s36, s8
	s_or_b32 s9, s4, s9
	s_wait_alu 0xfffe
	s_or_b32 s9, s9, s8
	s_wait_alu 0xfffe
	s_nor_b32 s6, s6, s9
	s_wait_alu 0xfffe
	s_and_saveexec_b32 s9, s6
	s_wait_alu 0xfffe
	s_xor_b32 s6, exec_lo, s9
	s_cbranch_execz .LBB52_25
; %bb.24:                               ;   in Loop: Header=BB52_11 Depth=3
	global_load_b64 v[52:53], v[54:55], off offset:128
.LBB52_25:                              ;   in Loop: Header=BB52_11 Depth=3
	s_wait_alu 0xfffe
	s_and_not1_saveexec_b32 s6, s6
	s_cbranch_execz .LBB52_27
; %bb.26:                               ;   in Loop: Header=BB52_11 Depth=3
	v_cndmask_b32_e64 v1, 0, 0x3ff00000, s8
	s_wait_loadcnt 0x0
	s_delay_alu instid0(VALU_DEP_1)
	v_dual_mov_b32 v53, v1 :: v_dual_mov_b32 v52, v0
.LBB52_27:                              ;   in Loop: Header=BB52_11 Depth=3
	s_wait_alu 0xfffe
	s_or_b32 exec_lo, exec_lo, s6
	s_or_b32 s5, s4, s5
	s_wait_loadcnt 0x0
	ds_store_b64 v62, v[52:53] offset:4096
	s_wait_alu 0xfffe
	s_or_b32 s5, s5, s37
	s_wait_alu 0xfffe
	s_nor_b32 s5, s7, s5
	s_wait_alu 0xfffe
	s_and_saveexec_b32 s6, s5
	s_wait_alu 0xfffe
	s_xor_b32 s6, exec_lo, s6
	s_cbranch_execz .LBB52_29
; %bb.28:                               ;   in Loop: Header=BB52_11 Depth=3
	v_add_co_u32 v52, s5, v40, v32
	s_wait_alu 0xf1ff
	v_add_co_ci_u32_e64 v53, null, v41, v33, s5
	global_load_b64 v[52:53], v[52:53], off offset:128
	s_wait_loadcnt 0x0
	ds_store_b64 v62, v[52:53] offset:4224
.LBB52_29:                              ;   in Loop: Header=BB52_11 Depth=3
	s_wait_alu 0xfffe
	s_and_not1_saveexec_b32 s5, s6
	s_cbranch_execz .LBB52_35
; %bb.30:                               ;   in Loop: Header=BB52_11 Depth=3
	s_xor_b32 s6, s37, -1
	s_wait_alu 0xfffe
	s_and_saveexec_b32 s7, s6
	s_wait_alu 0xfffe
	s_xor_b32 s6, exec_lo, s7
; %bb.31:                               ;   in Loop: Header=BB52_11 Depth=3
	v_mov_b32_e32 v1, v0
	ds_store_b64 v62, v[0:1] offset:4224
; %bb.32:                               ;   in Loop: Header=BB52_11 Depth=3
	s_wait_alu 0xfffe
	s_and_not1_saveexec_b32 s6, s6
; %bb.33:                               ;   in Loop: Header=BB52_11 Depth=3
	v_mov_b32_e32 v1, v67
	ds_store_b64 v62, v[0:1] offset:4224
; %bb.34:                               ;   in Loop: Header=BB52_11 Depth=3
	s_wait_alu 0xfffe
	s_or_b32 exec_lo, exec_lo, s6
.LBB52_35:                              ;   in Loop: Header=BB52_11 Depth=3
	s_wait_alu 0xfffe
	s_or_b32 exec_lo, exec_lo, s5
	v_add_co_u32 v52, s5, v59, s22
	s_wait_alu 0xf1ff
	v_add_co_ci_u32_e64 v53, null, 0, s23, s5
	v_add_co_u32 v54, s6, v42, v6
	v_mov_b32_e32 v56, 0
	s_delay_alu instid0(VALU_DEP_3)
	v_cmp_le_i64_e64 s5, s[10:11], v[52:53]
	v_mov_b32_e32 v57, 0
	s_wait_alu 0xf1ff
	v_add_co_ci_u32_e64 v55, null, v43, v7, s6
	s_nor_b32 s7, s5, s0
	s_wait_alu 0xfffe
	s_and_saveexec_b32 s6, s7
	s_cbranch_execz .LBB52_37
; %bb.36:                               ;   in Loop: Header=BB52_11 Depth=3
	global_load_b64 v[56:57], v[54:55], off offset:-128
.LBB52_37:                              ;   in Loop: Header=BB52_11 Depth=3
	s_wait_alu 0xfffe
	s_or_b32 exec_lo, exec_lo, s6
	s_nor_b32 s5, s5, s1
	s_wait_loadcnt 0x0
	ds_store_b64 v63, v[56:57]
	s_wait_alu 0xfffe
	s_and_saveexec_b32 s6, s5
	s_wait_alu 0xfffe
	s_xor_b32 s5, exec_lo, s6
	s_cbranch_execz .LBB52_39
; %bb.38:                               ;   in Loop: Header=BB52_11 Depth=3
	global_load_b64 v[54:55], v[54:55], off
	s_wait_loadcnt 0x0
	ds_store_b64 v63, v[54:55] offset:128
.LBB52_39:                              ;   in Loop: Header=BB52_11 Depth=3
	s_wait_alu 0xfffe
	s_and_not1_saveexec_b32 s5, s5
; %bb.40:                               ;   in Loop: Header=BB52_11 Depth=3
	v_mov_b32_e32 v1, v0
	ds_store_b64 v63, v[0:1] offset:128
; %bb.41:                               ;   in Loop: Header=BB52_11 Depth=3
	s_wait_alu 0xfffe
	s_or_b32 exec_lo, exec_lo, s5
	v_cmp_le_i64_e64 s5, s[48:49], v[52:53]
	v_add_co_u32 v52, s6, v42, v2
	v_mov_b32_e32 v54, 0
	v_mov_b32_e32 v55, 0
	s_wait_alu 0xf1ff
	v_add_co_ci_u32_e64 v53, null, v43, v3, s6
	s_nor_b32 s7, s5, s0
	s_wait_alu 0xfffe
	s_and_saveexec_b32 s6, s7
	s_cbranch_execz .LBB52_43
; %bb.42:                               ;   in Loop: Header=BB52_11 Depth=3
	global_load_b64 v[54:55], v[52:53], off offset:-128
.LBB52_43:                              ;   in Loop: Header=BB52_11 Depth=3
	s_wait_alu 0xfffe
	s_or_b32 exec_lo, exec_lo, s6
	s_nor_b32 s5, s5, s1
	s_wait_loadcnt 0x0
	ds_store_b64 v63, v[54:55] offset:4096
	s_wait_alu 0xfffe
	s_and_saveexec_b32 s6, s5
	s_wait_alu 0xfffe
	s_xor_b32 s5, exec_lo, s6
	s_cbranch_execz .LBB52_45
; %bb.44:                               ;   in Loop: Header=BB52_11 Depth=3
	global_load_b64 v[52:53], v[52:53], off
	s_wait_loadcnt 0x0
	ds_store_b64 v63, v[52:53] offset:4224
.LBB52_45:                              ;   in Loop: Header=BB52_11 Depth=3
	s_wait_alu 0xfffe
	s_and_not1_saveexec_b32 s5, s5
	s_cbranch_execz .LBB52_10
; %bb.46:                               ;   in Loop: Header=BB52_11 Depth=3
	v_mov_b32_e32 v1, v0
	ds_store_b64 v63, v[0:1] offset:4224
	s_branch .LBB52_10
.LBB52_47:                              ;   in Loop: Header=BB52_8 Depth=2
	v_mul_lo_u32 v1, s29, v26
	s_delay_alu instid0(VALU_DEP_2) | instskip(SKIP_2) | instid1(VALU_DEP_2)
	v_mul_lo_u32 v25, s28, v27
	v_mad_co_u64_u32 v[27:28], null, s28, v26, 0
	v_cmp_gt_i32_e32 vcc_lo, s38, v26
	v_add3_u32 v28, v28, v25, v1
	s_delay_alu instid0(VALU_DEP_1) | instskip(SKIP_1) | instid1(VALU_DEP_1)
	v_lshlrev_b64_e32 v[27:28], 3, v[27:28]
	s_wait_alu 0xfffe
	v_add_co_u32 v1, s4, s20, v27
	s_wait_alu 0xf1ff
	s_delay_alu instid0(VALU_DEP_2)
	v_add_co_ci_u32_e64 v25, null, s21, v28, s4
	s_and_b32 s4, s2, vcc_lo
	s_wait_alu 0xfffe
	s_and_saveexec_b32 s5, s4
	s_cbranch_execz .LBB52_49
; %bb.48:                               ;   in Loop: Header=BB52_8 Depth=2
	v_add_co_u32 v27, s4, v1, v8
	s_wait_alu 0xf1ff
	v_add_co_ci_u32_e64 v28, null, v25, v9, s4
	global_load_b64 v[29:30], v[27:28], off
	s_wait_loadcnt 0x0
	v_fma_f64 v[29:30], v[16:17], v[50:51], v[29:30]
	global_store_b64 v[27:28], v[29:30], off
.LBB52_49:                              ;   in Loop: Header=BB52_8 Depth=2
	s_wait_alu 0xfffe
	s_or_b32 exec_lo, exec_lo, s5
	s_and_b32 s5, s3, vcc_lo
	s_wait_alu 0xfffe
	s_and_saveexec_b32 s4, s5
	s_cbranch_execz .LBB52_51
; %bb.50:                               ;   in Loop: Header=BB52_8 Depth=2
	v_add_co_u32 v27, vcc_lo, v1, v14
	s_wait_alu 0xfffd
	v_add_co_ci_u32_e64 v28, null, v25, v15, vcc_lo
	global_load_b64 v[29:30], v[27:28], off
	s_wait_loadcnt 0x0
	v_fma_f64 v[29:30], v[16:17], v[48:49], v[29:30]
	global_store_b64 v[27:28], v[29:30], off
.LBB52_51:                              ;   in Loop: Header=BB52_8 Depth=2
	s_wait_alu 0xfffe
	s_or_b32 exec_lo, exec_lo, s4
	v_add_nc_u32_e32 v1, 16, v26
	s_delay_alu instid0(VALU_DEP_1) | instskip(SKIP_3) | instid1(VALU_DEP_4)
	v_ashrrev_i32_e32 v27, 31, v1
	v_mul_lo_u32 v28, s29, v1
	v_mad_co_u64_u32 v[25:26], null, s28, v1, 0
	v_cmp_gt_i32_e32 vcc_lo, s38, v1
	v_mul_lo_u32 v27, s28, v27
	s_delay_alu instid0(VALU_DEP_1) | instskip(NEXT) | instid1(VALU_DEP_1)
	v_add3_u32 v26, v26, v27, v28
	v_lshlrev_b64_e32 v[25:26], 3, v[25:26]
	s_delay_alu instid0(VALU_DEP_1) | instskip(SKIP_1) | instid1(VALU_DEP_2)
	v_add_co_u32 v1, s4, s20, v25
	s_wait_alu 0xf1ff
	v_add_co_ci_u32_e64 v25, null, s21, v26, s4
	s_and_b32 s4, s2, vcc_lo
	s_wait_alu 0xfffe
	s_and_saveexec_b32 s5, s4
	s_cbranch_execz .LBB52_53
; %bb.52:                               ;   in Loop: Header=BB52_8 Depth=2
	v_add_co_u32 v26, s4, v1, v8
	s_wait_alu 0xf1ff
	v_add_co_ci_u32_e64 v27, null, v25, v9, s4
	global_load_b64 v[28:29], v[26:27], off
	s_wait_loadcnt 0x0
	v_fma_f64 v[28:29], v[16:17], v[46:47], v[28:29]
	global_store_b64 v[26:27], v[28:29], off
.LBB52_53:                              ;   in Loop: Header=BB52_8 Depth=2
	s_wait_alu 0xfffe
	s_or_b32 exec_lo, exec_lo, s5
	s_and_b32 s5, s3, vcc_lo
	s_wait_alu 0xfffe
	s_and_saveexec_b32 s4, s5
	s_cbranch_execz .LBB52_7
; %bb.54:                               ;   in Loop: Header=BB52_8 Depth=2
	v_add_co_u32 v26, vcc_lo, v1, v14
	s_wait_alu 0xfffd
	v_add_co_ci_u32_e64 v27, null, v25, v15, vcc_lo
	global_load_b64 v[28:29], v[26:27], off
	s_wait_loadcnt 0x0
	v_fma_f64 v[28:29], v[16:17], v[44:45], v[28:29]
	global_store_b64 v[26:27], v[28:29], off
	s_branch .LBB52_7
.LBB52_55:
	s_endpgm
	.section	.rodata,"a",@progbits
	.p2align	6, 0x0
	.amdhsa_kernel _ZL30rocblas_trmm_outofplace_kernelIdLi32ELi2ELb0ELb0ELb1ELb0EPKdS0_dEv17rocblas_diagonal_iiT6_lPT7_lllS5_lllPT8_llli
		.amdhsa_group_segment_fixed_size 16384
		.amdhsa_private_segment_fixed_size 0
		.amdhsa_kernarg_size 392
		.amdhsa_user_sgpr_count 2
		.amdhsa_user_sgpr_dispatch_ptr 0
		.amdhsa_user_sgpr_queue_ptr 0
		.amdhsa_user_sgpr_kernarg_segment_ptr 1
		.amdhsa_user_sgpr_dispatch_id 0
		.amdhsa_user_sgpr_private_segment_size 0
		.amdhsa_wavefront_size32 1
		.amdhsa_uses_dynamic_stack 0
		.amdhsa_enable_private_segment 0
		.amdhsa_system_sgpr_workgroup_id_x 1
		.amdhsa_system_sgpr_workgroup_id_y 1
		.amdhsa_system_sgpr_workgroup_id_z 1
		.amdhsa_system_sgpr_workgroup_info 0
		.amdhsa_system_vgpr_workitem_id 1
		.amdhsa_next_free_vgpr 87
		.amdhsa_next_free_sgpr 53
		.amdhsa_reserve_vcc 1
		.amdhsa_float_round_mode_32 0
		.amdhsa_float_round_mode_16_64 0
		.amdhsa_float_denorm_mode_32 3
		.amdhsa_float_denorm_mode_16_64 3
		.amdhsa_fp16_overflow 0
		.amdhsa_workgroup_processor_mode 1
		.amdhsa_memory_ordered 1
		.amdhsa_forward_progress 1
		.amdhsa_inst_pref_size 35
		.amdhsa_round_robin_scheduling 0
		.amdhsa_exception_fp_ieee_invalid_op 0
		.amdhsa_exception_fp_denorm_src 0
		.amdhsa_exception_fp_ieee_div_zero 0
		.amdhsa_exception_fp_ieee_overflow 0
		.amdhsa_exception_fp_ieee_underflow 0
		.amdhsa_exception_fp_ieee_inexact 0
		.amdhsa_exception_int_div_zero 0
	.end_amdhsa_kernel
	.section	.text._ZL30rocblas_trmm_outofplace_kernelIdLi32ELi2ELb0ELb0ELb1ELb0EPKdS0_dEv17rocblas_diagonal_iiT6_lPT7_lllS5_lllPT8_llli,"axG",@progbits,_ZL30rocblas_trmm_outofplace_kernelIdLi32ELi2ELb0ELb0ELb1ELb0EPKdS0_dEv17rocblas_diagonal_iiT6_lPT7_lllS5_lllPT8_llli,comdat
.Lfunc_end52:
	.size	_ZL30rocblas_trmm_outofplace_kernelIdLi32ELi2ELb0ELb0ELb1ELb0EPKdS0_dEv17rocblas_diagonal_iiT6_lPT7_lllS5_lllPT8_llli, .Lfunc_end52-_ZL30rocblas_trmm_outofplace_kernelIdLi32ELi2ELb0ELb0ELb1ELb0EPKdS0_dEv17rocblas_diagonal_iiT6_lPT7_lllS5_lllPT8_llli
                                        ; -- End function
	.set _ZL30rocblas_trmm_outofplace_kernelIdLi32ELi2ELb0ELb0ELb1ELb0EPKdS0_dEv17rocblas_diagonal_iiT6_lPT7_lllS5_lllPT8_llli.num_vgpr, 87
	.set _ZL30rocblas_trmm_outofplace_kernelIdLi32ELi2ELb0ELb0ELb1ELb0EPKdS0_dEv17rocblas_diagonal_iiT6_lPT7_lllS5_lllPT8_llli.num_agpr, 0
	.set _ZL30rocblas_trmm_outofplace_kernelIdLi32ELi2ELb0ELb0ELb1ELb0EPKdS0_dEv17rocblas_diagonal_iiT6_lPT7_lllS5_lllPT8_llli.numbered_sgpr, 53
	.set _ZL30rocblas_trmm_outofplace_kernelIdLi32ELi2ELb0ELb0ELb1ELb0EPKdS0_dEv17rocblas_diagonal_iiT6_lPT7_lllS5_lllPT8_llli.num_named_barrier, 0
	.set _ZL30rocblas_trmm_outofplace_kernelIdLi32ELi2ELb0ELb0ELb1ELb0EPKdS0_dEv17rocblas_diagonal_iiT6_lPT7_lllS5_lllPT8_llli.private_seg_size, 0
	.set _ZL30rocblas_trmm_outofplace_kernelIdLi32ELi2ELb0ELb0ELb1ELb0EPKdS0_dEv17rocblas_diagonal_iiT6_lPT7_lllS5_lllPT8_llli.uses_vcc, 1
	.set _ZL30rocblas_trmm_outofplace_kernelIdLi32ELi2ELb0ELb0ELb1ELb0EPKdS0_dEv17rocblas_diagonal_iiT6_lPT7_lllS5_lllPT8_llli.uses_flat_scratch, 0
	.set _ZL30rocblas_trmm_outofplace_kernelIdLi32ELi2ELb0ELb0ELb1ELb0EPKdS0_dEv17rocblas_diagonal_iiT6_lPT7_lllS5_lllPT8_llli.has_dyn_sized_stack, 0
	.set _ZL30rocblas_trmm_outofplace_kernelIdLi32ELi2ELb0ELb0ELb1ELb0EPKdS0_dEv17rocblas_diagonal_iiT6_lPT7_lllS5_lllPT8_llli.has_recursion, 0
	.set _ZL30rocblas_trmm_outofplace_kernelIdLi32ELi2ELb0ELb0ELb1ELb0EPKdS0_dEv17rocblas_diagonal_iiT6_lPT7_lllS5_lllPT8_llli.has_indirect_call, 0
	.section	.AMDGPU.csdata,"",@progbits
; Kernel info:
; codeLenInByte = 4376
; TotalNumSgprs: 55
; NumVgprs: 87
; ScratchSize: 0
; MemoryBound: 0
; FloatMode: 240
; IeeeMode: 1
; LDSByteSize: 16384 bytes/workgroup (compile time only)
; SGPRBlocks: 0
; VGPRBlocks: 10
; NumSGPRsForWavesPerEU: 55
; NumVGPRsForWavesPerEU: 87
; Occupancy: 16
; WaveLimiterHint : 0
; COMPUTE_PGM_RSRC2:SCRATCH_EN: 0
; COMPUTE_PGM_RSRC2:USER_SGPR: 2
; COMPUTE_PGM_RSRC2:TRAP_HANDLER: 0
; COMPUTE_PGM_RSRC2:TGID_X_EN: 1
; COMPUTE_PGM_RSRC2:TGID_Y_EN: 1
; COMPUTE_PGM_RSRC2:TGID_Z_EN: 1
; COMPUTE_PGM_RSRC2:TIDIG_COMP_CNT: 1
	.section	.text._ZL30rocblas_trmm_outofplace_kernelIdLi32ELi2ELb0ELb0ELb1ELb0EdKddEv17rocblas_diagonal_iiT6_lPT7_lllS4_lllPT8_llli,"axG",@progbits,_ZL30rocblas_trmm_outofplace_kernelIdLi32ELi2ELb0ELb0ELb1ELb0EdKddEv17rocblas_diagonal_iiT6_lPT7_lllS4_lllPT8_llli,comdat
	.globl	_ZL30rocblas_trmm_outofplace_kernelIdLi32ELi2ELb0ELb0ELb1ELb0EdKddEv17rocblas_diagonal_iiT6_lPT7_lllS4_lllPT8_llli ; -- Begin function _ZL30rocblas_trmm_outofplace_kernelIdLi32ELi2ELb0ELb0ELb1ELb0EdKddEv17rocblas_diagonal_iiT6_lPT7_lllS4_lllPT8_llli
	.p2align	8
	.type	_ZL30rocblas_trmm_outofplace_kernelIdLi32ELi2ELb0ELb0ELb1ELb0EdKddEv17rocblas_diagonal_iiT6_lPT7_lllS4_lllPT8_llli,@function
_ZL30rocblas_trmm_outofplace_kernelIdLi32ELi2ELb0ELb0ELb1ELb0EdKddEv17rocblas_diagonal_iiT6_lPT7_lllS4_lllPT8_llli: ; @_ZL30rocblas_trmm_outofplace_kernelIdLi32ELi2ELb0ELb0ELb1ELb0EdKddEv17rocblas_diagonal_iiT6_lPT7_lllS4_lllPT8_llli
; %bb.0:
	s_load_b32 s31, s[0:1], 0x80
	s_lshr_b32 s34, ttmp7, 16
	s_wait_kmcnt 0x0
	s_cmp_ge_u32 s34, s31
	s_cbranch_scc1 .LBB53_54
; %bb.1:
	s_load_b64 s[36:37], s[0:1], 0x10
	s_wait_kmcnt 0x0
	v_cmp_eq_f64_e64 s2, s[36:37], 0
	s_and_b32 vcc_lo, exec_lo, s2
	s_cbranch_vccnz .LBB53_54
; %bb.2:
	s_clause 0x2
	s_load_b96 s[28:30], s[0:1], 0x0
	s_load_b512 s[4:19], s[0:1], 0x20
	s_load_b256 s[20:27], s[0:1], 0x60
	s_add_nc_u64 s[38:39], s[0:1], 0x88
	v_and_b32_e32 v57, 0x3ff, v0
	s_and_b32 s33, ttmp7, 0xffff
	v_bfe_u32 v0, v0, 10, 10
	v_mov_b32_e32 v1, 0
	s_mov_b32 s35, 0
	v_lshl_add_u32 v9, ttmp9, 5, v57
	v_mov_b32_e32 v65, 0x3ff00000
	v_lshl_add_u32 v14, v0, 3, 0x80
	v_lshlrev_b32_e32 v58, 8, v0
	v_lshl_add_u32 v64, s33, 5, v0
	v_ashrrev_i32_e32 v10, 31, v9
	s_wait_kmcnt 0x0
	s_add_co_i32 s0, s30, -1
	v_mad_co_u64_u32 v[7:8], null, s16, v0, 0
	s_wait_alu 0xfffe
	s_ashr_i32 s1, s0, 31
	v_sub_co_u32 v2, vcc_lo, s29, v9
	s_wait_alu 0xfffe
	s_lshr_b32 s1, s1, 27
	s_mov_b32 s40, s30
	s_wait_alu 0xfffe
	s_add_co_i32 s0, s0, s1
	s_wait_alu 0xfffe
	s_ashr_i32 s46, s0, 5
	v_cmp_gt_i32_e64 s0, s29, v9
	s_cmp_le_i32 s33, s46
	s_cselect_b32 s47, -1, 0
	s_cmp_eq_u32 s28, 0x84
	s_cselect_b32 s28, -1, 0
	s_ashr_i32 s1, s29, 31
	s_lshl_b64 s[2:3], s[22:23], 3
	s_wait_alu 0xfffe
	v_sub_co_ci_u32_e64 v3, null, s1, v10, vcc_lo
	s_add_nc_u64 s[20:21], s[20:21], s[2:3]
	s_lshl_b64 s[6:7], s[6:7], 3
	s_ashr_i32 s41, s30, 31
	v_cmp_gt_i64_e64 s1, 1, v[2:3]
	v_cmp_gt_i64_e64 s2, 17, v[2:3]
	v_mov_b32_e32 v2, v8
	v_mad_co_u64_u32 v[11:12], null, s8, v57, 0
	s_add_nc_u64 s[4:5], s[4:5], s[6:7]
	v_add_nc_u32_e32 v15, 16, v9
	v_mad_co_u64_u32 v[2:3], null, s17, v0, v[2:3]
	v_lshlrev_b32_e32 v5, 3, v57
	v_mad_co_u64_u32 v[3:4], null, s16, v14, 0
	v_lshlrev_b64_e32 v[9:10], 3, v[9:10]
	s_lshl_b64 s[6:7], s[14:15], 3
	s_lshl_b64 s[42:43], s[8:9], 8
	s_delay_alu instid0(VALU_DEP_4)
	v_dual_mov_b32 v8, v2 :: v_dual_add_nc_u32 v17, 0x80, v5
	v_or_b32_e32 v59, 0x2000, v5
	v_add_nc_u32_e32 v60, v58, v5
	v_mov_b32_e32 v2, v12
	s_add_nc_u64 s[6:7], s[12:13], s[6:7]
	v_mad_co_u64_u32 v[5:6], null, s8, v17, s[4:5]
	v_add_nc_u32_e32 v61, v59, v58
	s_delay_alu instid0(VALU_DEP_3)
	v_mad_co_u64_u32 v[12:13], null, s9, v57, v[2:3]
	v_ashrrev_i32_e32 v16, 31, v15
	v_cmp_gt_i32_e64 s3, s29, v15
	v_sub_co_u32 v62, s29, 0, v57
	v_mov_b32_e32 v2, v6
	v_mad_co_u64_u32 v[13:14], null, s17, v14, v[4:5]
	v_lshlrev_b64_e32 v[7:8], 3, v[7:8]
	v_lshlrev_b64_e32 v[15:16], 3, v[15:16]
	s_delay_alu instid0(VALU_DEP_4) | instskip(SKIP_4) | instid1(VALU_DEP_3)
	v_mad_co_u64_u32 v[17:18], null, s9, v17, v[2:3]
	v_add_co_u32 v2, vcc_lo, s6, v9
	v_lshlrev_b64_e32 v[18:19], 3, v[11:12]
	s_wait_alu 0xfffd
	v_add_co_ci_u32_e64 v4, null, s7, v10, vcc_lo
	v_add_co_u32 v11, vcc_lo, 0x80, v2
	s_wait_alu 0xf1ff
	v_sub_co_ci_u32_e64 v63, null, 0, 0, s29
	s_wait_alu 0xfffd
	v_add_co_ci_u32_e64 v12, null, 0, v4, vcc_lo
	v_mov_b32_e32 v4, v13
	v_add_co_u32 v13, vcc_lo, s4, v18
	v_dual_mov_b32 v6, v17 :: v_dual_add_nc_u32 v67, 0x1000, v59
	s_wait_alu 0xfffd
	v_add_co_ci_u32_e64 v14, null, s5, v19, vcc_lo
	v_add_nc_u32_e32 v66, 0x800, v59
	v_add_nc_u32_e32 v68, 0x1800, v59
	s_lshl_b64 s[22:23], s[16:17], 8
	s_add_nc_u64 s[44:45], s[40:41], -16
	s_lshl_b64 s[12:13], s[18:19], 3
	s_lshl_b64 s[10:11], s[10:11], 3
	s_branch .LBB53_4
.LBB53_3:                               ;   in Loop: Header=BB53_4 Depth=1
	s_add_co_i32 s34, s34, 0x10000
	s_wait_alu 0xfffe
	s_cmp_ge_u32 s34, s31
	s_cbranch_scc1 .LBB53_54
.LBB53_4:                               ; =>This Loop Header: Depth=1
                                        ;     Child Loop BB53_7 Depth 2
                                        ;       Child Loop BB53_10 Depth 3
	s_and_not1_b32 vcc_lo, exec_lo, s47
	s_wait_alu 0xfffe
	s_cbranch_vccnz .LBB53_3
; %bb.5:                                ;   in Loop: Header=BB53_4 Depth=1
	v_mad_co_u64_u32 v[17:18], null, s12, s34, v[11:12]
	s_load_b32 s18, s[38:39], 0x4
	v_mad_co_u64_u32 v[19:20], null, s10, s34, v[5:6]
	v_mad_co_u64_u32 v[21:22], null, s10, s34, v[13:14]
	s_mul_i32 s6, s11, s34
	v_mov_b32_e32 v2, v18
	s_mul_u64 s[4:5], s[26:27], s[34:35]
	s_mov_b32 s29, s33
	s_wait_alu 0xfffe
	v_add_nc_u32_e32 v20, s6, v20
	s_lshl_b64 s[4:5], s[4:5], 3
	v_mad_co_u64_u32 v[23:24], null, s13, s34, v[2:3]
	v_add_nc_u32_e32 v22, s6, v22
	s_wait_alu 0xfffe
	s_add_nc_u64 s[14:15], s[20:21], s[4:5]
	s_delay_alu instid0(VALU_DEP_2)
	v_dual_mov_b32 v18, v23 :: v_dual_mov_b32 v23, v64
	s_wait_kmcnt 0x0
	s_lshl_b32 s19, s18, 5
	s_branch .LBB53_7
.LBB53_6:                               ;   in Loop: Header=BB53_7 Depth=2
	s_wait_alu 0xfffe
	s_or_b32 exec_lo, exec_lo, s4
	v_add_nc_u32_e32 v23, s19, v23
	s_add_co_i32 s29, s18, s29
	s_wait_alu 0xfffe
	s_cmp_gt_i32 s29, s46
	s_cbranch_scc1 .LBB53_3
.LBB53_7:                               ;   Parent Loop BB53_4 Depth=1
                                        ; =>  This Loop Header: Depth=2
                                        ;       Child Loop BB53_10 Depth 3
	s_lshl_b32 s48, s29, 5
	v_mov_b32_e32 v49, 0
	s_wait_alu 0xfffe
	v_dual_mov_b32 v50, 0 :: v_dual_add_nc_u32 v25, s48, v0
	v_mov_b32_e32 v47, 0
	v_mov_b32_e32 v45, 0
	v_dual_mov_b32 v43, 0 :: v_dual_mov_b32 v48, 0
	v_mov_b32_e32 v46, 0
	v_mov_b32_e32 v44, 0
	v_ashrrev_i32_e32 v26, 31, v25
	s_cmp_lt_i32 s29, 0
	s_cbranch_scc1 .LBB53_46
; %bb.8:                                ;   in Loop: Header=BB53_7 Depth=2
	v_ashrrev_i32_e32 v24, 31, v23
	v_add_co_u32 v27, vcc_lo, v25, 16
	s_wait_alu 0xfffd
	v_add_co_ci_u32_e64 v28, null, 0, v26, vcc_lo
	v_add_co_u32 v29, vcc_lo, v62, v23
	s_wait_alu 0xfffd
	v_add_co_ci_u32_e64 v30, null, v63, v24, vcc_lo
	v_mov_b32_e32 v45, 0
	s_delay_alu instid0(VALU_DEP_3) | instskip(SKIP_1) | instid1(VALU_DEP_3)
	v_add_co_u32 v33, s5, v29, 16
	s_wait_alu 0xf1ff
	v_add_co_ci_u32_e64 v34, null, 0, v30, s5
	v_add_co_u32 v35, s5, v29, -16
	v_lshlrev_b64_e32 v[31:32], 3, v[23:24]
	v_cmp_le_i64_e64 s4, s[40:41], v[27:28]
	v_dual_mov_b32 v43, 0 :: v_dual_mov_b32 v38, v22
	v_dual_mov_b32 v46, 0 :: v_dual_mov_b32 v47, 0
	;; [unrolled: 1-line block ×3, first 2 shown]
	s_wait_alu 0xf1ff
	v_add_co_ci_u32_e64 v36, null, -1, v30, s5
	v_dual_mov_b32 v44, 0 :: v_dual_mov_b32 v37, v21
	v_dual_mov_b32 v40, v20 :: v_dual_mov_b32 v39, v19
	v_mov_b32_e32 v48, 0
	v_dual_mov_b32 v50, 0 :: v_dual_mov_b32 v41, v17
	s_mov_b64 s[16:17], 0
	v_cmp_le_i32_e32 vcc_lo, s30, v25
	s_branch .LBB53_10
.LBB53_9:                               ;   in Loop: Header=BB53_10 Depth=3
	s_wait_alu 0xfffe
	s_or_b32 exec_lo, exec_lo, s5
	s_wait_dscnt 0x0
	s_barrier_signal -1
	s_barrier_wait -1
	global_inv scope:SCOPE_SE
	ds_load_b128 v[51:54], v58
	ds_load_2addr_b64 v[69:72], v59 offset1:16
	ds_load_b128 v[73:76], v58 offset:4096
	ds_load_b128 v[77:80], v58 offset:16
	;; [unrolled: 1-line block ×3, first 2 shown]
	v_add_co_u32 v41, s5, v41, s22
	s_wait_alu 0xf1ff
	v_add_co_ci_u32_e64 v42, null, s23, v42, s5
	v_add_co_u32 v39, s5, v39, s42
	s_wait_alu 0xf1ff
	v_add_co_ci_u32_e64 v40, null, s43, v40, s5
	v_add_co_u32 v37, s5, v37, s42
	s_add_nc_u64 s[16:17], s[16:17], 32
	v_add_co_ci_u32_e64 v38, null, s43, v38, s5
	s_wait_alu 0xfffe
	s_sub_co_i32 s5, s16, 32
	s_wait_alu 0xfffe
	s_cmp_ge_i32 s5, s48
	s_wait_dscnt 0x3
	v_fma_f64 v[49:50], v[69:70], v[51:52], v[49:50]
	v_fma_f64 v[47:48], v[71:72], v[51:52], v[47:48]
	s_wait_dscnt 0x2
	v_fma_f64 v[51:52], v[69:70], v[73:74], v[45:46]
	v_fma_f64 v[55:56], v[71:72], v[73:74], v[43:44]
	ds_load_2addr_b64 v[43:46], v59 offset0:32 offset1:48
	s_wait_dscnt 0x0
	v_fma_f64 v[49:50], v[43:44], v[53:54], v[49:50]
	v_fma_f64 v[47:48], v[45:46], v[53:54], v[47:48]
	v_fma_f64 v[51:52], v[43:44], v[75:76], v[51:52]
	v_fma_f64 v[53:54], v[45:46], v[75:76], v[55:56]
	ds_load_2addr_b64 v[43:46], v59 offset0:64 offset1:80
	s_wait_dscnt 0x0
	v_fma_f64 v[49:50], v[43:44], v[77:78], v[49:50]
	v_fma_f64 v[47:48], v[45:46], v[77:78], v[47:48]
	v_fma_f64 v[51:52], v[43:44], v[81:82], v[51:52]
	v_fma_f64 v[53:54], v[45:46], v[81:82], v[53:54]
	ds_load_2addr_b64 v[43:46], v59 offset0:96 offset1:112
	s_wait_dscnt 0x0
	v_fma_f64 v[55:56], v[43:44], v[79:80], v[49:50]
	v_fma_f64 v[77:78], v[45:46], v[79:80], v[47:48]
	v_fma_f64 v[79:80], v[43:44], v[83:84], v[51:52]
	v_fma_f64 v[81:82], v[45:46], v[83:84], v[53:54]
	ds_load_b128 v[43:46], v58 offset:32
	ds_load_2addr_b64 v[47:50], v59 offset0:128 offset1:144
	ds_load_b128 v[51:54], v58 offset:4128
	ds_load_b128 v[69:72], v58 offset:48
	ds_load_b128 v[73:76], v58 offset:4144
	s_wait_dscnt 0x3
	v_fma_f64 v[55:56], v[47:48], v[43:44], v[55:56]
	v_fma_f64 v[43:44], v[49:50], v[43:44], v[77:78]
	s_wait_dscnt 0x2
	v_fma_f64 v[77:78], v[47:48], v[51:52], v[79:80]
	v_fma_f64 v[51:52], v[49:50], v[51:52], v[81:82]
	ds_load_2addr_b64 v[47:50], v59 offset0:160 offset1:176
	s_wait_dscnt 0x0
	v_fma_f64 v[55:56], v[47:48], v[45:46], v[55:56]
	v_fma_f64 v[79:80], v[49:50], v[45:46], v[43:44]
	v_fma_f64 v[47:48], v[47:48], v[53:54], v[77:78]
	v_fma_f64 v[49:50], v[49:50], v[53:54], v[51:52]
	ds_load_2addr_b64 v[43:46], v59 offset0:192 offset1:208
	s_wait_dscnt 0x0
	v_fma_f64 v[51:52], v[43:44], v[69:70], v[55:56]
	v_fma_f64 v[53:54], v[45:46], v[69:70], v[79:80]
	v_fma_f64 v[47:48], v[43:44], v[73:74], v[47:48]
	v_fma_f64 v[49:50], v[45:46], v[73:74], v[49:50]
	ds_load_2addr_b64 v[43:46], v59 offset0:224 offset1:240
	s_wait_dscnt 0x0
	v_fma_f64 v[55:56], v[43:44], v[71:72], v[51:52]
	v_fma_f64 v[77:78], v[45:46], v[71:72], v[53:54]
	v_fma_f64 v[79:80], v[43:44], v[75:76], v[47:48]
	v_fma_f64 v[81:82], v[45:46], v[75:76], v[49:50]
	ds_load_b128 v[43:46], v58 offset:64
	ds_load_2addr_b64 v[47:50], v66 offset1:16
	ds_load_b128 v[51:54], v58 offset:4160
	ds_load_b128 v[69:72], v58 offset:80
	ds_load_b128 v[73:76], v58 offset:4176
	s_wait_dscnt 0x3
	v_fma_f64 v[55:56], v[47:48], v[43:44], v[55:56]
	v_fma_f64 v[43:44], v[49:50], v[43:44], v[77:78]
	s_wait_dscnt 0x2
	v_fma_f64 v[77:78], v[47:48], v[51:52], v[79:80]
	v_fma_f64 v[51:52], v[49:50], v[51:52], v[81:82]
	ds_load_2addr_b64 v[47:50], v66 offset0:32 offset1:48
	s_wait_dscnt 0x0
	v_fma_f64 v[55:56], v[47:48], v[45:46], v[55:56]
	v_fma_f64 v[79:80], v[49:50], v[45:46], v[43:44]
	v_fma_f64 v[47:48], v[47:48], v[53:54], v[77:78]
	v_fma_f64 v[49:50], v[49:50], v[53:54], v[51:52]
	ds_load_2addr_b64 v[43:46], v66 offset0:64 offset1:80
	s_wait_dscnt 0x0
	v_fma_f64 v[51:52], v[43:44], v[69:70], v[55:56]
	v_fma_f64 v[53:54], v[45:46], v[69:70], v[79:80]
	v_fma_f64 v[47:48], v[43:44], v[73:74], v[47:48]
	v_fma_f64 v[49:50], v[45:46], v[73:74], v[49:50]
	ds_load_2addr_b64 v[43:46], v66 offset0:96 offset1:112
	s_wait_dscnt 0x0
	v_fma_f64 v[55:56], v[43:44], v[71:72], v[51:52]
	v_fma_f64 v[77:78], v[45:46], v[71:72], v[53:54]
	v_fma_f64 v[79:80], v[43:44], v[75:76], v[47:48]
	v_fma_f64 v[81:82], v[45:46], v[75:76], v[49:50]
	ds_load_b128 v[43:46], v58 offset:96
	ds_load_2addr_b64 v[47:50], v66 offset0:128 offset1:144
	ds_load_b128 v[51:54], v58 offset:4192
	ds_load_b128 v[69:72], v58 offset:112
	ds_load_b128 v[73:76], v58 offset:4208
	s_wait_dscnt 0x3
	v_fma_f64 v[55:56], v[47:48], v[43:44], v[55:56]
	v_fma_f64 v[43:44], v[49:50], v[43:44], v[77:78]
	s_wait_dscnt 0x2
	v_fma_f64 v[77:78], v[47:48], v[51:52], v[79:80]
	v_fma_f64 v[51:52], v[49:50], v[51:52], v[81:82]
	ds_load_2addr_b64 v[47:50], v66 offset0:160 offset1:176
	s_wait_dscnt 0x0
	v_fma_f64 v[55:56], v[47:48], v[45:46], v[55:56]
	v_fma_f64 v[79:80], v[49:50], v[45:46], v[43:44]
	v_fma_f64 v[47:48], v[47:48], v[53:54], v[77:78]
	v_fma_f64 v[49:50], v[49:50], v[53:54], v[51:52]
	ds_load_2addr_b64 v[43:46], v66 offset0:192 offset1:208
	s_wait_dscnt 0x0
	v_fma_f64 v[51:52], v[43:44], v[69:70], v[55:56]
	v_fma_f64 v[53:54], v[45:46], v[69:70], v[79:80]
	v_fma_f64 v[47:48], v[43:44], v[73:74], v[47:48]
	v_fma_f64 v[49:50], v[45:46], v[73:74], v[49:50]
	ds_load_2addr_b64 v[43:46], v66 offset0:224 offset1:240
	s_wait_dscnt 0x0
	v_fma_f64 v[55:56], v[43:44], v[71:72], v[51:52]
	v_fma_f64 v[77:78], v[45:46], v[71:72], v[53:54]
	v_fma_f64 v[79:80], v[43:44], v[75:76], v[47:48]
	v_fma_f64 v[81:82], v[45:46], v[75:76], v[49:50]
	ds_load_b128 v[43:46], v58 offset:128
	ds_load_2addr_b64 v[47:50], v67 offset1:16
	ds_load_b128 v[51:54], v58 offset:4224
	ds_load_b128 v[69:72], v58 offset:144
	ds_load_b128 v[73:76], v58 offset:4240
	;; [unrolled: 58-line block ×3, first 2 shown]
	s_wait_dscnt 0x3
	v_fma_f64 v[55:56], v[47:48], v[43:44], v[55:56]
	v_fma_f64 v[43:44], v[49:50], v[43:44], v[77:78]
	s_wait_dscnt 0x2
	v_fma_f64 v[77:78], v[47:48], v[51:52], v[79:80]
	v_fma_f64 v[51:52], v[49:50], v[51:52], v[81:82]
	ds_load_2addr_b64 v[47:50], v68 offset0:32 offset1:48
	s_wait_dscnt 0x0
	v_fma_f64 v[55:56], v[47:48], v[45:46], v[55:56]
	v_fma_f64 v[79:80], v[49:50], v[45:46], v[43:44]
	v_fma_f64 v[47:48], v[47:48], v[53:54], v[77:78]
	v_fma_f64 v[49:50], v[49:50], v[53:54], v[51:52]
	ds_load_2addr_b64 v[43:46], v68 offset0:64 offset1:80
	s_wait_dscnt 0x0
	v_fma_f64 v[51:52], v[43:44], v[69:70], v[55:56]
	v_fma_f64 v[53:54], v[45:46], v[69:70], v[79:80]
	;; [unrolled: 6-line block ×3, first 2 shown]
	v_fma_f64 v[79:80], v[43:44], v[75:76], v[47:48]
	v_fma_f64 v[81:82], v[45:46], v[75:76], v[49:50]
	ds_load_b128 v[43:46], v58 offset:224
	ds_load_2addr_b64 v[47:50], v68 offset0:128 offset1:144
	ds_load_b128 v[51:54], v58 offset:4320
	ds_load_b128 v[69:72], v58 offset:240
	;; [unrolled: 1-line block ×3, first 2 shown]
	s_wait_dscnt 0x3
	v_fma_f64 v[55:56], v[47:48], v[43:44], v[55:56]
	v_fma_f64 v[43:44], v[49:50], v[43:44], v[77:78]
	s_wait_dscnt 0x2
	v_fma_f64 v[77:78], v[47:48], v[51:52], v[79:80]
	v_fma_f64 v[51:52], v[49:50], v[51:52], v[81:82]
	ds_load_2addr_b64 v[47:50], v68 offset0:160 offset1:176
	s_wait_dscnt 0x0
	v_fma_f64 v[55:56], v[47:48], v[45:46], v[55:56]
	v_fma_f64 v[79:80], v[49:50], v[45:46], v[43:44]
	;; [unrolled: 1-line block ×4, first 2 shown]
	ds_load_2addr_b64 v[43:46], v68 offset0:192 offset1:208
	ds_load_2addr_b64 v[51:54], v68 offset0:224 offset1:240
	s_wait_loadcnt_dscnt 0x0
	s_barrier_signal -1
	s_barrier_wait -1
	global_inv scope:SCOPE_SE
	v_fma_f64 v[55:56], v[43:44], v[69:70], v[55:56]
	v_fma_f64 v[69:70], v[45:46], v[69:70], v[79:80]
	v_fma_f64 v[43:44], v[43:44], v[73:74], v[47:48]
	v_fma_f64 v[73:74], v[45:46], v[73:74], v[49:50]
	s_delay_alu instid0(VALU_DEP_4) | instskip(NEXT) | instid1(VALU_DEP_4)
	v_fma_f64 v[49:50], v[51:52], v[71:72], v[55:56]
	v_fma_f64 v[47:48], v[53:54], v[71:72], v[69:70]
	s_delay_alu instid0(VALU_DEP_4) | instskip(NEXT) | instid1(VALU_DEP_4)
	v_fma_f64 v[45:46], v[51:52], v[75:76], v[43:44]
	v_fma_f64 v[43:44], v[53:54], v[75:76], v[73:74]
	s_cbranch_scc1 .LBB53_46
.LBB53_10:                              ;   Parent Loop BB53_4 Depth=1
                                        ;     Parent Loop BB53_7 Depth=2
                                        ; =>    This Inner Loop Header: Depth=3
	s_wait_alu 0xfffe
	v_add_co_u32 v51, s5, v57, s16
	s_wait_alu 0xf1ff
	v_add_co_ci_u32_e64 v52, null, 0, s17, s5
	v_cmp_eq_u64_e64 s7, s[16:17], v[29:30]
                                        ; implicit-def: $vgpr55_vgpr56
	s_delay_alu instid0(VALU_DEP_2)
	v_cmp_gt_i64_e64 s5, v[51:52], v[25:26]
	v_cmp_le_i64_e64 s6, s[40:41], v[51:52]
	s_and_b32 s49, s28, s7
	v_add_co_u32 v53, s7, v37, v31
	s_or_b32 s8, vcc_lo, s5
	v_add_co_ci_u32_e64 v54, null, v38, v32, s7
	s_wait_alu 0xfffe
	s_or_b32 s7, s8, s49
	s_wait_alu 0xfffe
	s_nor_b32 s7, s6, s7
	s_wait_alu 0xfffe
	s_and_saveexec_b32 s8, s7
	s_wait_alu 0xfffe
	s_xor_b32 s7, exec_lo, s8
	s_cbranch_execz .LBB53_12
; %bb.11:                               ;   in Loop: Header=BB53_10 Depth=3
	global_load_b64 v[55:56], v[53:54], off
.LBB53_12:                              ;   in Loop: Header=BB53_10 Depth=3
	s_wait_alu 0xfffe
	s_and_not1_saveexec_b32 s7, s7
	s_cbranch_execz .LBB53_14
; %bb.13:                               ;   in Loop: Header=BB53_10 Depth=3
	v_cndmask_b32_e64 v2, 0, 0x3ff00000, s49
	s_wait_loadcnt 0x0
	s_delay_alu instid0(VALU_DEP_1)
	v_dual_mov_b32 v56, v2 :: v_dual_mov_b32 v55, v1
.LBB53_14:                              ;   in Loop: Header=BB53_10 Depth=3
	s_wait_alu 0xfffe
	s_or_b32 exec_lo, exec_lo, s7
	v_add_co_u32 v69, s7, v51, 16
	s_wait_alu 0xf1ff
	v_add_co_ci_u32_e64 v70, null, 0, v52, s7
	v_cmp_eq_u64_e64 s8, s[16:17], v[35:36]
	s_wait_loadcnt 0x0
	ds_store_b64 v60, v[55:56]
	v_cmp_gt_i64_e64 s9, v[69:70], v[25:26]
	v_cmp_le_i64_e64 s7, s[40:41], v[69:70]
	s_and_b32 s50, s28, s8
	s_or_b32 s8, vcc_lo, s9
	s_wait_alu 0xfffe
	s_or_b32 s8, s8, s50
	s_wait_alu 0xfffe
	s_nor_b32 s8, s7, s8
	s_wait_alu 0xfffe
	s_and_saveexec_b32 s9, s8
	s_wait_alu 0xfffe
	s_xor_b32 s9, exec_lo, s9
	s_cbranch_execz .LBB53_16
; %bb.15:                               ;   in Loop: Header=BB53_10 Depth=3
	v_add_co_u32 v55, s8, v39, v31
	s_wait_alu 0xf1ff
	v_add_co_ci_u32_e64 v56, null, v40, v32, s8
	global_load_b64 v[55:56], v[55:56], off
	s_wait_loadcnt 0x0
	ds_store_b64 v60, v[55:56] offset:128
.LBB53_16:                              ;   in Loop: Header=BB53_10 Depth=3
	s_wait_alu 0xfffe
	s_and_not1_saveexec_b32 s8, s9
	s_cbranch_execz .LBB53_22
; %bb.17:                               ;   in Loop: Header=BB53_10 Depth=3
	s_xor_b32 s9, s50, -1
	s_wait_alu 0xfffe
	s_and_saveexec_b32 s50, s9
	s_delay_alu instid0(SALU_CYCLE_1)
	s_xor_b32 s9, exec_lo, s50
; %bb.18:                               ;   in Loop: Header=BB53_10 Depth=3
	v_mov_b32_e32 v2, v1
	ds_store_b64 v60, v[1:2] offset:128
; %bb.19:                               ;   in Loop: Header=BB53_10 Depth=3
	s_wait_alu 0xfffe
	s_and_not1_saveexec_b32 s9, s9
; %bb.20:                               ;   in Loop: Header=BB53_10 Depth=3
	v_mov_b32_e32 v2, v65
	ds_store_b64 v60, v[1:2] offset:128
; %bb.21:                               ;   in Loop: Header=BB53_10 Depth=3
	s_wait_alu 0xfffe
	s_or_b32 exec_lo, exec_lo, s9
.LBB53_22:                              ;   in Loop: Header=BB53_10 Depth=3
	s_wait_alu 0xfffe
	s_or_b32 exec_lo, exec_lo, s8
	v_cmp_eq_u64_e64 s8, s[16:17], v[33:34]
	v_cmp_gt_i64_e64 s9, v[51:52], v[27:28]
                                        ; implicit-def: $vgpr51_vgpr52
	s_and_b32 s8, s28, s8
	s_or_b32 s9, s4, s9
	s_wait_alu 0xfffe
	s_or_b32 s9, s9, s8
	s_wait_alu 0xfffe
	s_nor_b32 s6, s6, s9
	s_wait_alu 0xfffe
	s_and_saveexec_b32 s9, s6
	s_wait_alu 0xfffe
	s_xor_b32 s6, exec_lo, s9
	s_cbranch_execz .LBB53_24
; %bb.23:                               ;   in Loop: Header=BB53_10 Depth=3
	global_load_b64 v[51:52], v[53:54], off offset:128
.LBB53_24:                              ;   in Loop: Header=BB53_10 Depth=3
	s_wait_alu 0xfffe
	s_and_not1_saveexec_b32 s6, s6
	s_cbranch_execz .LBB53_26
; %bb.25:                               ;   in Loop: Header=BB53_10 Depth=3
	v_cndmask_b32_e64 v2, 0, 0x3ff00000, s8
	s_wait_loadcnt 0x0
	s_delay_alu instid0(VALU_DEP_1)
	v_dual_mov_b32 v52, v2 :: v_dual_mov_b32 v51, v1
.LBB53_26:                              ;   in Loop: Header=BB53_10 Depth=3
	s_wait_alu 0xfffe
	s_or_b32 exec_lo, exec_lo, s6
	s_or_b32 s5, s4, s5
	s_wait_loadcnt 0x0
	ds_store_b64 v60, v[51:52] offset:4096
	s_wait_alu 0xfffe
	s_or_b32 s5, s5, s49
	s_wait_alu 0xfffe
	s_nor_b32 s5, s7, s5
	s_wait_alu 0xfffe
	s_and_saveexec_b32 s6, s5
	s_wait_alu 0xfffe
	s_xor_b32 s6, exec_lo, s6
	s_cbranch_execz .LBB53_28
; %bb.27:                               ;   in Loop: Header=BB53_10 Depth=3
	v_add_co_u32 v51, s5, v39, v31
	s_wait_alu 0xf1ff
	v_add_co_ci_u32_e64 v52, null, v40, v32, s5
	global_load_b64 v[51:52], v[51:52], off offset:128
	s_wait_loadcnt 0x0
	ds_store_b64 v60, v[51:52] offset:4224
.LBB53_28:                              ;   in Loop: Header=BB53_10 Depth=3
	s_wait_alu 0xfffe
	s_and_not1_saveexec_b32 s5, s6
	s_cbranch_execz .LBB53_34
; %bb.29:                               ;   in Loop: Header=BB53_10 Depth=3
	s_xor_b32 s6, s49, -1
	s_wait_alu 0xfffe
	s_and_saveexec_b32 s7, s6
	s_wait_alu 0xfffe
	s_xor_b32 s6, exec_lo, s7
; %bb.30:                               ;   in Loop: Header=BB53_10 Depth=3
	v_mov_b32_e32 v2, v1
	ds_store_b64 v60, v[1:2] offset:4224
; %bb.31:                               ;   in Loop: Header=BB53_10 Depth=3
	s_wait_alu 0xfffe
	s_and_not1_saveexec_b32 s6, s6
; %bb.32:                               ;   in Loop: Header=BB53_10 Depth=3
	v_mov_b32_e32 v2, v65
	ds_store_b64 v60, v[1:2] offset:4224
; %bb.33:                               ;   in Loop: Header=BB53_10 Depth=3
	s_wait_alu 0xfffe
	s_or_b32 exec_lo, exec_lo, s6
.LBB53_34:                              ;   in Loop: Header=BB53_10 Depth=3
	s_wait_alu 0xfffe
	s_or_b32 exec_lo, exec_lo, s5
	v_add_co_u32 v51, s5, v0, s16
	s_wait_alu 0xf1ff
	v_add_co_ci_u32_e64 v52, null, 0, s17, s5
	v_add_co_u32 v53, s6, v41, v7
	v_mov_b32_e32 v55, 0
	s_delay_alu instid0(VALU_DEP_3)
	v_cmp_le_i64_e64 s5, s[40:41], v[51:52]
	v_mov_b32_e32 v56, 0
	s_wait_alu 0xf1ff
	v_add_co_ci_u32_e64 v54, null, v42, v8, s6
	s_nor_b32 s7, s5, s1
	s_wait_alu 0xfffe
	s_and_saveexec_b32 s6, s7
	s_cbranch_execz .LBB53_36
; %bb.35:                               ;   in Loop: Header=BB53_10 Depth=3
	global_load_b64 v[55:56], v[53:54], off offset:-128
.LBB53_36:                              ;   in Loop: Header=BB53_10 Depth=3
	s_wait_alu 0xfffe
	s_or_b32 exec_lo, exec_lo, s6
	s_nor_b32 s5, s5, s2
	s_wait_loadcnt 0x0
	ds_store_b64 v61, v[55:56]
	s_wait_alu 0xfffe
	s_and_saveexec_b32 s6, s5
	s_wait_alu 0xfffe
	s_xor_b32 s5, exec_lo, s6
	s_cbranch_execz .LBB53_38
; %bb.37:                               ;   in Loop: Header=BB53_10 Depth=3
	global_load_b64 v[53:54], v[53:54], off
	s_wait_loadcnt 0x0
	ds_store_b64 v61, v[53:54] offset:128
.LBB53_38:                              ;   in Loop: Header=BB53_10 Depth=3
	s_wait_alu 0xfffe
	s_and_not1_saveexec_b32 s5, s5
; %bb.39:                               ;   in Loop: Header=BB53_10 Depth=3
	v_mov_b32_e32 v2, v1
	ds_store_b64 v61, v[1:2] offset:128
; %bb.40:                               ;   in Loop: Header=BB53_10 Depth=3
	s_wait_alu 0xfffe
	s_or_b32 exec_lo, exec_lo, s5
	v_cmp_le_i64_e64 s5, s[44:45], v[51:52]
	v_add_co_u32 v51, s6, v41, v3
	v_mov_b32_e32 v53, 0
	v_mov_b32_e32 v54, 0
	s_wait_alu 0xf1ff
	v_add_co_ci_u32_e64 v52, null, v42, v4, s6
	s_nor_b32 s7, s5, s1
	s_wait_alu 0xfffe
	s_and_saveexec_b32 s6, s7
	s_cbranch_execz .LBB53_42
; %bb.41:                               ;   in Loop: Header=BB53_10 Depth=3
	global_load_b64 v[53:54], v[51:52], off offset:-128
.LBB53_42:                              ;   in Loop: Header=BB53_10 Depth=3
	s_wait_alu 0xfffe
	s_or_b32 exec_lo, exec_lo, s6
	s_nor_b32 s5, s5, s2
	s_wait_loadcnt 0x0
	ds_store_b64 v61, v[53:54] offset:4096
	s_wait_alu 0xfffe
	s_and_saveexec_b32 s6, s5
	s_wait_alu 0xfffe
	s_xor_b32 s5, exec_lo, s6
	s_cbranch_execz .LBB53_44
; %bb.43:                               ;   in Loop: Header=BB53_10 Depth=3
	global_load_b64 v[51:52], v[51:52], off
	s_wait_loadcnt 0x0
	ds_store_b64 v61, v[51:52] offset:4224
.LBB53_44:                              ;   in Loop: Header=BB53_10 Depth=3
	s_wait_alu 0xfffe
	s_and_not1_saveexec_b32 s5, s5
	s_cbranch_execz .LBB53_9
; %bb.45:                               ;   in Loop: Header=BB53_10 Depth=3
	v_mov_b32_e32 v2, v1
	ds_store_b64 v61, v[1:2] offset:4224
	s_branch .LBB53_9
.LBB53_46:                              ;   in Loop: Header=BB53_7 Depth=2
	v_mul_lo_u32 v2, s25, v25
	s_delay_alu instid0(VALU_DEP_2) | instskip(SKIP_2) | instid1(VALU_DEP_2)
	v_mul_lo_u32 v24, s24, v26
	v_mad_co_u64_u32 v[26:27], null, s24, v25, 0
	v_cmp_gt_i32_e32 vcc_lo, s30, v25
	v_add3_u32 v27, v27, v24, v2
	s_delay_alu instid0(VALU_DEP_1) | instskip(NEXT) | instid1(VALU_DEP_1)
	v_lshlrev_b64_e32 v[26:27], 3, v[26:27]
	v_add_co_u32 v2, s4, s14, v26
	s_wait_alu 0xf1ff
	s_delay_alu instid0(VALU_DEP_2)
	v_add_co_ci_u32_e64 v24, null, s15, v27, s4
	s_and_b32 s4, s0, vcc_lo
	s_wait_alu 0xfffe
	s_and_saveexec_b32 s5, s4
	s_cbranch_execz .LBB53_48
; %bb.47:                               ;   in Loop: Header=BB53_7 Depth=2
	v_add_co_u32 v26, s4, v2, v9
	s_wait_alu 0xf1ff
	v_add_co_ci_u32_e64 v27, null, v24, v10, s4
	global_load_b64 v[28:29], v[26:27], off
	s_wait_loadcnt 0x0
	v_fma_f64 v[28:29], s[36:37], v[49:50], v[28:29]
	global_store_b64 v[26:27], v[28:29], off
.LBB53_48:                              ;   in Loop: Header=BB53_7 Depth=2
	s_wait_alu 0xfffe
	s_or_b32 exec_lo, exec_lo, s5
	s_and_b32 s5, s3, vcc_lo
	s_wait_alu 0xfffe
	s_and_saveexec_b32 s4, s5
	s_cbranch_execz .LBB53_50
; %bb.49:                               ;   in Loop: Header=BB53_7 Depth=2
	v_add_co_u32 v26, vcc_lo, v2, v15
	s_wait_alu 0xfffd
	v_add_co_ci_u32_e64 v27, null, v24, v16, vcc_lo
	global_load_b64 v[28:29], v[26:27], off
	s_wait_loadcnt 0x0
	v_fma_f64 v[28:29], s[36:37], v[47:48], v[28:29]
	global_store_b64 v[26:27], v[28:29], off
.LBB53_50:                              ;   in Loop: Header=BB53_7 Depth=2
	s_wait_alu 0xfffe
	s_or_b32 exec_lo, exec_lo, s4
	v_add_nc_u32_e32 v2, 16, v25
	s_delay_alu instid0(VALU_DEP_1) | instskip(SKIP_3) | instid1(VALU_DEP_4)
	v_ashrrev_i32_e32 v26, 31, v2
	v_mul_lo_u32 v27, s25, v2
	v_mad_co_u64_u32 v[24:25], null, s24, v2, 0
	v_cmp_gt_i32_e32 vcc_lo, s30, v2
	v_mul_lo_u32 v26, s24, v26
	s_delay_alu instid0(VALU_DEP_1) | instskip(NEXT) | instid1(VALU_DEP_1)
	v_add3_u32 v25, v25, v26, v27
	v_lshlrev_b64_e32 v[24:25], 3, v[24:25]
	s_delay_alu instid0(VALU_DEP_1) | instskip(SKIP_1) | instid1(VALU_DEP_2)
	v_add_co_u32 v2, s4, s14, v24
	s_wait_alu 0xf1ff
	v_add_co_ci_u32_e64 v24, null, s15, v25, s4
	s_and_b32 s4, s0, vcc_lo
	s_wait_alu 0xfffe
	s_and_saveexec_b32 s5, s4
	s_cbranch_execz .LBB53_52
; %bb.51:                               ;   in Loop: Header=BB53_7 Depth=2
	v_add_co_u32 v25, s4, v2, v9
	s_wait_alu 0xf1ff
	v_add_co_ci_u32_e64 v26, null, v24, v10, s4
	global_load_b64 v[27:28], v[25:26], off
	s_wait_loadcnt 0x0
	v_fma_f64 v[27:28], s[36:37], v[45:46], v[27:28]
	global_store_b64 v[25:26], v[27:28], off
.LBB53_52:                              ;   in Loop: Header=BB53_7 Depth=2
	s_wait_alu 0xfffe
	s_or_b32 exec_lo, exec_lo, s5
	s_and_b32 s5, s3, vcc_lo
	s_wait_alu 0xfffe
	s_and_saveexec_b32 s4, s5
	s_cbranch_execz .LBB53_6
; %bb.53:                               ;   in Loop: Header=BB53_7 Depth=2
	v_add_co_u32 v25, vcc_lo, v2, v15
	s_wait_alu 0xfffd
	v_add_co_ci_u32_e64 v26, null, v24, v16, vcc_lo
	global_load_b64 v[27:28], v[25:26], off
	s_wait_loadcnt 0x0
	v_fma_f64 v[27:28], s[36:37], v[43:44], v[27:28]
	global_store_b64 v[25:26], v[27:28], off
	s_branch .LBB53_6
.LBB53_54:
	s_endpgm
	.section	.rodata,"a",@progbits
	.p2align	6, 0x0
	.amdhsa_kernel _ZL30rocblas_trmm_outofplace_kernelIdLi32ELi2ELb0ELb0ELb1ELb0EdKddEv17rocblas_diagonal_iiT6_lPT7_lllS4_lllPT8_llli
		.amdhsa_group_segment_fixed_size 16384
		.amdhsa_private_segment_fixed_size 0
		.amdhsa_kernarg_size 392
		.amdhsa_user_sgpr_count 2
		.amdhsa_user_sgpr_dispatch_ptr 0
		.amdhsa_user_sgpr_queue_ptr 0
		.amdhsa_user_sgpr_kernarg_segment_ptr 1
		.amdhsa_user_sgpr_dispatch_id 0
		.amdhsa_user_sgpr_private_segment_size 0
		.amdhsa_wavefront_size32 1
		.amdhsa_uses_dynamic_stack 0
		.amdhsa_enable_private_segment 0
		.amdhsa_system_sgpr_workgroup_id_x 1
		.amdhsa_system_sgpr_workgroup_id_y 1
		.amdhsa_system_sgpr_workgroup_id_z 1
		.amdhsa_system_sgpr_workgroup_info 0
		.amdhsa_system_vgpr_workitem_id 1
		.amdhsa_next_free_vgpr 85
		.amdhsa_next_free_sgpr 51
		.amdhsa_reserve_vcc 1
		.amdhsa_float_round_mode_32 0
		.amdhsa_float_round_mode_16_64 0
		.amdhsa_float_denorm_mode_32 3
		.amdhsa_float_denorm_mode_16_64 3
		.amdhsa_fp16_overflow 0
		.amdhsa_workgroup_processor_mode 1
		.amdhsa_memory_ordered 1
		.amdhsa_forward_progress 1
		.amdhsa_inst_pref_size 34
		.amdhsa_round_robin_scheduling 0
		.amdhsa_exception_fp_ieee_invalid_op 0
		.amdhsa_exception_fp_denorm_src 0
		.amdhsa_exception_fp_ieee_div_zero 0
		.amdhsa_exception_fp_ieee_overflow 0
		.amdhsa_exception_fp_ieee_underflow 0
		.amdhsa_exception_fp_ieee_inexact 0
		.amdhsa_exception_int_div_zero 0
	.end_amdhsa_kernel
	.section	.text._ZL30rocblas_trmm_outofplace_kernelIdLi32ELi2ELb0ELb0ELb1ELb0EdKddEv17rocblas_diagonal_iiT6_lPT7_lllS4_lllPT8_llli,"axG",@progbits,_ZL30rocblas_trmm_outofplace_kernelIdLi32ELi2ELb0ELb0ELb1ELb0EdKddEv17rocblas_diagonal_iiT6_lPT7_lllS4_lllPT8_llli,comdat
.Lfunc_end53:
	.size	_ZL30rocblas_trmm_outofplace_kernelIdLi32ELi2ELb0ELb0ELb1ELb0EdKddEv17rocblas_diagonal_iiT6_lPT7_lllS4_lllPT8_llli, .Lfunc_end53-_ZL30rocblas_trmm_outofplace_kernelIdLi32ELi2ELb0ELb0ELb1ELb0EdKddEv17rocblas_diagonal_iiT6_lPT7_lllS4_lllPT8_llli
                                        ; -- End function
	.set _ZL30rocblas_trmm_outofplace_kernelIdLi32ELi2ELb0ELb0ELb1ELb0EdKddEv17rocblas_diagonal_iiT6_lPT7_lllS4_lllPT8_llli.num_vgpr, 85
	.set _ZL30rocblas_trmm_outofplace_kernelIdLi32ELi2ELb0ELb0ELb1ELb0EdKddEv17rocblas_diagonal_iiT6_lPT7_lllS4_lllPT8_llli.num_agpr, 0
	.set _ZL30rocblas_trmm_outofplace_kernelIdLi32ELi2ELb0ELb0ELb1ELb0EdKddEv17rocblas_diagonal_iiT6_lPT7_lllS4_lllPT8_llli.numbered_sgpr, 51
	.set _ZL30rocblas_trmm_outofplace_kernelIdLi32ELi2ELb0ELb0ELb1ELb0EdKddEv17rocblas_diagonal_iiT6_lPT7_lllS4_lllPT8_llli.num_named_barrier, 0
	.set _ZL30rocblas_trmm_outofplace_kernelIdLi32ELi2ELb0ELb0ELb1ELb0EdKddEv17rocblas_diagonal_iiT6_lPT7_lllS4_lllPT8_llli.private_seg_size, 0
	.set _ZL30rocblas_trmm_outofplace_kernelIdLi32ELi2ELb0ELb0ELb1ELb0EdKddEv17rocblas_diagonal_iiT6_lPT7_lllS4_lllPT8_llli.uses_vcc, 1
	.set _ZL30rocblas_trmm_outofplace_kernelIdLi32ELi2ELb0ELb0ELb1ELb0EdKddEv17rocblas_diagonal_iiT6_lPT7_lllS4_lllPT8_llli.uses_flat_scratch, 0
	.set _ZL30rocblas_trmm_outofplace_kernelIdLi32ELi2ELb0ELb0ELb1ELb0EdKddEv17rocblas_diagonal_iiT6_lPT7_lllS4_lllPT8_llli.has_dyn_sized_stack, 0
	.set _ZL30rocblas_trmm_outofplace_kernelIdLi32ELi2ELb0ELb0ELb1ELb0EdKddEv17rocblas_diagonal_iiT6_lPT7_lllS4_lllPT8_llli.has_recursion, 0
	.set _ZL30rocblas_trmm_outofplace_kernelIdLi32ELi2ELb0ELb0ELb1ELb0EdKddEv17rocblas_diagonal_iiT6_lPT7_lllS4_lllPT8_llli.has_indirect_call, 0
	.section	.AMDGPU.csdata,"",@progbits
; Kernel info:
; codeLenInByte = 4324
; TotalNumSgprs: 53
; NumVgprs: 85
; ScratchSize: 0
; MemoryBound: 0
; FloatMode: 240
; IeeeMode: 1
; LDSByteSize: 16384 bytes/workgroup (compile time only)
; SGPRBlocks: 0
; VGPRBlocks: 10
; NumSGPRsForWavesPerEU: 53
; NumVGPRsForWavesPerEU: 85
; Occupancy: 16
; WaveLimiterHint : 0
; COMPUTE_PGM_RSRC2:SCRATCH_EN: 0
; COMPUTE_PGM_RSRC2:USER_SGPR: 2
; COMPUTE_PGM_RSRC2:TRAP_HANDLER: 0
; COMPUTE_PGM_RSRC2:TGID_X_EN: 1
; COMPUTE_PGM_RSRC2:TGID_Y_EN: 1
; COMPUTE_PGM_RSRC2:TGID_Z_EN: 1
; COMPUTE_PGM_RSRC2:TIDIG_COMP_CNT: 1
	.section	.text._ZL30rocblas_trmm_outofplace_kernelIdLi32ELi2ELb0ELb1ELb1ELb0EPKdS0_dEv17rocblas_diagonal_iiT6_lPT7_lllS5_lllPT8_llli,"axG",@progbits,_ZL30rocblas_trmm_outofplace_kernelIdLi32ELi2ELb0ELb1ELb1ELb0EPKdS0_dEv17rocblas_diagonal_iiT6_lPT7_lllS5_lllPT8_llli,comdat
	.globl	_ZL30rocblas_trmm_outofplace_kernelIdLi32ELi2ELb0ELb1ELb1ELb0EPKdS0_dEv17rocblas_diagonal_iiT6_lPT7_lllS5_lllPT8_llli ; -- Begin function _ZL30rocblas_trmm_outofplace_kernelIdLi32ELi2ELb0ELb1ELb1ELb0EPKdS0_dEv17rocblas_diagonal_iiT6_lPT7_lllS5_lllPT8_llli
	.p2align	8
	.type	_ZL30rocblas_trmm_outofplace_kernelIdLi32ELi2ELb0ELb1ELb1ELb0EPKdS0_dEv17rocblas_diagonal_iiT6_lPT7_lllS5_lllPT8_llli,@function
_ZL30rocblas_trmm_outofplace_kernelIdLi32ELi2ELb0ELb1ELb1ELb0EPKdS0_dEv17rocblas_diagonal_iiT6_lPT7_lllS5_lllPT8_llli: ; @_ZL30rocblas_trmm_outofplace_kernelIdLi32ELi2ELb0ELb1ELb1ELb0EPKdS0_dEv17rocblas_diagonal_iiT6_lPT7_lllS5_lllPT8_llli
; %bb.0:
	s_load_b32 s11, s[0:1], 0x80
	s_lshr_b32 s34, ttmp7, 16
	s_wait_kmcnt 0x0
	s_cmp_ge_u32 s34, s11
	s_cbranch_scc1 .LBB54_56
; %bb.1:
	s_clause 0x3
	s_load_b96 s[8:10], s[0:1], 0x0
	s_load_b256 s[36:43], s[0:1], 0x50
	s_load_b512 s[12:27], s[0:1], 0x10
	s_load_b128 s[28:31], s[0:1], 0x70
	s_add_nc_u64 s[44:45], s[0:1], 0x88
	v_and_b32_e32 v6, 0x3ff, v0
	v_bfe_u32 v52, v0, 10, 10
	s_and_b32 s33, ttmp7, 0xffff
	v_mov_b32_e32 v59, 0x3ff00000
	s_mov_b32 s35, 0
	v_lshl_add_u32 v2, ttmp9, 5, v6
	v_lshlrev_b32_e32 v0, 3, v6
	v_lshlrev_b32_e32 v53, 8, v52
	s_delay_alu instid0(VALU_DEP_3) | instskip(NEXT) | instid1(VALU_DEP_3)
	v_ashrrev_i32_e32 v3, 31, v2
	v_or_b32_e32 v54, 0x2000, v0
	s_delay_alu instid0(VALU_DEP_1)
	v_add_nc_u32_e32 v60, 0x800, v54
	s_wait_kmcnt 0x0
	s_add_co_i32 s0, s10, -1
	s_lshl_b64 s[2:3], s[42:43], 3
	s_wait_alu 0xfffe
	s_ashr_i32 s1, s0, 31
	s_add_nc_u64 s[40:41], s[40:41], s[2:3]
	s_wait_alu 0xfffe
	s_lshr_b32 s1, s1, 27
	v_sub_co_u32 v4, vcc_lo, s9, v2
	s_wait_alu 0xfffe
	s_add_co_i32 s0, s0, s1
	v_add_nc_u32_e32 v61, 0x1000, v54
	s_wait_alu 0xfffe
	s_ashr_i32 s56, s0, 5
	v_cmp_gt_i32_e64 s0, s9, v2
	s_cmp_le_i32 s33, s56
	v_add_nc_u32_e32 v62, 0x1800, v54
	s_cselect_b32 s57, -1, 0
	s_cmp_eq_u32 s8, 0x84
	s_mov_b32 s42, s10
	s_cselect_b32 s58, -1, 0
	s_ashr_i32 s2, s9, 31
	s_lshl_b32 s4, s33, 5
	v_sub_co_ci_u32_e64 v5, null, s2, v3, vcc_lo
	v_dual_mov_b32 v6, 0 :: v_dual_add_nc_u32 v57, s4, v6
	v_add_nc_u32_e32 v55, v53, v0
	v_add_nc_u32_e32 v0, 16, v2
	v_lshlrev_b64_e32 v[2:3], 3, v[2:3]
	v_add_nc_u32_e32 v58, s4, v52
	s_lshl_b64 s[4:5], s[26:27], 3
	v_cmp_gt_i64_e64 s2, 1, v[4:5]
	s_wait_alu 0xfffe
	s_add_nc_u64 s[4:5], s[24:25], s[4:5]
	v_cmp_gt_i64_e64 s3, 17, v[4:5]
	s_wait_alu 0xfffe
	v_add_co_u32 v4, vcc_lo, s4, v2
	v_add_nc_u32_e32 v56, v54, v53
	v_cmp_gt_i32_e64 s1, s9, v0
	v_ashrrev_i32_e32 v1, 31, v0
	s_wait_alu 0xfffd
	v_add_co_ci_u32_e64 v5, null, s5, v3, vcc_lo
	s_ashr_i32 s43, s10, 31
	s_lshl_b64 s[4:5], s[18:19], 3
	s_lshl_b64 s[46:47], s[20:21], 8
	;; [unrolled: 1-line block ×3, first 2 shown]
	s_add_nc_u64 s[50:51], s[42:43], -16
	s_lshl_b64 s[26:27], s[36:37], 3
	s_lshl_b64 s[18:19], s[38:39], 3
	s_wait_alu 0xfffe
	s_add_nc_u64 s[16:17], s[16:17], s[4:5]
	s_lshl_b64 s[22:23], s[22:23], 3
	s_lshl_b64 s[24:25], s[20:21], 3
	s_branch .LBB54_4
.LBB54_2:                               ;   in Loop: Header=BB54_4 Depth=1
	s_add_co_i32 s34, s34, 0x10000
	s_wait_alu 0xfffe
	s_cmp_ge_u32 s34, s11
	s_cselect_b32 s4, -1, 0
.LBB54_3:                               ;   in Loop: Header=BB54_4 Depth=1
	s_wait_alu 0xfffe
	s_and_b32 vcc_lo, exec_lo, s4
	s_wait_alu 0xfffe
	s_cbranch_vccnz .LBB54_56
.LBB54_4:                               ; =>This Loop Header: Depth=1
                                        ;     Child Loop BB54_8 Depth 2
                                        ;       Child Loop BB54_11 Depth 3
	s_mul_u64 s[4:5], s[14:15], s[34:35]
	s_wait_alu 0xfffe
	s_lshl_b64 s[4:5], s[4:5], 3
	s_wait_alu 0xfffe
	s_add_nc_u64 s[4:5], s[12:13], s[4:5]
	global_load_b64 v[8:9], v6, s[4:5]
	s_mov_b32 s4, -1
	s_wait_loadcnt 0x0
	v_cmp_eq_f64_e32 vcc_lo, 0, v[8:9]
	s_cbranch_vccnz .LBB54_3
; %bb.5:                                ;   in Loop: Header=BB54_4 Depth=1
	s_and_not1_b32 vcc_lo, exec_lo, s57
	s_wait_alu 0xfffe
	s_cbranch_vccnz .LBB54_2
; %bb.6:                                ;   in Loop: Header=BB54_4 Depth=1
	s_load_b32 s59, s[44:45], 0x4
	v_mad_co_u64_u32 v[10:11], null, s18, s34, v[4:5]
	s_mul_u64 s[4:5], s[30:31], s[34:35]
	v_mov_b32_e32 v14, v57
	s_mul_u64 s[6:7], s[22:23], s[34:35]
	s_wait_alu 0xfffe
	s_lshl_b64 s[4:5], s[4:5], 3
	s_add_nc_u64 s[52:53], s[16:17], s[6:7]
	s_wait_alu 0xfffe
	s_add_nc_u64 s[38:39], s[40:41], s[4:5]
	v_mov_b32_e32 v7, v11
	s_mov_b32 s61, s33
	s_delay_alu instid0(VALU_DEP_1)
	v_mad_co_u64_u32 v[11:12], null, s19, s34, v[7:8]
	v_mov_b32_e32 v12, v58
	s_wait_kmcnt 0x0
	s_lshl_b32 s60, s59, 5
	s_branch .LBB54_8
.LBB54_7:                               ;   in Loop: Header=BB54_8 Depth=2
	s_wait_alu 0xfffe
	s_or_b32 exec_lo, exec_lo, s4
	v_add_nc_u32_e32 v14, s60, v14
	v_add_nc_u32_e32 v12, s60, v12
	s_add_co_i32 s61, s59, s61
	s_wait_alu 0xfffe
	s_cmp_gt_i32 s61, s56
	s_cbranch_scc1 .LBB54_2
.LBB54_8:                               ;   Parent Loop BB54_4 Depth=1
                                        ; =>  This Loop Header: Depth=2
                                        ;       Child Loop BB54_11 Depth 3
	s_wait_alu 0xfffe
	s_lshl_b32 s4, s61, 5
	v_ashrrev_i32_e32 v15, 31, v14
	s_wait_alu 0xfffe
	v_add_nc_u32_e32 v16, s4, v52
	v_ashrrev_i32_e32 v13, 31, v12
	s_sub_co_i32 s62, s10, s4
	s_wait_alu 0xfffe
	s_cmp_lt_i32 s62, 1
	v_ashrrev_i32_e32 v17, 31, v16
	s_cbranch_scc1 .LBB54_47
; %bb.9:                                ;   in Loop: Header=BB54_8 Depth=2
	v_lshlrev_b64_e32 v[20:21], 3, v[12:13]
	v_lshlrev_b64_e32 v[24:25], 3, v[14:15]
	v_sub_co_u32 v18, vcc_lo, v12, v14
	s_wait_alu 0xfffd
	v_sub_co_ci_u32_e64 v19, null, v13, v15, vcc_lo
	s_delay_alu instid0(VALU_DEP_4)
	v_add_co_u32 v26, vcc_lo, 0x80, v20
	s_wait_alu 0xfffd
	v_add_co_ci_u32_e64 v27, null, 0, v21, vcc_lo
	v_add_co_u32 v28, vcc_lo, 0x80, v24
	v_mad_co_u64_u32 v[22:23], null, s26, v12, 0x80
	v_mul_lo_u32 v7, s26, v13
	v_mul_lo_u32 v30, s27, v12
	s_wait_alu 0xfffd
	v_add_co_ci_u32_e64 v29, null, 0, v25, vcc_lo
	v_mul_lo_u32 v32, s36, v27
	v_mul_lo_u32 v33, s37, v26
	v_mad_co_u64_u32 v[24:25], null, s36, v26, 0x80
	s_delay_alu instid0(VALU_DEP_4)
	v_mul_lo_u32 v34, s20, v29
	v_mul_lo_u32 v35, s21, v28
	v_mad_co_u64_u32 v[26:27], null, s20, v28, s[52:53]
	v_mad_co_u64_u32 v[28:29], null, s24, v14, s[52:53]
	v_mul_lo_u32 v36, s24, v15
	v_mul_lo_u32 v37, s25, v14
	v_add3_u32 v23, v30, v23, v7
	v_add_co_u32 v30, vcc_lo, v16, 16
	s_wait_alu 0xfffd
	v_add_co_ci_u32_e64 v31, null, 0, v17, vcc_lo
	v_add3_u32 v25, v33, v25, v32
	v_add_co_u32 v32, s5, v18, 16
	v_add3_u32 v27, v35, v27, v34
	s_wait_alu 0xf1ff
	v_add_co_ci_u32_e64 v33, null, 0, v19, s5
	v_add_co_u32 v34, s5, v18, -16
	v_mov_b32_e32 v38, 0
	v_mov_b32_e32 v42, 0
	v_cmp_le_i64_e64 s4, s[42:43], v[30:31]
	v_dual_mov_b32 v39, 0 :: v_dual_mov_b32 v40, 0
	v_dual_mov_b32 v43, 0 :: v_dual_mov_b32 v44, 0
	v_add3_u32 v29, v37, v29, v36
	s_wait_alu 0xf1ff
	v_add_co_ci_u32_e64 v35, null, -1, v19, s5
	v_mov_b32_e32 v41, 0
	v_mov_b32_e32 v45, 0
	v_dual_mov_b32 v37, v11 :: v_dual_mov_b32 v36, v10
	s_mov_b64 s[54:55], 0
	v_cmp_le_i32_e32 vcc_lo, s10, v16
	s_branch .LBB54_11
.LBB54_10:                              ;   in Loop: Header=BB54_11 Depth=3
	s_wait_alu 0xfffe
	s_or_b32 exec_lo, exec_lo, s5
	s_wait_dscnt 0x0
	s_barrier_signal -1
	s_barrier_wait -1
	global_inv scope:SCOPE_SE
	ds_load_b128 v[46:49], v53
	ds_load_2addr_b64 v[63:66], v54 offset1:16
	ds_load_b128 v[67:70], v53 offset:4096
	ds_load_b128 v[71:74], v53 offset:16
	ds_load_b128 v[75:78], v53 offset:4112
	v_add_co_u32 v36, s5, v36, s48
	s_wait_alu 0xf1ff
	v_add_co_ci_u32_e64 v37, null, s49, v37, s5
	v_add_co_u32 v26, s5, v26, s46
	s_wait_alu 0xf1ff
	v_add_co_ci_u32_e64 v27, null, s47, v27, s5
	;; [unrolled: 3-line block ×3, first 2 shown]
	s_add_nc_u64 s[54:55], s[54:55], 32
	s_wait_alu 0xfffe
	s_cmp_ge_i32 s54, s62
	s_wait_dscnt 0x3
	v_fma_f64 v[44:45], v[63:64], v[46:47], v[44:45]
	v_fma_f64 v[42:43], v[65:66], v[46:47], v[42:43]
	s_wait_dscnt 0x2
	v_fma_f64 v[46:47], v[63:64], v[67:68], v[40:41]
	v_fma_f64 v[50:51], v[65:66], v[67:68], v[38:39]
	ds_load_2addr_b64 v[38:41], v54 offset0:32 offset1:48
	s_wait_dscnt 0x0
	v_fma_f64 v[44:45], v[38:39], v[48:49], v[44:45]
	v_fma_f64 v[42:43], v[40:41], v[48:49], v[42:43]
	v_fma_f64 v[46:47], v[38:39], v[69:70], v[46:47]
	v_fma_f64 v[48:49], v[40:41], v[69:70], v[50:51]
	ds_load_2addr_b64 v[38:41], v54 offset0:64 offset1:80
	s_wait_dscnt 0x0
	v_fma_f64 v[44:45], v[38:39], v[71:72], v[44:45]
	v_fma_f64 v[42:43], v[40:41], v[71:72], v[42:43]
	v_fma_f64 v[46:47], v[38:39], v[75:76], v[46:47]
	v_fma_f64 v[48:49], v[40:41], v[75:76], v[48:49]
	ds_load_2addr_b64 v[38:41], v54 offset0:96 offset1:112
	s_wait_dscnt 0x0
	v_fma_f64 v[50:51], v[38:39], v[73:74], v[44:45]
	v_fma_f64 v[71:72], v[40:41], v[73:74], v[42:43]
	v_fma_f64 v[73:74], v[38:39], v[77:78], v[46:47]
	v_fma_f64 v[75:76], v[40:41], v[77:78], v[48:49]
	ds_load_b128 v[38:41], v53 offset:32
	ds_load_2addr_b64 v[42:45], v54 offset0:128 offset1:144
	ds_load_b128 v[46:49], v53 offset:4128
	ds_load_b128 v[63:66], v53 offset:48
	ds_load_b128 v[67:70], v53 offset:4144
	s_wait_dscnt 0x3
	v_fma_f64 v[50:51], v[42:43], v[38:39], v[50:51]
	v_fma_f64 v[38:39], v[44:45], v[38:39], v[71:72]
	s_wait_dscnt 0x2
	v_fma_f64 v[71:72], v[42:43], v[46:47], v[73:74]
	v_fma_f64 v[46:47], v[44:45], v[46:47], v[75:76]
	ds_load_2addr_b64 v[42:45], v54 offset0:160 offset1:176
	s_wait_dscnt 0x0
	v_fma_f64 v[50:51], v[42:43], v[40:41], v[50:51]
	v_fma_f64 v[73:74], v[44:45], v[40:41], v[38:39]
	v_fma_f64 v[42:43], v[42:43], v[48:49], v[71:72]
	v_fma_f64 v[44:45], v[44:45], v[48:49], v[46:47]
	ds_load_2addr_b64 v[38:41], v54 offset0:192 offset1:208
	s_wait_dscnt 0x0
	v_fma_f64 v[46:47], v[38:39], v[63:64], v[50:51]
	v_fma_f64 v[48:49], v[40:41], v[63:64], v[73:74]
	v_fma_f64 v[42:43], v[38:39], v[67:68], v[42:43]
	v_fma_f64 v[44:45], v[40:41], v[67:68], v[44:45]
	ds_load_2addr_b64 v[38:41], v54 offset0:224 offset1:240
	s_wait_dscnt 0x0
	v_fma_f64 v[50:51], v[38:39], v[65:66], v[46:47]
	v_fma_f64 v[71:72], v[40:41], v[65:66], v[48:49]
	v_fma_f64 v[73:74], v[38:39], v[69:70], v[42:43]
	v_fma_f64 v[75:76], v[40:41], v[69:70], v[44:45]
	ds_load_b128 v[38:41], v53 offset:64
	ds_load_2addr_b64 v[42:45], v60 offset1:16
	ds_load_b128 v[46:49], v53 offset:4160
	ds_load_b128 v[63:66], v53 offset:80
	ds_load_b128 v[67:70], v53 offset:4176
	s_wait_dscnt 0x3
	v_fma_f64 v[50:51], v[42:43], v[38:39], v[50:51]
	v_fma_f64 v[38:39], v[44:45], v[38:39], v[71:72]
	s_wait_dscnt 0x2
	v_fma_f64 v[71:72], v[42:43], v[46:47], v[73:74]
	v_fma_f64 v[46:47], v[44:45], v[46:47], v[75:76]
	ds_load_2addr_b64 v[42:45], v60 offset0:32 offset1:48
	s_wait_dscnt 0x0
	v_fma_f64 v[50:51], v[42:43], v[40:41], v[50:51]
	v_fma_f64 v[73:74], v[44:45], v[40:41], v[38:39]
	v_fma_f64 v[42:43], v[42:43], v[48:49], v[71:72]
	v_fma_f64 v[44:45], v[44:45], v[48:49], v[46:47]
	ds_load_2addr_b64 v[38:41], v60 offset0:64 offset1:80
	s_wait_dscnt 0x0
	v_fma_f64 v[46:47], v[38:39], v[63:64], v[50:51]
	v_fma_f64 v[48:49], v[40:41], v[63:64], v[73:74]
	v_fma_f64 v[42:43], v[38:39], v[67:68], v[42:43]
	v_fma_f64 v[44:45], v[40:41], v[67:68], v[44:45]
	ds_load_2addr_b64 v[38:41], v60 offset0:96 offset1:112
	s_wait_dscnt 0x0
	v_fma_f64 v[50:51], v[38:39], v[65:66], v[46:47]
	v_fma_f64 v[71:72], v[40:41], v[65:66], v[48:49]
	v_fma_f64 v[73:74], v[38:39], v[69:70], v[42:43]
	v_fma_f64 v[75:76], v[40:41], v[69:70], v[44:45]
	ds_load_b128 v[38:41], v53 offset:96
	ds_load_2addr_b64 v[42:45], v60 offset0:128 offset1:144
	ds_load_b128 v[46:49], v53 offset:4192
	ds_load_b128 v[63:66], v53 offset:112
	ds_load_b128 v[67:70], v53 offset:4208
	s_wait_dscnt 0x3
	v_fma_f64 v[50:51], v[42:43], v[38:39], v[50:51]
	v_fma_f64 v[38:39], v[44:45], v[38:39], v[71:72]
	s_wait_dscnt 0x2
	v_fma_f64 v[71:72], v[42:43], v[46:47], v[73:74]
	v_fma_f64 v[46:47], v[44:45], v[46:47], v[75:76]
	ds_load_2addr_b64 v[42:45], v60 offset0:160 offset1:176
	s_wait_dscnt 0x0
	v_fma_f64 v[50:51], v[42:43], v[40:41], v[50:51]
	v_fma_f64 v[73:74], v[44:45], v[40:41], v[38:39]
	v_fma_f64 v[42:43], v[42:43], v[48:49], v[71:72]
	v_fma_f64 v[44:45], v[44:45], v[48:49], v[46:47]
	ds_load_2addr_b64 v[38:41], v60 offset0:192 offset1:208
	s_wait_dscnt 0x0
	v_fma_f64 v[46:47], v[38:39], v[63:64], v[50:51]
	v_fma_f64 v[48:49], v[40:41], v[63:64], v[73:74]
	v_fma_f64 v[42:43], v[38:39], v[67:68], v[42:43]
	v_fma_f64 v[44:45], v[40:41], v[67:68], v[44:45]
	ds_load_2addr_b64 v[38:41], v60 offset0:224 offset1:240
	s_wait_dscnt 0x0
	v_fma_f64 v[50:51], v[38:39], v[65:66], v[46:47]
	v_fma_f64 v[71:72], v[40:41], v[65:66], v[48:49]
	v_fma_f64 v[73:74], v[38:39], v[69:70], v[42:43]
	v_fma_f64 v[75:76], v[40:41], v[69:70], v[44:45]
	ds_load_b128 v[38:41], v53 offset:128
	ds_load_2addr_b64 v[42:45], v61 offset1:16
	ds_load_b128 v[46:49], v53 offset:4224
	ds_load_b128 v[63:66], v53 offset:144
	ds_load_b128 v[67:70], v53 offset:4240
	;; [unrolled: 58-line block ×3, first 2 shown]
	s_wait_dscnt 0x3
	v_fma_f64 v[50:51], v[42:43], v[38:39], v[50:51]
	v_fma_f64 v[38:39], v[44:45], v[38:39], v[71:72]
	s_wait_dscnt 0x2
	v_fma_f64 v[71:72], v[42:43], v[46:47], v[73:74]
	v_fma_f64 v[46:47], v[44:45], v[46:47], v[75:76]
	ds_load_2addr_b64 v[42:45], v62 offset0:32 offset1:48
	s_wait_dscnt 0x0
	v_fma_f64 v[50:51], v[42:43], v[40:41], v[50:51]
	v_fma_f64 v[73:74], v[44:45], v[40:41], v[38:39]
	v_fma_f64 v[42:43], v[42:43], v[48:49], v[71:72]
	v_fma_f64 v[44:45], v[44:45], v[48:49], v[46:47]
	ds_load_2addr_b64 v[38:41], v62 offset0:64 offset1:80
	s_wait_dscnt 0x0
	v_fma_f64 v[46:47], v[38:39], v[63:64], v[50:51]
	v_fma_f64 v[48:49], v[40:41], v[63:64], v[73:74]
	v_fma_f64 v[42:43], v[38:39], v[67:68], v[42:43]
	v_fma_f64 v[44:45], v[40:41], v[67:68], v[44:45]
	ds_load_2addr_b64 v[38:41], v62 offset0:96 offset1:112
	s_wait_dscnt 0x0
	v_fma_f64 v[50:51], v[38:39], v[65:66], v[46:47]
	v_fma_f64 v[71:72], v[40:41], v[65:66], v[48:49]
	v_fma_f64 v[73:74], v[38:39], v[69:70], v[42:43]
	v_fma_f64 v[75:76], v[40:41], v[69:70], v[44:45]
	ds_load_b128 v[38:41], v53 offset:224
	ds_load_2addr_b64 v[42:45], v62 offset0:128 offset1:144
	ds_load_b128 v[46:49], v53 offset:4320
	ds_load_b128 v[63:66], v53 offset:240
	;; [unrolled: 1-line block ×3, first 2 shown]
	s_wait_dscnt 0x3
	v_fma_f64 v[50:51], v[42:43], v[38:39], v[50:51]
	v_fma_f64 v[38:39], v[44:45], v[38:39], v[71:72]
	s_wait_dscnt 0x2
	v_fma_f64 v[71:72], v[42:43], v[46:47], v[73:74]
	v_fma_f64 v[46:47], v[44:45], v[46:47], v[75:76]
	ds_load_2addr_b64 v[42:45], v62 offset0:160 offset1:176
	s_wait_dscnt 0x0
	v_fma_f64 v[50:51], v[42:43], v[40:41], v[50:51]
	v_fma_f64 v[73:74], v[44:45], v[40:41], v[38:39]
	;; [unrolled: 1-line block ×4, first 2 shown]
	ds_load_2addr_b64 v[38:41], v62 offset0:192 offset1:208
	ds_load_2addr_b64 v[46:49], v62 offset0:224 offset1:240
	s_wait_loadcnt_dscnt 0x0
	s_barrier_signal -1
	s_barrier_wait -1
	global_inv scope:SCOPE_SE
	v_fma_f64 v[50:51], v[38:39], v[63:64], v[50:51]
	v_fma_f64 v[63:64], v[40:41], v[63:64], v[73:74]
	;; [unrolled: 1-line block ×4, first 2 shown]
	s_delay_alu instid0(VALU_DEP_4) | instskip(NEXT) | instid1(VALU_DEP_4)
	v_fma_f64 v[44:45], v[46:47], v[65:66], v[50:51]
	v_fma_f64 v[42:43], v[48:49], v[65:66], v[63:64]
	s_delay_alu instid0(VALU_DEP_4) | instskip(NEXT) | instid1(VALU_DEP_4)
	v_fma_f64 v[40:41], v[46:47], v[69:70], v[38:39]
	v_fma_f64 v[38:39], v[48:49], v[69:70], v[67:68]
	s_cbranch_scc1 .LBB54_48
.LBB54_11:                              ;   Parent Loop BB54_4 Depth=1
                                        ;     Parent Loop BB54_8 Depth=2
                                        ; =>    This Inner Loop Header: Depth=3
	s_wait_alu 0xfffe
	v_add_co_u32 v46, s5, v14, s54
	s_wait_alu 0xf1ff
	v_add_co_ci_u32_e64 v47, null, s55, v15, s5
	v_cmp_eq_u64_e64 s7, s[54:55], v[18:19]
	v_add_co_u32 v48, s8, v28, v20
	s_delay_alu instid0(VALU_DEP_3)
	v_cmp_lt_i64_e64 s5, v[46:47], v[16:17]
	v_cmp_le_i64_e64 s6, s[42:43], v[46:47]
	s_wait_alu 0xf1ff
	v_add_co_ci_u32_e64 v49, null, v29, v21, s8
	s_and_b32 s63, s58, s7
                                        ; implicit-def: $vgpr50_vgpr51
	s_or_b32 s8, vcc_lo, s5
	s_wait_alu 0xfffe
	s_or_b32 s7, s6, s8
	s_wait_alu 0xfffe
	s_nor_b32 s7, s7, s63
	s_wait_alu 0xfffe
	s_and_saveexec_b32 s8, s7
	s_wait_alu 0xfffe
	s_xor_b32 s7, exec_lo, s8
	s_cbranch_execz .LBB54_13
; %bb.12:                               ;   in Loop: Header=BB54_11 Depth=3
	global_load_b64 v[50:51], v[48:49], off
.LBB54_13:                              ;   in Loop: Header=BB54_11 Depth=3
	s_wait_alu 0xfffe
	s_and_not1_saveexec_b32 s7, s7
	s_cbranch_execz .LBB54_15
; %bb.14:                               ;   in Loop: Header=BB54_11 Depth=3
	v_cndmask_b32_e64 v7, 0, 0x3ff00000, s63
	s_wait_loadcnt 0x0
	s_delay_alu instid0(VALU_DEP_1)
	v_dual_mov_b32 v51, v7 :: v_dual_mov_b32 v50, v6
.LBB54_15:                              ;   in Loop: Header=BB54_11 Depth=3
	s_wait_alu 0xfffe
	s_or_b32 exec_lo, exec_lo, s7
	v_add_co_u32 v63, s7, v46, 16
	s_wait_alu 0xf1ff
	v_add_co_ci_u32_e64 v64, null, 0, v47, s7
	v_cmp_eq_u64_e64 s9, s[54:55], v[34:35]
	s_wait_loadcnt 0x0
	ds_store_b64 v55, v[50:51]
	v_cmp_lt_i64_e64 s8, v[63:64], v[16:17]
	v_cmp_le_i64_e64 s7, s[42:43], v[63:64]
	s_and_b32 s9, s58, s9
	s_or_b32 s8, vcc_lo, s8
	s_wait_alu 0xfffe
	s_or_b32 s8, s7, s8
	s_wait_alu 0xfffe
	s_nor_b32 s8, s8, s9
	s_wait_alu 0xfffe
	s_and_saveexec_b32 s64, s8
	s_delay_alu instid0(SALU_CYCLE_1)
	s_xor_b32 s64, exec_lo, s64
	s_cbranch_execz .LBB54_17
; %bb.16:                               ;   in Loop: Header=BB54_11 Depth=3
	v_add_co_u32 v50, s8, v26, v20
	s_wait_alu 0xf1ff
	v_add_co_ci_u32_e64 v51, null, v27, v21, s8
	global_load_b64 v[50:51], v[50:51], off
	s_wait_loadcnt 0x0
	ds_store_b64 v55, v[50:51] offset:128
.LBB54_17:                              ;   in Loop: Header=BB54_11 Depth=3
	s_and_not1_saveexec_b32 s8, s64
	s_cbranch_execz .LBB54_23
; %bb.18:                               ;   in Loop: Header=BB54_11 Depth=3
	s_xor_b32 s9, s9, -1
	s_wait_alu 0xfffe
	s_and_saveexec_b32 s64, s9
	s_delay_alu instid0(SALU_CYCLE_1)
	s_xor_b32 s9, exec_lo, s64
; %bb.19:                               ;   in Loop: Header=BB54_11 Depth=3
	v_mov_b32_e32 v7, v6
	ds_store_b64 v55, v[6:7] offset:128
; %bb.20:                               ;   in Loop: Header=BB54_11 Depth=3
	s_wait_alu 0xfffe
	s_and_not1_saveexec_b32 s9, s9
; %bb.21:                               ;   in Loop: Header=BB54_11 Depth=3
	v_mov_b32_e32 v7, v59
	ds_store_b64 v55, v[6:7] offset:128
; %bb.22:                               ;   in Loop: Header=BB54_11 Depth=3
	s_wait_alu 0xfffe
	s_or_b32 exec_lo, exec_lo, s9
.LBB54_23:                              ;   in Loop: Header=BB54_11 Depth=3
	s_wait_alu 0xfffe
	s_or_b32 exec_lo, exec_lo, s8
	v_cmp_eq_u64_e64 s8, s[54:55], v[32:33]
	v_cmp_lt_i64_e64 s9, v[46:47], v[30:31]
                                        ; implicit-def: $vgpr46_vgpr47
	s_and_b32 s8, s58, s8
	s_or_b32 s9, s4, s9
	s_wait_alu 0xfffe
	s_or_b32 s9, s9, s8
	s_wait_alu 0xfffe
	s_nor_b32 s6, s6, s9
	s_wait_alu 0xfffe
	s_and_saveexec_b32 s9, s6
	s_wait_alu 0xfffe
	s_xor_b32 s6, exec_lo, s9
	s_cbranch_execz .LBB54_25
; %bb.24:                               ;   in Loop: Header=BB54_11 Depth=3
	global_load_b64 v[46:47], v[48:49], off offset:128
.LBB54_25:                              ;   in Loop: Header=BB54_11 Depth=3
	s_wait_alu 0xfffe
	s_and_not1_saveexec_b32 s6, s6
	s_cbranch_execz .LBB54_27
; %bb.26:                               ;   in Loop: Header=BB54_11 Depth=3
	v_cndmask_b32_e64 v7, 0, 0x3ff00000, s8
	s_wait_loadcnt 0x0
	s_delay_alu instid0(VALU_DEP_1)
	v_dual_mov_b32 v47, v7 :: v_dual_mov_b32 v46, v6
.LBB54_27:                              ;   in Loop: Header=BB54_11 Depth=3
	s_wait_alu 0xfffe
	s_or_b32 exec_lo, exec_lo, s6
	s_or_b32 s5, s4, s5
	s_wait_loadcnt 0x0
	ds_store_b64 v55, v[46:47] offset:4096
	s_wait_alu 0xfffe
	s_or_b32 s5, s7, s5
	s_wait_alu 0xfffe
	s_nor_b32 s5, s5, s63
	s_wait_alu 0xfffe
	s_and_saveexec_b32 s6, s5
	s_wait_alu 0xfffe
	s_xor_b32 s6, exec_lo, s6
	s_cbranch_execz .LBB54_29
; %bb.28:                               ;   in Loop: Header=BB54_11 Depth=3
	v_add_co_u32 v46, s5, v26, v20
	s_wait_alu 0xf1ff
	v_add_co_ci_u32_e64 v47, null, v27, v21, s5
	global_load_b64 v[46:47], v[46:47], off offset:128
	s_wait_loadcnt 0x0
	ds_store_b64 v55, v[46:47] offset:4224
.LBB54_29:                              ;   in Loop: Header=BB54_11 Depth=3
	s_wait_alu 0xfffe
	s_and_not1_saveexec_b32 s5, s6
	s_cbranch_execz .LBB54_35
; %bb.30:                               ;   in Loop: Header=BB54_11 Depth=3
	s_xor_b32 s6, s63, -1
	s_wait_alu 0xfffe
	s_and_saveexec_b32 s7, s6
	s_wait_alu 0xfffe
	s_xor_b32 s6, exec_lo, s7
; %bb.31:                               ;   in Loop: Header=BB54_11 Depth=3
	v_mov_b32_e32 v7, v6
	ds_store_b64 v55, v[6:7] offset:4224
; %bb.32:                               ;   in Loop: Header=BB54_11 Depth=3
	s_wait_alu 0xfffe
	s_and_not1_saveexec_b32 s6, s6
; %bb.33:                               ;   in Loop: Header=BB54_11 Depth=3
	v_mov_b32_e32 v7, v59
	ds_store_b64 v55, v[6:7] offset:4224
; %bb.34:                               ;   in Loop: Header=BB54_11 Depth=3
	s_wait_alu 0xfffe
	s_or_b32 exec_lo, exec_lo, s6
.LBB54_35:                              ;   in Loop: Header=BB54_11 Depth=3
	s_wait_alu 0xfffe
	s_or_b32 exec_lo, exec_lo, s5
	v_add_co_u32 v46, s5, v12, s54
	s_wait_alu 0xf1ff
	v_add_co_ci_u32_e64 v47, null, s55, v13, s5
	v_add_co_u32 v48, s6, v36, v22
	v_mov_b32_e32 v50, 0
	s_delay_alu instid0(VALU_DEP_3)
	v_cmp_le_i64_e64 s5, s[42:43], v[46:47]
	v_mov_b32_e32 v51, 0
	s_wait_alu 0xf1ff
	v_add_co_ci_u32_e64 v49, null, v37, v23, s6
	s_nor_b32 s7, s5, s2
	s_wait_alu 0xfffe
	s_and_saveexec_b32 s6, s7
	s_cbranch_execz .LBB54_37
; %bb.36:                               ;   in Loop: Header=BB54_11 Depth=3
	global_load_b64 v[50:51], v[48:49], off offset:-128
.LBB54_37:                              ;   in Loop: Header=BB54_11 Depth=3
	s_wait_alu 0xfffe
	s_or_b32 exec_lo, exec_lo, s6
	s_nor_b32 s5, s5, s3
	s_wait_loadcnt 0x0
	ds_store_b64 v56, v[50:51]
	s_wait_alu 0xfffe
	s_and_saveexec_b32 s6, s5
	s_wait_alu 0xfffe
	s_xor_b32 s5, exec_lo, s6
	s_cbranch_execz .LBB54_39
; %bb.38:                               ;   in Loop: Header=BB54_11 Depth=3
	global_load_b64 v[48:49], v[48:49], off
	s_wait_loadcnt 0x0
	ds_store_b64 v56, v[48:49] offset:128
.LBB54_39:                              ;   in Loop: Header=BB54_11 Depth=3
	s_wait_alu 0xfffe
	s_and_not1_saveexec_b32 s5, s5
; %bb.40:                               ;   in Loop: Header=BB54_11 Depth=3
	v_mov_b32_e32 v7, v6
	ds_store_b64 v56, v[6:7] offset:128
; %bb.41:                               ;   in Loop: Header=BB54_11 Depth=3
	s_wait_alu 0xfffe
	s_or_b32 exec_lo, exec_lo, s5
	v_cmp_le_i64_e64 s5, s[50:51], v[46:47]
	v_add_co_u32 v46, s6, v36, v24
	v_mov_b32_e32 v48, 0
	v_mov_b32_e32 v49, 0
	s_wait_alu 0xf1ff
	v_add_co_ci_u32_e64 v47, null, v37, v25, s6
	s_nor_b32 s7, s5, s2
	s_wait_alu 0xfffe
	s_and_saveexec_b32 s6, s7
	s_cbranch_execz .LBB54_43
; %bb.42:                               ;   in Loop: Header=BB54_11 Depth=3
	global_load_b64 v[48:49], v[46:47], off offset:-128
.LBB54_43:                              ;   in Loop: Header=BB54_11 Depth=3
	s_wait_alu 0xfffe
	s_or_b32 exec_lo, exec_lo, s6
	s_nor_b32 s5, s5, s3
	s_wait_loadcnt 0x0
	ds_store_b64 v56, v[48:49] offset:4096
	s_wait_alu 0xfffe
	s_and_saveexec_b32 s6, s5
	s_wait_alu 0xfffe
	s_xor_b32 s5, exec_lo, s6
	s_cbranch_execz .LBB54_45
; %bb.44:                               ;   in Loop: Header=BB54_11 Depth=3
	global_load_b64 v[46:47], v[46:47], off
	s_wait_loadcnt 0x0
	ds_store_b64 v56, v[46:47] offset:4224
.LBB54_45:                              ;   in Loop: Header=BB54_11 Depth=3
	s_wait_alu 0xfffe
	s_and_not1_saveexec_b32 s5, s5
	s_cbranch_execz .LBB54_10
; %bb.46:                               ;   in Loop: Header=BB54_11 Depth=3
	v_mov_b32_e32 v7, v6
	ds_store_b64 v56, v[6:7] offset:4224
	s_branch .LBB54_10
.LBB54_47:                              ;   in Loop: Header=BB54_8 Depth=2
	v_mov_b32_e32 v44, 0
	v_dual_mov_b32 v40, 0 :: v_dual_mov_b32 v45, 0
	v_dual_mov_b32 v42, 0 :: v_dual_mov_b32 v41, 0
	;; [unrolled: 1-line block ×3, first 2 shown]
	v_mov_b32_e32 v39, 0
.LBB54_48:                              ;   in Loop: Header=BB54_8 Depth=2
	v_mul_lo_u32 v7, s29, v16
	v_mul_lo_u32 v13, s28, v17
	v_mad_co_u64_u32 v[17:18], null, s28, v16, 0
	v_cmp_gt_i32_e32 vcc_lo, s10, v16
	s_delay_alu instid0(VALU_DEP_2) | instskip(NEXT) | instid1(VALU_DEP_1)
	v_add3_u32 v18, v18, v13, v7
	v_lshlrev_b64_e32 v[17:18], 3, v[17:18]
	s_delay_alu instid0(VALU_DEP_1) | instskip(SKIP_1) | instid1(VALU_DEP_2)
	v_add_co_u32 v7, s4, s38, v17
	s_wait_alu 0xf1ff
	v_add_co_ci_u32_e64 v13, null, s39, v18, s4
	s_and_b32 s4, s0, vcc_lo
	s_wait_alu 0xfffe
	s_and_saveexec_b32 s5, s4
	s_cbranch_execz .LBB54_50
; %bb.49:                               ;   in Loop: Header=BB54_8 Depth=2
	v_add_co_u32 v17, s4, v7, v2
	s_wait_alu 0xf1ff
	v_add_co_ci_u32_e64 v18, null, v13, v3, s4
	global_load_b64 v[19:20], v[17:18], off
	s_wait_loadcnt 0x0
	v_fma_f64 v[19:20], v[8:9], v[44:45], v[19:20]
	global_store_b64 v[17:18], v[19:20], off
.LBB54_50:                              ;   in Loop: Header=BB54_8 Depth=2
	s_wait_alu 0xfffe
	s_or_b32 exec_lo, exec_lo, s5
	s_and_b32 s5, s1, vcc_lo
	s_wait_alu 0xfffe
	s_and_saveexec_b32 s4, s5
	s_cbranch_execz .LBB54_52
; %bb.51:                               ;   in Loop: Header=BB54_8 Depth=2
	v_lshlrev_b64_e32 v[17:18], 3, v[0:1]
	s_delay_alu instid0(VALU_DEP_1) | instskip(SKIP_1) | instid1(VALU_DEP_2)
	v_add_co_u32 v17, vcc_lo, v7, v17
	s_wait_alu 0xfffd
	v_add_co_ci_u32_e64 v18, null, v13, v18, vcc_lo
	global_load_b64 v[19:20], v[17:18], off
	s_wait_loadcnt 0x0
	v_fma_f64 v[19:20], v[8:9], v[42:43], v[19:20]
	global_store_b64 v[17:18], v[19:20], off
.LBB54_52:                              ;   in Loop: Header=BB54_8 Depth=2
	s_wait_alu 0xfffe
	s_or_b32 exec_lo, exec_lo, s4
	v_add_nc_u32_e32 v7, 16, v16
	s_delay_alu instid0(VALU_DEP_1) | instskip(SKIP_3) | instid1(VALU_DEP_4)
	v_ashrrev_i32_e32 v13, 31, v7
	v_mul_lo_u32 v17, s29, v7
	v_mad_co_u64_u32 v[15:16], null, s28, v7, 0
	v_cmp_gt_i32_e32 vcc_lo, s10, v7
	v_mul_lo_u32 v13, s28, v13
	s_delay_alu instid0(VALU_DEP_1) | instskip(NEXT) | instid1(VALU_DEP_1)
	v_add3_u32 v16, v16, v13, v17
	v_lshlrev_b64_e32 v[15:16], 3, v[15:16]
	s_delay_alu instid0(VALU_DEP_1) | instskip(SKIP_1) | instid1(VALU_DEP_2)
	v_add_co_u32 v7, s4, s38, v15
	s_wait_alu 0xf1ff
	v_add_co_ci_u32_e64 v13, null, s39, v16, s4
	s_and_b32 s4, s0, vcc_lo
	s_wait_alu 0xfffe
	s_and_saveexec_b32 s5, s4
	s_cbranch_execz .LBB54_54
; %bb.53:                               ;   in Loop: Header=BB54_8 Depth=2
	v_add_co_u32 v15, s4, v7, v2
	s_wait_alu 0xf1ff
	v_add_co_ci_u32_e64 v16, null, v13, v3, s4
	global_load_b64 v[17:18], v[15:16], off
	s_wait_loadcnt 0x0
	v_fma_f64 v[17:18], v[8:9], v[40:41], v[17:18]
	global_store_b64 v[15:16], v[17:18], off
.LBB54_54:                              ;   in Loop: Header=BB54_8 Depth=2
	s_wait_alu 0xfffe
	s_or_b32 exec_lo, exec_lo, s5
	s_and_b32 s5, s1, vcc_lo
	s_wait_alu 0xfffe
	s_and_saveexec_b32 s4, s5
	s_cbranch_execz .LBB54_7
; %bb.55:                               ;   in Loop: Header=BB54_8 Depth=2
	v_lshlrev_b64_e32 v[15:16], 3, v[0:1]
	s_delay_alu instid0(VALU_DEP_1) | instskip(SKIP_1) | instid1(VALU_DEP_2)
	v_add_co_u32 v15, vcc_lo, v7, v15
	s_wait_alu 0xfffd
	v_add_co_ci_u32_e64 v16, null, v13, v16, vcc_lo
	global_load_b64 v[17:18], v[15:16], off
	s_wait_loadcnt 0x0
	v_fma_f64 v[17:18], v[8:9], v[38:39], v[17:18]
	global_store_b64 v[15:16], v[17:18], off
	s_branch .LBB54_7
.LBB54_56:
	s_endpgm
	.section	.rodata,"a",@progbits
	.p2align	6, 0x0
	.amdhsa_kernel _ZL30rocblas_trmm_outofplace_kernelIdLi32ELi2ELb0ELb1ELb1ELb0EPKdS0_dEv17rocblas_diagonal_iiT6_lPT7_lllS5_lllPT8_llli
		.amdhsa_group_segment_fixed_size 16384
		.amdhsa_private_segment_fixed_size 0
		.amdhsa_kernarg_size 392
		.amdhsa_user_sgpr_count 2
		.amdhsa_user_sgpr_dispatch_ptr 0
		.amdhsa_user_sgpr_queue_ptr 0
		.amdhsa_user_sgpr_kernarg_segment_ptr 1
		.amdhsa_user_sgpr_dispatch_id 0
		.amdhsa_user_sgpr_private_segment_size 0
		.amdhsa_wavefront_size32 1
		.amdhsa_uses_dynamic_stack 0
		.amdhsa_enable_private_segment 0
		.amdhsa_system_sgpr_workgroup_id_x 1
		.amdhsa_system_sgpr_workgroup_id_y 1
		.amdhsa_system_sgpr_workgroup_id_z 1
		.amdhsa_system_sgpr_workgroup_info 0
		.amdhsa_system_vgpr_workitem_id 1
		.amdhsa_next_free_vgpr 79
		.amdhsa_next_free_sgpr 65
		.amdhsa_reserve_vcc 1
		.amdhsa_float_round_mode_32 0
		.amdhsa_float_round_mode_16_64 0
		.amdhsa_float_denorm_mode_32 3
		.amdhsa_float_denorm_mode_16_64 3
		.amdhsa_fp16_overflow 0
		.amdhsa_workgroup_processor_mode 1
		.amdhsa_memory_ordered 1
		.amdhsa_forward_progress 1
		.amdhsa_inst_pref_size 35
		.amdhsa_round_robin_scheduling 0
		.amdhsa_exception_fp_ieee_invalid_op 0
		.amdhsa_exception_fp_denorm_src 0
		.amdhsa_exception_fp_ieee_div_zero 0
		.amdhsa_exception_fp_ieee_overflow 0
		.amdhsa_exception_fp_ieee_underflow 0
		.amdhsa_exception_fp_ieee_inexact 0
		.amdhsa_exception_int_div_zero 0
	.end_amdhsa_kernel
	.section	.text._ZL30rocblas_trmm_outofplace_kernelIdLi32ELi2ELb0ELb1ELb1ELb0EPKdS0_dEv17rocblas_diagonal_iiT6_lPT7_lllS5_lllPT8_llli,"axG",@progbits,_ZL30rocblas_trmm_outofplace_kernelIdLi32ELi2ELb0ELb1ELb1ELb0EPKdS0_dEv17rocblas_diagonal_iiT6_lPT7_lllS5_lllPT8_llli,comdat
.Lfunc_end54:
	.size	_ZL30rocblas_trmm_outofplace_kernelIdLi32ELi2ELb0ELb1ELb1ELb0EPKdS0_dEv17rocblas_diagonal_iiT6_lPT7_lllS5_lllPT8_llli, .Lfunc_end54-_ZL30rocblas_trmm_outofplace_kernelIdLi32ELi2ELb0ELb1ELb1ELb0EPKdS0_dEv17rocblas_diagonal_iiT6_lPT7_lllS5_lllPT8_llli
                                        ; -- End function
	.set _ZL30rocblas_trmm_outofplace_kernelIdLi32ELi2ELb0ELb1ELb1ELb0EPKdS0_dEv17rocblas_diagonal_iiT6_lPT7_lllS5_lllPT8_llli.num_vgpr, 79
	.set _ZL30rocblas_trmm_outofplace_kernelIdLi32ELi2ELb0ELb1ELb1ELb0EPKdS0_dEv17rocblas_diagonal_iiT6_lPT7_lllS5_lllPT8_llli.num_agpr, 0
	.set _ZL30rocblas_trmm_outofplace_kernelIdLi32ELi2ELb0ELb1ELb1ELb0EPKdS0_dEv17rocblas_diagonal_iiT6_lPT7_lllS5_lllPT8_llli.numbered_sgpr, 65
	.set _ZL30rocblas_trmm_outofplace_kernelIdLi32ELi2ELb0ELb1ELb1ELb0EPKdS0_dEv17rocblas_diagonal_iiT6_lPT7_lllS5_lllPT8_llli.num_named_barrier, 0
	.set _ZL30rocblas_trmm_outofplace_kernelIdLi32ELi2ELb0ELb1ELb1ELb0EPKdS0_dEv17rocblas_diagonal_iiT6_lPT7_lllS5_lllPT8_llli.private_seg_size, 0
	.set _ZL30rocblas_trmm_outofplace_kernelIdLi32ELi2ELb0ELb1ELb1ELb0EPKdS0_dEv17rocblas_diagonal_iiT6_lPT7_lllS5_lllPT8_llli.uses_vcc, 1
	.set _ZL30rocblas_trmm_outofplace_kernelIdLi32ELi2ELb0ELb1ELb1ELb0EPKdS0_dEv17rocblas_diagonal_iiT6_lPT7_lllS5_lllPT8_llli.uses_flat_scratch, 0
	.set _ZL30rocblas_trmm_outofplace_kernelIdLi32ELi2ELb0ELb1ELb1ELb0EPKdS0_dEv17rocblas_diagonal_iiT6_lPT7_lllS5_lllPT8_llli.has_dyn_sized_stack, 0
	.set _ZL30rocblas_trmm_outofplace_kernelIdLi32ELi2ELb0ELb1ELb1ELb0EPKdS0_dEv17rocblas_diagonal_iiT6_lPT7_lllS5_lllPT8_llli.has_recursion, 0
	.set _ZL30rocblas_trmm_outofplace_kernelIdLi32ELi2ELb0ELb1ELb1ELb0EPKdS0_dEv17rocblas_diagonal_iiT6_lPT7_lllS5_lllPT8_llli.has_indirect_call, 0
	.section	.AMDGPU.csdata,"",@progbits
; Kernel info:
; codeLenInByte = 4384
; TotalNumSgprs: 67
; NumVgprs: 79
; ScratchSize: 0
; MemoryBound: 0
; FloatMode: 240
; IeeeMode: 1
; LDSByteSize: 16384 bytes/workgroup (compile time only)
; SGPRBlocks: 0
; VGPRBlocks: 9
; NumSGPRsForWavesPerEU: 67
; NumVGPRsForWavesPerEU: 79
; Occupancy: 16
; WaveLimiterHint : 0
; COMPUTE_PGM_RSRC2:SCRATCH_EN: 0
; COMPUTE_PGM_RSRC2:USER_SGPR: 2
; COMPUTE_PGM_RSRC2:TRAP_HANDLER: 0
; COMPUTE_PGM_RSRC2:TGID_X_EN: 1
; COMPUTE_PGM_RSRC2:TGID_Y_EN: 1
; COMPUTE_PGM_RSRC2:TGID_Z_EN: 1
; COMPUTE_PGM_RSRC2:TIDIG_COMP_CNT: 1
	.section	.text._ZL30rocblas_trmm_outofplace_kernelIdLi32ELi2ELb0ELb1ELb1ELb0EdKddEv17rocblas_diagonal_iiT6_lPT7_lllS4_lllPT8_llli,"axG",@progbits,_ZL30rocblas_trmm_outofplace_kernelIdLi32ELi2ELb0ELb1ELb1ELb0EdKddEv17rocblas_diagonal_iiT6_lPT7_lllS4_lllPT8_llli,comdat
	.globl	_ZL30rocblas_trmm_outofplace_kernelIdLi32ELi2ELb0ELb1ELb1ELb0EdKddEv17rocblas_diagonal_iiT6_lPT7_lllS4_lllPT8_llli ; -- Begin function _ZL30rocblas_trmm_outofplace_kernelIdLi32ELi2ELb0ELb1ELb1ELb0EdKddEv17rocblas_diagonal_iiT6_lPT7_lllS4_lllPT8_llli
	.p2align	8
	.type	_ZL30rocblas_trmm_outofplace_kernelIdLi32ELi2ELb0ELb1ELb1ELb0EdKddEv17rocblas_diagonal_iiT6_lPT7_lllS4_lllPT8_llli,@function
_ZL30rocblas_trmm_outofplace_kernelIdLi32ELi2ELb0ELb1ELb1ELb0EdKddEv17rocblas_diagonal_iiT6_lPT7_lllS4_lllPT8_llli: ; @_ZL30rocblas_trmm_outofplace_kernelIdLi32ELi2ELb0ELb1ELb1ELb0EdKddEv17rocblas_diagonal_iiT6_lPT7_lllS4_lllPT8_llli
; %bb.0:
	s_load_b32 s33, s[0:1], 0x80
	s_lshr_b32 s34, ttmp7, 16
	s_wait_kmcnt 0x0
	s_cmp_ge_u32 s34, s33
	s_cbranch_scc1 .LBB55_55
; %bb.1:
	s_load_b64 s[40:41], s[0:1], 0x10
	s_wait_kmcnt 0x0
	v_cmp_eq_f64_e64 s2, s[40:41], 0
	s_and_b32 vcc_lo, exec_lo, s2
	s_cbranch_vccnz .LBB55_55
; %bb.2:
	s_clause 0x1
	s_load_b96 s[36:38], s[0:1], 0x0
	s_load_b512 s[8:23], s[0:1], 0x20
	s_add_nc_u64 s[42:43], s[0:1], 0x88
	s_load_b256 s[24:31], s[0:1], 0x60
	v_and_b32_e32 v6, 0x3ff, v0
	s_and_b32 s39, ttmp7, 0xffff
	v_bfe_u32 v50, v0, 10, 10
	s_mov_b32 s35, 0
	v_mov_b32_e32 v57, 0x3ff00000
	v_lshl_add_u32 v2, ttmp9, 5, v6
	v_lshlrev_b32_e32 v1, 3, v6
	v_lshlrev_b32_e32 v51, 8, v50
	s_delay_alu instid0(VALU_DEP_3)
	v_ashrrev_i32_e32 v3, 31, v2
	v_add_nc_u32_e32 v0, 16, v2
	s_wait_kmcnt 0x0
	s_add_co_i32 s0, s38, -1
	v_sub_co_u32 v4, vcc_lo, s37, v2
	s_wait_alu 0xfffe
	s_ashr_i32 s1, s0, 31
	s_mov_b32 s44, s38
	s_wait_alu 0xfffe
	s_lshr_b32 s1, s1, 27
	s_wait_alu 0xfffe
	s_add_co_i32 s0, s0, s1
	v_cmp_gt_i32_e64 s1, s37, v0
	s_wait_alu 0xfffe
	s_ashr_i32 s54, s0, 5
	v_cmp_gt_i32_e64 s0, s37, v2
	s_cmp_le_i32 s39, s54
	s_cselect_b32 s55, -1, 0
	s_cmp_eq_u32 s36, 0x84
	s_cselect_b32 s56, -1, 0
	s_ashr_i32 s2, s37, 31
	s_lshl_b32 s4, s39, 5
	v_sub_co_ci_u32_e64 v5, null, s2, v3, vcc_lo
	v_lshlrev_b64_e32 v[2:3], 3, v[2:3]
	v_add_nc_u32_e32 v55, s4, v6
	v_add_nc_u32_e32 v56, s4, v50
	s_lshl_b64 s[4:5], s[18:19], 3
	v_mov_b32_e32 v6, 0
	v_or_b32_e32 v52, 0x2000, v1
	s_lshl_b64 s[2:3], s[26:27], 3
	s_wait_alu 0xfffe
	s_add_nc_u64 s[4:5], s[16:17], s[4:5]
	s_add_nc_u64 s[24:25], s[24:25], s[2:3]
	v_cmp_gt_i64_e64 s2, 1, v[4:5]
	v_cmp_gt_i64_e64 s3, 17, v[4:5]
	s_wait_alu 0xfffe
	v_add_co_u32 v4, vcc_lo, s4, v2
	v_add_nc_u32_e32 v53, v51, v1
	v_add_nc_u32_e32 v54, v52, v51
	v_ashrrev_i32_e32 v1, 31, v0
	s_wait_alu 0xfffd
	v_add_co_ci_u32_e64 v5, null, s5, v3, vcc_lo
	v_add_nc_u32_e32 v58, 0x800, v52
	v_add_nc_u32_e32 v59, 0x1000, v52
	;; [unrolled: 1-line block ×3, first 2 shown]
	s_ashr_i32 s45, s38, 31
	s_lshl_b64 s[4:5], s[10:11], 3
	s_lshl_b64 s[46:47], s[12:13], 8
	;; [unrolled: 1-line block ×3, first 2 shown]
	s_add_nc_u64 s[26:27], s[44:45], -16
	s_lshl_b64 s[18:19], s[20:21], 3
	s_lshl_b64 s[10:11], s[22:23], 3
	s_wait_alu 0xfffe
	s_add_nc_u64 s[16:17], s[8:9], s[4:5]
	s_lshl_b64 s[14:15], s[14:15], 3
	s_lshl_b64 s[22:23], s[12:13], 3
	s_branch .LBB55_4
.LBB55_3:                               ;   in Loop: Header=BB55_4 Depth=1
	s_add_co_i32 s34, s34, 0x10000
	s_wait_alu 0xfffe
	s_cmp_ge_u32 s34, s33
	s_cbranch_scc1 .LBB55_55
.LBB55_4:                               ; =>This Loop Header: Depth=1
                                        ;     Child Loop BB55_7 Depth 2
                                        ;       Child Loop BB55_10 Depth 3
	s_and_not1_b32 vcc_lo, exec_lo, s55
	s_wait_alu 0xfffe
	s_cbranch_vccnz .LBB55_3
; %bb.5:                                ;   in Loop: Header=BB55_4 Depth=1
	s_load_b32 s57, s[42:43], 0x4
	v_mad_co_u64_u32 v[8:9], null, s10, s34, v[4:5]
	s_mul_u64 s[4:5], s[30:31], s[34:35]
	v_mov_b32_e32 v12, v55
	s_mul_u64 s[6:7], s[14:15], s[34:35]
	s_wait_alu 0xfffe
	s_lshl_b64 s[4:5], s[4:5], 3
	s_add_nc_u64 s[50:51], s[16:17], s[6:7]
	s_wait_alu 0xfffe
	s_add_nc_u64 s[36:37], s[24:25], s[4:5]
	v_mov_b32_e32 v7, v9
	s_mov_b32 s59, s39
	s_delay_alu instid0(VALU_DEP_1)
	v_mad_co_u64_u32 v[9:10], null, s11, s34, v[7:8]
	v_mov_b32_e32 v10, v56
	s_wait_kmcnt 0x0
	s_lshl_b32 s58, s57, 5
	s_branch .LBB55_7
.LBB55_6:                               ;   in Loop: Header=BB55_7 Depth=2
	s_wait_alu 0xfffe
	s_or_b32 exec_lo, exec_lo, s4
	v_add_nc_u32_e32 v12, s58, v12
	v_add_nc_u32_e32 v10, s58, v10
	s_add_co_i32 s59, s57, s59
	s_wait_alu 0xfffe
	s_cmp_gt_i32 s59, s54
	s_cbranch_scc1 .LBB55_3
.LBB55_7:                               ;   Parent Loop BB55_4 Depth=1
                                        ; =>  This Loop Header: Depth=2
                                        ;       Child Loop BB55_10 Depth 3
	s_wait_alu 0xfffe
	s_lshl_b32 s4, s59, 5
	v_ashrrev_i32_e32 v13, 31, v12
	s_wait_alu 0xfffe
	v_add_nc_u32_e32 v14, s4, v50
	v_ashrrev_i32_e32 v11, 31, v10
	s_sub_co_i32 s60, s38, s4
	s_wait_alu 0xfffe
	s_cmp_lt_i32 s60, 1
	v_ashrrev_i32_e32 v15, 31, v14
	s_cbranch_scc1 .LBB55_46
; %bb.8:                                ;   in Loop: Header=BB55_7 Depth=2
	v_lshlrev_b64_e32 v[18:19], 3, v[10:11]
	v_lshlrev_b64_e32 v[22:23], 3, v[12:13]
	v_sub_co_u32 v16, vcc_lo, v10, v12
	s_wait_alu 0xfffd
	v_sub_co_ci_u32_e64 v17, null, v11, v13, vcc_lo
	s_delay_alu instid0(VALU_DEP_4)
	v_add_co_u32 v24, vcc_lo, 0x80, v18
	s_wait_alu 0xfffd
	v_add_co_ci_u32_e64 v25, null, 0, v19, vcc_lo
	v_add_co_u32 v26, vcc_lo, 0x80, v22
	v_mad_co_u64_u32 v[20:21], null, s18, v10, 0x80
	v_mul_lo_u32 v7, s18, v11
	v_mul_lo_u32 v28, s19, v10
	s_wait_alu 0xfffd
	v_add_co_ci_u32_e64 v27, null, 0, v23, vcc_lo
	v_mul_lo_u32 v30, s20, v25
	v_mul_lo_u32 v31, s21, v24
	v_mad_co_u64_u32 v[22:23], null, s20, v24, 0x80
	s_delay_alu instid0(VALU_DEP_4)
	v_mul_lo_u32 v32, s12, v27
	v_mul_lo_u32 v33, s13, v26
	v_mad_co_u64_u32 v[24:25], null, s12, v26, s[50:51]
	v_mad_co_u64_u32 v[26:27], null, s22, v12, s[50:51]
	v_mul_lo_u32 v34, s22, v13
	v_mul_lo_u32 v35, s23, v12
	v_add3_u32 v21, v28, v21, v7
	v_add_co_u32 v28, vcc_lo, v14, 16
	s_wait_alu 0xfffd
	v_add_co_ci_u32_e64 v29, null, 0, v15, vcc_lo
	v_add3_u32 v23, v31, v23, v30
	v_add_co_u32 v30, s5, v16, 16
	v_add3_u32 v25, v33, v25, v32
	s_wait_alu 0xf1ff
	v_add_co_ci_u32_e64 v31, null, 0, v17, s5
	v_add_co_u32 v32, s5, v16, -16
	v_mov_b32_e32 v36, 0
	v_mov_b32_e32 v40, 0
	v_cmp_le_i64_e64 s4, s[44:45], v[28:29]
	v_dual_mov_b32 v37, 0 :: v_dual_mov_b32 v38, 0
	v_dual_mov_b32 v41, 0 :: v_dual_mov_b32 v42, 0
	v_add3_u32 v27, v35, v27, v34
	s_wait_alu 0xf1ff
	v_add_co_ci_u32_e64 v33, null, -1, v17, s5
	v_mov_b32_e32 v39, 0
	v_mov_b32_e32 v43, 0
	v_dual_mov_b32 v35, v9 :: v_dual_mov_b32 v34, v8
	s_mov_b64 s[52:53], 0
	v_cmp_le_i32_e32 vcc_lo, s38, v14
	s_branch .LBB55_10
.LBB55_9:                               ;   in Loop: Header=BB55_10 Depth=3
	s_wait_alu 0xfffe
	s_or_b32 exec_lo, exec_lo, s5
	s_wait_dscnt 0x0
	s_barrier_signal -1
	s_barrier_wait -1
	global_inv scope:SCOPE_SE
	ds_load_b128 v[44:47], v51
	ds_load_2addr_b64 v[61:64], v52 offset1:16
	ds_load_b128 v[65:68], v51 offset:4096
	ds_load_b128 v[69:72], v51 offset:16
	;; [unrolled: 1-line block ×3, first 2 shown]
	v_add_co_u32 v34, s5, v34, s48
	s_wait_alu 0xf1ff
	v_add_co_ci_u32_e64 v35, null, s49, v35, s5
	v_add_co_u32 v24, s5, v24, s46
	s_wait_alu 0xf1ff
	v_add_co_ci_u32_e64 v25, null, s47, v25, s5
	;; [unrolled: 3-line block ×3, first 2 shown]
	s_add_nc_u64 s[52:53], s[52:53], 32
	s_wait_alu 0xfffe
	s_cmp_ge_i32 s52, s60
	s_wait_dscnt 0x3
	v_fma_f64 v[42:43], v[61:62], v[44:45], v[42:43]
	v_fma_f64 v[40:41], v[63:64], v[44:45], v[40:41]
	s_wait_dscnt 0x2
	v_fma_f64 v[44:45], v[61:62], v[65:66], v[38:39]
	v_fma_f64 v[48:49], v[63:64], v[65:66], v[36:37]
	ds_load_2addr_b64 v[36:39], v52 offset0:32 offset1:48
	s_wait_dscnt 0x0
	v_fma_f64 v[42:43], v[36:37], v[46:47], v[42:43]
	v_fma_f64 v[40:41], v[38:39], v[46:47], v[40:41]
	v_fma_f64 v[44:45], v[36:37], v[67:68], v[44:45]
	v_fma_f64 v[46:47], v[38:39], v[67:68], v[48:49]
	ds_load_2addr_b64 v[36:39], v52 offset0:64 offset1:80
	s_wait_dscnt 0x0
	v_fma_f64 v[42:43], v[36:37], v[69:70], v[42:43]
	v_fma_f64 v[40:41], v[38:39], v[69:70], v[40:41]
	v_fma_f64 v[44:45], v[36:37], v[73:74], v[44:45]
	v_fma_f64 v[46:47], v[38:39], v[73:74], v[46:47]
	ds_load_2addr_b64 v[36:39], v52 offset0:96 offset1:112
	s_wait_dscnt 0x0
	v_fma_f64 v[48:49], v[36:37], v[71:72], v[42:43]
	v_fma_f64 v[69:70], v[38:39], v[71:72], v[40:41]
	v_fma_f64 v[71:72], v[36:37], v[75:76], v[44:45]
	v_fma_f64 v[73:74], v[38:39], v[75:76], v[46:47]
	ds_load_b128 v[36:39], v51 offset:32
	ds_load_2addr_b64 v[40:43], v52 offset0:128 offset1:144
	ds_load_b128 v[44:47], v51 offset:4128
	ds_load_b128 v[61:64], v51 offset:48
	ds_load_b128 v[65:68], v51 offset:4144
	s_wait_dscnt 0x3
	v_fma_f64 v[48:49], v[40:41], v[36:37], v[48:49]
	v_fma_f64 v[36:37], v[42:43], v[36:37], v[69:70]
	s_wait_dscnt 0x2
	v_fma_f64 v[69:70], v[40:41], v[44:45], v[71:72]
	v_fma_f64 v[44:45], v[42:43], v[44:45], v[73:74]
	ds_load_2addr_b64 v[40:43], v52 offset0:160 offset1:176
	s_wait_dscnt 0x0
	v_fma_f64 v[48:49], v[40:41], v[38:39], v[48:49]
	v_fma_f64 v[71:72], v[42:43], v[38:39], v[36:37]
	v_fma_f64 v[40:41], v[40:41], v[46:47], v[69:70]
	v_fma_f64 v[42:43], v[42:43], v[46:47], v[44:45]
	ds_load_2addr_b64 v[36:39], v52 offset0:192 offset1:208
	s_wait_dscnt 0x0
	v_fma_f64 v[44:45], v[36:37], v[61:62], v[48:49]
	v_fma_f64 v[46:47], v[38:39], v[61:62], v[71:72]
	v_fma_f64 v[40:41], v[36:37], v[65:66], v[40:41]
	v_fma_f64 v[42:43], v[38:39], v[65:66], v[42:43]
	ds_load_2addr_b64 v[36:39], v52 offset0:224 offset1:240
	s_wait_dscnt 0x0
	v_fma_f64 v[48:49], v[36:37], v[63:64], v[44:45]
	v_fma_f64 v[69:70], v[38:39], v[63:64], v[46:47]
	v_fma_f64 v[71:72], v[36:37], v[67:68], v[40:41]
	v_fma_f64 v[73:74], v[38:39], v[67:68], v[42:43]
	ds_load_b128 v[36:39], v51 offset:64
	ds_load_2addr_b64 v[40:43], v58 offset1:16
	ds_load_b128 v[44:47], v51 offset:4160
	ds_load_b128 v[61:64], v51 offset:80
	ds_load_b128 v[65:68], v51 offset:4176
	s_wait_dscnt 0x3
	v_fma_f64 v[48:49], v[40:41], v[36:37], v[48:49]
	v_fma_f64 v[36:37], v[42:43], v[36:37], v[69:70]
	s_wait_dscnt 0x2
	v_fma_f64 v[69:70], v[40:41], v[44:45], v[71:72]
	v_fma_f64 v[44:45], v[42:43], v[44:45], v[73:74]
	ds_load_2addr_b64 v[40:43], v58 offset0:32 offset1:48
	s_wait_dscnt 0x0
	v_fma_f64 v[48:49], v[40:41], v[38:39], v[48:49]
	v_fma_f64 v[71:72], v[42:43], v[38:39], v[36:37]
	v_fma_f64 v[40:41], v[40:41], v[46:47], v[69:70]
	v_fma_f64 v[42:43], v[42:43], v[46:47], v[44:45]
	ds_load_2addr_b64 v[36:39], v58 offset0:64 offset1:80
	s_wait_dscnt 0x0
	v_fma_f64 v[44:45], v[36:37], v[61:62], v[48:49]
	v_fma_f64 v[46:47], v[38:39], v[61:62], v[71:72]
	v_fma_f64 v[40:41], v[36:37], v[65:66], v[40:41]
	v_fma_f64 v[42:43], v[38:39], v[65:66], v[42:43]
	ds_load_2addr_b64 v[36:39], v58 offset0:96 offset1:112
	s_wait_dscnt 0x0
	v_fma_f64 v[48:49], v[36:37], v[63:64], v[44:45]
	v_fma_f64 v[69:70], v[38:39], v[63:64], v[46:47]
	v_fma_f64 v[71:72], v[36:37], v[67:68], v[40:41]
	v_fma_f64 v[73:74], v[38:39], v[67:68], v[42:43]
	ds_load_b128 v[36:39], v51 offset:96
	ds_load_2addr_b64 v[40:43], v58 offset0:128 offset1:144
	ds_load_b128 v[44:47], v51 offset:4192
	ds_load_b128 v[61:64], v51 offset:112
	ds_load_b128 v[65:68], v51 offset:4208
	s_wait_dscnt 0x3
	v_fma_f64 v[48:49], v[40:41], v[36:37], v[48:49]
	v_fma_f64 v[36:37], v[42:43], v[36:37], v[69:70]
	s_wait_dscnt 0x2
	v_fma_f64 v[69:70], v[40:41], v[44:45], v[71:72]
	v_fma_f64 v[44:45], v[42:43], v[44:45], v[73:74]
	ds_load_2addr_b64 v[40:43], v58 offset0:160 offset1:176
	s_wait_dscnt 0x0
	v_fma_f64 v[48:49], v[40:41], v[38:39], v[48:49]
	v_fma_f64 v[71:72], v[42:43], v[38:39], v[36:37]
	v_fma_f64 v[40:41], v[40:41], v[46:47], v[69:70]
	v_fma_f64 v[42:43], v[42:43], v[46:47], v[44:45]
	ds_load_2addr_b64 v[36:39], v58 offset0:192 offset1:208
	s_wait_dscnt 0x0
	v_fma_f64 v[44:45], v[36:37], v[61:62], v[48:49]
	v_fma_f64 v[46:47], v[38:39], v[61:62], v[71:72]
	v_fma_f64 v[40:41], v[36:37], v[65:66], v[40:41]
	v_fma_f64 v[42:43], v[38:39], v[65:66], v[42:43]
	ds_load_2addr_b64 v[36:39], v58 offset0:224 offset1:240
	s_wait_dscnt 0x0
	v_fma_f64 v[48:49], v[36:37], v[63:64], v[44:45]
	v_fma_f64 v[69:70], v[38:39], v[63:64], v[46:47]
	v_fma_f64 v[71:72], v[36:37], v[67:68], v[40:41]
	v_fma_f64 v[73:74], v[38:39], v[67:68], v[42:43]
	ds_load_b128 v[36:39], v51 offset:128
	ds_load_2addr_b64 v[40:43], v59 offset1:16
	ds_load_b128 v[44:47], v51 offset:4224
	ds_load_b128 v[61:64], v51 offset:144
	ds_load_b128 v[65:68], v51 offset:4240
	;; [unrolled: 58-line block ×3, first 2 shown]
	s_wait_dscnt 0x3
	v_fma_f64 v[48:49], v[40:41], v[36:37], v[48:49]
	v_fma_f64 v[36:37], v[42:43], v[36:37], v[69:70]
	s_wait_dscnt 0x2
	v_fma_f64 v[69:70], v[40:41], v[44:45], v[71:72]
	v_fma_f64 v[44:45], v[42:43], v[44:45], v[73:74]
	ds_load_2addr_b64 v[40:43], v60 offset0:32 offset1:48
	s_wait_dscnt 0x0
	v_fma_f64 v[48:49], v[40:41], v[38:39], v[48:49]
	v_fma_f64 v[71:72], v[42:43], v[38:39], v[36:37]
	v_fma_f64 v[40:41], v[40:41], v[46:47], v[69:70]
	v_fma_f64 v[42:43], v[42:43], v[46:47], v[44:45]
	ds_load_2addr_b64 v[36:39], v60 offset0:64 offset1:80
	s_wait_dscnt 0x0
	v_fma_f64 v[44:45], v[36:37], v[61:62], v[48:49]
	v_fma_f64 v[46:47], v[38:39], v[61:62], v[71:72]
	;; [unrolled: 6-line block ×3, first 2 shown]
	v_fma_f64 v[71:72], v[36:37], v[67:68], v[40:41]
	v_fma_f64 v[73:74], v[38:39], v[67:68], v[42:43]
	ds_load_b128 v[36:39], v51 offset:224
	ds_load_2addr_b64 v[40:43], v60 offset0:128 offset1:144
	ds_load_b128 v[44:47], v51 offset:4320
	ds_load_b128 v[61:64], v51 offset:240
	;; [unrolled: 1-line block ×3, first 2 shown]
	s_wait_dscnt 0x3
	v_fma_f64 v[48:49], v[40:41], v[36:37], v[48:49]
	v_fma_f64 v[36:37], v[42:43], v[36:37], v[69:70]
	s_wait_dscnt 0x2
	v_fma_f64 v[69:70], v[40:41], v[44:45], v[71:72]
	v_fma_f64 v[44:45], v[42:43], v[44:45], v[73:74]
	ds_load_2addr_b64 v[40:43], v60 offset0:160 offset1:176
	s_wait_dscnt 0x0
	v_fma_f64 v[48:49], v[40:41], v[38:39], v[48:49]
	v_fma_f64 v[71:72], v[42:43], v[38:39], v[36:37]
	;; [unrolled: 1-line block ×4, first 2 shown]
	ds_load_2addr_b64 v[36:39], v60 offset0:192 offset1:208
	ds_load_2addr_b64 v[44:47], v60 offset0:224 offset1:240
	s_wait_loadcnt_dscnt 0x0
	s_barrier_signal -1
	s_barrier_wait -1
	global_inv scope:SCOPE_SE
	v_fma_f64 v[48:49], v[36:37], v[61:62], v[48:49]
	v_fma_f64 v[61:62], v[38:39], v[61:62], v[71:72]
	;; [unrolled: 1-line block ×4, first 2 shown]
	s_delay_alu instid0(VALU_DEP_4) | instskip(NEXT) | instid1(VALU_DEP_4)
	v_fma_f64 v[42:43], v[44:45], v[63:64], v[48:49]
	v_fma_f64 v[40:41], v[46:47], v[63:64], v[61:62]
	s_delay_alu instid0(VALU_DEP_4) | instskip(NEXT) | instid1(VALU_DEP_4)
	v_fma_f64 v[38:39], v[44:45], v[67:68], v[36:37]
	v_fma_f64 v[36:37], v[46:47], v[67:68], v[65:66]
	s_cbranch_scc1 .LBB55_47
.LBB55_10:                              ;   Parent Loop BB55_4 Depth=1
                                        ;     Parent Loop BB55_7 Depth=2
                                        ; =>    This Inner Loop Header: Depth=3
	s_wait_alu 0xfffe
	v_add_co_u32 v44, s5, v12, s52
	s_wait_alu 0xf1ff
	v_add_co_ci_u32_e64 v45, null, s53, v13, s5
	v_cmp_eq_u64_e64 s7, s[52:53], v[16:17]
	v_add_co_u32 v46, s8, v26, v18
	s_delay_alu instid0(VALU_DEP_3)
	v_cmp_lt_i64_e64 s5, v[44:45], v[14:15]
	v_cmp_le_i64_e64 s6, s[44:45], v[44:45]
	s_wait_alu 0xf1ff
	v_add_co_ci_u32_e64 v47, null, v27, v19, s8
	s_and_b32 s61, s56, s7
                                        ; implicit-def: $vgpr48_vgpr49
	s_or_b32 s8, vcc_lo, s5
	s_wait_alu 0xfffe
	s_or_b32 s7, s6, s8
	s_wait_alu 0xfffe
	s_nor_b32 s7, s7, s61
	s_wait_alu 0xfffe
	s_and_saveexec_b32 s8, s7
	s_wait_alu 0xfffe
	s_xor_b32 s7, exec_lo, s8
	s_cbranch_execz .LBB55_12
; %bb.11:                               ;   in Loop: Header=BB55_10 Depth=3
	global_load_b64 v[48:49], v[46:47], off
.LBB55_12:                              ;   in Loop: Header=BB55_10 Depth=3
	s_wait_alu 0xfffe
	s_and_not1_saveexec_b32 s7, s7
	s_cbranch_execz .LBB55_14
; %bb.13:                               ;   in Loop: Header=BB55_10 Depth=3
	v_cndmask_b32_e64 v7, 0, 0x3ff00000, s61
	s_wait_loadcnt 0x0
	s_delay_alu instid0(VALU_DEP_1)
	v_dual_mov_b32 v49, v7 :: v_dual_mov_b32 v48, v6
.LBB55_14:                              ;   in Loop: Header=BB55_10 Depth=3
	s_wait_alu 0xfffe
	s_or_b32 exec_lo, exec_lo, s7
	v_add_co_u32 v61, s7, v44, 16
	s_wait_alu 0xf1ff
	v_add_co_ci_u32_e64 v62, null, 0, v45, s7
	v_cmp_eq_u64_e64 s9, s[52:53], v[32:33]
	s_wait_loadcnt 0x0
	ds_store_b64 v53, v[48:49]
	v_cmp_lt_i64_e64 s8, v[61:62], v[14:15]
	v_cmp_le_i64_e64 s7, s[44:45], v[61:62]
	s_and_b32 s9, s56, s9
	s_or_b32 s8, vcc_lo, s8
	s_wait_alu 0xfffe
	s_or_b32 s8, s7, s8
	s_wait_alu 0xfffe
	s_nor_b32 s8, s8, s9
	s_wait_alu 0xfffe
	s_and_saveexec_b32 s62, s8
	s_delay_alu instid0(SALU_CYCLE_1)
	s_xor_b32 s62, exec_lo, s62
	s_cbranch_execz .LBB55_16
; %bb.15:                               ;   in Loop: Header=BB55_10 Depth=3
	v_add_co_u32 v48, s8, v24, v18
	s_wait_alu 0xf1ff
	v_add_co_ci_u32_e64 v49, null, v25, v19, s8
	global_load_b64 v[48:49], v[48:49], off
	s_wait_loadcnt 0x0
	ds_store_b64 v53, v[48:49] offset:128
.LBB55_16:                              ;   in Loop: Header=BB55_10 Depth=3
	s_and_not1_saveexec_b32 s8, s62
	s_cbranch_execz .LBB55_22
; %bb.17:                               ;   in Loop: Header=BB55_10 Depth=3
	s_xor_b32 s9, s9, -1
	s_wait_alu 0xfffe
	s_and_saveexec_b32 s62, s9
	s_delay_alu instid0(SALU_CYCLE_1)
	s_xor_b32 s9, exec_lo, s62
; %bb.18:                               ;   in Loop: Header=BB55_10 Depth=3
	v_mov_b32_e32 v7, v6
	ds_store_b64 v53, v[6:7] offset:128
; %bb.19:                               ;   in Loop: Header=BB55_10 Depth=3
	s_wait_alu 0xfffe
	s_and_not1_saveexec_b32 s9, s9
; %bb.20:                               ;   in Loop: Header=BB55_10 Depth=3
	v_mov_b32_e32 v7, v57
	ds_store_b64 v53, v[6:7] offset:128
; %bb.21:                               ;   in Loop: Header=BB55_10 Depth=3
	s_wait_alu 0xfffe
	s_or_b32 exec_lo, exec_lo, s9
.LBB55_22:                              ;   in Loop: Header=BB55_10 Depth=3
	s_wait_alu 0xfffe
	s_or_b32 exec_lo, exec_lo, s8
	v_cmp_eq_u64_e64 s8, s[52:53], v[30:31]
	v_cmp_lt_i64_e64 s9, v[44:45], v[28:29]
                                        ; implicit-def: $vgpr44_vgpr45
	s_and_b32 s8, s56, s8
	s_or_b32 s9, s4, s9
	s_wait_alu 0xfffe
	s_or_b32 s9, s9, s8
	s_wait_alu 0xfffe
	s_nor_b32 s6, s6, s9
	s_wait_alu 0xfffe
	s_and_saveexec_b32 s9, s6
	s_wait_alu 0xfffe
	s_xor_b32 s6, exec_lo, s9
	s_cbranch_execz .LBB55_24
; %bb.23:                               ;   in Loop: Header=BB55_10 Depth=3
	global_load_b64 v[44:45], v[46:47], off offset:128
.LBB55_24:                              ;   in Loop: Header=BB55_10 Depth=3
	s_wait_alu 0xfffe
	s_and_not1_saveexec_b32 s6, s6
	s_cbranch_execz .LBB55_26
; %bb.25:                               ;   in Loop: Header=BB55_10 Depth=3
	v_cndmask_b32_e64 v7, 0, 0x3ff00000, s8
	s_wait_loadcnt 0x0
	s_delay_alu instid0(VALU_DEP_1)
	v_dual_mov_b32 v45, v7 :: v_dual_mov_b32 v44, v6
.LBB55_26:                              ;   in Loop: Header=BB55_10 Depth=3
	s_wait_alu 0xfffe
	s_or_b32 exec_lo, exec_lo, s6
	s_or_b32 s5, s4, s5
	s_wait_loadcnt 0x0
	ds_store_b64 v53, v[44:45] offset:4096
	s_wait_alu 0xfffe
	s_or_b32 s5, s7, s5
	s_wait_alu 0xfffe
	s_nor_b32 s5, s5, s61
	s_wait_alu 0xfffe
	s_and_saveexec_b32 s6, s5
	s_wait_alu 0xfffe
	s_xor_b32 s6, exec_lo, s6
	s_cbranch_execz .LBB55_28
; %bb.27:                               ;   in Loop: Header=BB55_10 Depth=3
	v_add_co_u32 v44, s5, v24, v18
	s_wait_alu 0xf1ff
	v_add_co_ci_u32_e64 v45, null, v25, v19, s5
	global_load_b64 v[44:45], v[44:45], off offset:128
	s_wait_loadcnt 0x0
	ds_store_b64 v53, v[44:45] offset:4224
.LBB55_28:                              ;   in Loop: Header=BB55_10 Depth=3
	s_wait_alu 0xfffe
	s_and_not1_saveexec_b32 s5, s6
	s_cbranch_execz .LBB55_34
; %bb.29:                               ;   in Loop: Header=BB55_10 Depth=3
	s_xor_b32 s6, s61, -1
	s_wait_alu 0xfffe
	s_and_saveexec_b32 s7, s6
	s_wait_alu 0xfffe
	s_xor_b32 s6, exec_lo, s7
; %bb.30:                               ;   in Loop: Header=BB55_10 Depth=3
	v_mov_b32_e32 v7, v6
	ds_store_b64 v53, v[6:7] offset:4224
; %bb.31:                               ;   in Loop: Header=BB55_10 Depth=3
	s_wait_alu 0xfffe
	s_and_not1_saveexec_b32 s6, s6
; %bb.32:                               ;   in Loop: Header=BB55_10 Depth=3
	v_mov_b32_e32 v7, v57
	ds_store_b64 v53, v[6:7] offset:4224
; %bb.33:                               ;   in Loop: Header=BB55_10 Depth=3
	s_wait_alu 0xfffe
	s_or_b32 exec_lo, exec_lo, s6
.LBB55_34:                              ;   in Loop: Header=BB55_10 Depth=3
	s_wait_alu 0xfffe
	s_or_b32 exec_lo, exec_lo, s5
	v_add_co_u32 v44, s5, v10, s52
	s_wait_alu 0xf1ff
	v_add_co_ci_u32_e64 v45, null, s53, v11, s5
	v_add_co_u32 v46, s6, v34, v20
	v_mov_b32_e32 v48, 0
	s_delay_alu instid0(VALU_DEP_3)
	v_cmp_le_i64_e64 s5, s[44:45], v[44:45]
	v_mov_b32_e32 v49, 0
	s_wait_alu 0xf1ff
	v_add_co_ci_u32_e64 v47, null, v35, v21, s6
	s_nor_b32 s7, s5, s2
	s_wait_alu 0xfffe
	s_and_saveexec_b32 s6, s7
	s_cbranch_execz .LBB55_36
; %bb.35:                               ;   in Loop: Header=BB55_10 Depth=3
	global_load_b64 v[48:49], v[46:47], off offset:-128
.LBB55_36:                              ;   in Loop: Header=BB55_10 Depth=3
	s_wait_alu 0xfffe
	s_or_b32 exec_lo, exec_lo, s6
	s_nor_b32 s5, s5, s3
	s_wait_loadcnt 0x0
	ds_store_b64 v54, v[48:49]
	s_wait_alu 0xfffe
	s_and_saveexec_b32 s6, s5
	s_wait_alu 0xfffe
	s_xor_b32 s5, exec_lo, s6
	s_cbranch_execz .LBB55_38
; %bb.37:                               ;   in Loop: Header=BB55_10 Depth=3
	global_load_b64 v[46:47], v[46:47], off
	s_wait_loadcnt 0x0
	ds_store_b64 v54, v[46:47] offset:128
.LBB55_38:                              ;   in Loop: Header=BB55_10 Depth=3
	s_wait_alu 0xfffe
	s_and_not1_saveexec_b32 s5, s5
; %bb.39:                               ;   in Loop: Header=BB55_10 Depth=3
	v_mov_b32_e32 v7, v6
	ds_store_b64 v54, v[6:7] offset:128
; %bb.40:                               ;   in Loop: Header=BB55_10 Depth=3
	s_wait_alu 0xfffe
	s_or_b32 exec_lo, exec_lo, s5
	v_cmp_le_i64_e64 s5, s[26:27], v[44:45]
	v_add_co_u32 v44, s6, v34, v22
	v_mov_b32_e32 v46, 0
	v_mov_b32_e32 v47, 0
	s_wait_alu 0xf1ff
	v_add_co_ci_u32_e64 v45, null, v35, v23, s6
	s_nor_b32 s7, s5, s2
	s_wait_alu 0xfffe
	s_and_saveexec_b32 s6, s7
	s_cbranch_execz .LBB55_42
; %bb.41:                               ;   in Loop: Header=BB55_10 Depth=3
	global_load_b64 v[46:47], v[44:45], off offset:-128
.LBB55_42:                              ;   in Loop: Header=BB55_10 Depth=3
	s_wait_alu 0xfffe
	s_or_b32 exec_lo, exec_lo, s6
	s_nor_b32 s5, s5, s3
	s_wait_loadcnt 0x0
	ds_store_b64 v54, v[46:47] offset:4096
	s_wait_alu 0xfffe
	s_and_saveexec_b32 s6, s5
	s_wait_alu 0xfffe
	s_xor_b32 s5, exec_lo, s6
	s_cbranch_execz .LBB55_44
; %bb.43:                               ;   in Loop: Header=BB55_10 Depth=3
	global_load_b64 v[44:45], v[44:45], off
	s_wait_loadcnt 0x0
	ds_store_b64 v54, v[44:45] offset:4224
.LBB55_44:                              ;   in Loop: Header=BB55_10 Depth=3
	s_wait_alu 0xfffe
	s_and_not1_saveexec_b32 s5, s5
	s_cbranch_execz .LBB55_9
; %bb.45:                               ;   in Loop: Header=BB55_10 Depth=3
	v_mov_b32_e32 v7, v6
	ds_store_b64 v54, v[6:7] offset:4224
	s_branch .LBB55_9
.LBB55_46:                              ;   in Loop: Header=BB55_7 Depth=2
	v_mov_b32_e32 v42, 0
	v_dual_mov_b32 v38, 0 :: v_dual_mov_b32 v43, 0
	v_dual_mov_b32 v40, 0 :: v_dual_mov_b32 v39, 0
	v_dual_mov_b32 v36, 0 :: v_dual_mov_b32 v41, 0
	v_mov_b32_e32 v37, 0
.LBB55_47:                              ;   in Loop: Header=BB55_7 Depth=2
	v_mul_lo_u32 v7, s29, v14
	v_mul_lo_u32 v11, s28, v15
	v_mad_co_u64_u32 v[15:16], null, s28, v14, 0
	v_cmp_gt_i32_e32 vcc_lo, s38, v14
	s_delay_alu instid0(VALU_DEP_2) | instskip(NEXT) | instid1(VALU_DEP_1)
	v_add3_u32 v16, v16, v11, v7
	v_lshlrev_b64_e32 v[15:16], 3, v[15:16]
	s_delay_alu instid0(VALU_DEP_1) | instskip(SKIP_1) | instid1(VALU_DEP_2)
	v_add_co_u32 v7, s4, s36, v15
	s_wait_alu 0xf1ff
	v_add_co_ci_u32_e64 v11, null, s37, v16, s4
	s_and_b32 s4, s0, vcc_lo
	s_wait_alu 0xfffe
	s_and_saveexec_b32 s5, s4
	s_cbranch_execz .LBB55_49
; %bb.48:                               ;   in Loop: Header=BB55_7 Depth=2
	v_add_co_u32 v15, s4, v7, v2
	s_wait_alu 0xf1ff
	v_add_co_ci_u32_e64 v16, null, v11, v3, s4
	global_load_b64 v[17:18], v[15:16], off
	s_wait_loadcnt 0x0
	v_fma_f64 v[17:18], s[40:41], v[42:43], v[17:18]
	global_store_b64 v[15:16], v[17:18], off
.LBB55_49:                              ;   in Loop: Header=BB55_7 Depth=2
	s_wait_alu 0xfffe
	s_or_b32 exec_lo, exec_lo, s5
	s_and_b32 s5, s1, vcc_lo
	s_wait_alu 0xfffe
	s_and_saveexec_b32 s4, s5
	s_cbranch_execz .LBB55_51
; %bb.50:                               ;   in Loop: Header=BB55_7 Depth=2
	v_lshlrev_b64_e32 v[15:16], 3, v[0:1]
	s_delay_alu instid0(VALU_DEP_1) | instskip(SKIP_1) | instid1(VALU_DEP_2)
	v_add_co_u32 v15, vcc_lo, v7, v15
	s_wait_alu 0xfffd
	v_add_co_ci_u32_e64 v16, null, v11, v16, vcc_lo
	global_load_b64 v[17:18], v[15:16], off
	s_wait_loadcnt 0x0
	v_fma_f64 v[17:18], s[40:41], v[40:41], v[17:18]
	global_store_b64 v[15:16], v[17:18], off
.LBB55_51:                              ;   in Loop: Header=BB55_7 Depth=2
	s_wait_alu 0xfffe
	s_or_b32 exec_lo, exec_lo, s4
	v_add_nc_u32_e32 v7, 16, v14
	s_delay_alu instid0(VALU_DEP_1) | instskip(SKIP_3) | instid1(VALU_DEP_4)
	v_ashrrev_i32_e32 v11, 31, v7
	v_mul_lo_u32 v15, s29, v7
	v_mad_co_u64_u32 v[13:14], null, s28, v7, 0
	v_cmp_gt_i32_e32 vcc_lo, s38, v7
	v_mul_lo_u32 v11, s28, v11
	s_delay_alu instid0(VALU_DEP_1) | instskip(NEXT) | instid1(VALU_DEP_1)
	v_add3_u32 v14, v14, v11, v15
	v_lshlrev_b64_e32 v[13:14], 3, v[13:14]
	s_delay_alu instid0(VALU_DEP_1) | instskip(SKIP_1) | instid1(VALU_DEP_2)
	v_add_co_u32 v7, s4, s36, v13
	s_wait_alu 0xf1ff
	v_add_co_ci_u32_e64 v11, null, s37, v14, s4
	s_and_b32 s4, s0, vcc_lo
	s_wait_alu 0xfffe
	s_and_saveexec_b32 s5, s4
	s_cbranch_execz .LBB55_53
; %bb.52:                               ;   in Loop: Header=BB55_7 Depth=2
	v_add_co_u32 v13, s4, v7, v2
	s_wait_alu 0xf1ff
	v_add_co_ci_u32_e64 v14, null, v11, v3, s4
	global_load_b64 v[15:16], v[13:14], off
	s_wait_loadcnt 0x0
	v_fma_f64 v[15:16], s[40:41], v[38:39], v[15:16]
	global_store_b64 v[13:14], v[15:16], off
.LBB55_53:                              ;   in Loop: Header=BB55_7 Depth=2
	s_wait_alu 0xfffe
	s_or_b32 exec_lo, exec_lo, s5
	s_and_b32 s5, s1, vcc_lo
	s_wait_alu 0xfffe
	s_and_saveexec_b32 s4, s5
	s_cbranch_execz .LBB55_6
; %bb.54:                               ;   in Loop: Header=BB55_7 Depth=2
	v_lshlrev_b64_e32 v[13:14], 3, v[0:1]
	s_delay_alu instid0(VALU_DEP_1) | instskip(SKIP_1) | instid1(VALU_DEP_2)
	v_add_co_u32 v13, vcc_lo, v7, v13
	s_wait_alu 0xfffd
	v_add_co_ci_u32_e64 v14, null, v11, v14, vcc_lo
	global_load_b64 v[15:16], v[13:14], off
	s_wait_loadcnt 0x0
	v_fma_f64 v[15:16], s[40:41], v[36:37], v[15:16]
	global_store_b64 v[13:14], v[15:16], off
	s_branch .LBB55_6
.LBB55_55:
	s_endpgm
	.section	.rodata,"a",@progbits
	.p2align	6, 0x0
	.amdhsa_kernel _ZL30rocblas_trmm_outofplace_kernelIdLi32ELi2ELb0ELb1ELb1ELb0EdKddEv17rocblas_diagonal_iiT6_lPT7_lllS4_lllPT8_llli
		.amdhsa_group_segment_fixed_size 16384
		.amdhsa_private_segment_fixed_size 0
		.amdhsa_kernarg_size 392
		.amdhsa_user_sgpr_count 2
		.amdhsa_user_sgpr_dispatch_ptr 0
		.amdhsa_user_sgpr_queue_ptr 0
		.amdhsa_user_sgpr_kernarg_segment_ptr 1
		.amdhsa_user_sgpr_dispatch_id 0
		.amdhsa_user_sgpr_private_segment_size 0
		.amdhsa_wavefront_size32 1
		.amdhsa_uses_dynamic_stack 0
		.amdhsa_enable_private_segment 0
		.amdhsa_system_sgpr_workgroup_id_x 1
		.amdhsa_system_sgpr_workgroup_id_y 1
		.amdhsa_system_sgpr_workgroup_id_z 1
		.amdhsa_system_sgpr_workgroup_info 0
		.amdhsa_system_vgpr_workitem_id 1
		.amdhsa_next_free_vgpr 77
		.amdhsa_next_free_sgpr 63
		.amdhsa_reserve_vcc 1
		.amdhsa_float_round_mode_32 0
		.amdhsa_float_round_mode_16_64 0
		.amdhsa_float_denorm_mode_32 3
		.amdhsa_float_denorm_mode_16_64 3
		.amdhsa_fp16_overflow 0
		.amdhsa_workgroup_processor_mode 1
		.amdhsa_memory_ordered 1
		.amdhsa_forward_progress 1
		.amdhsa_inst_pref_size 34
		.amdhsa_round_robin_scheduling 0
		.amdhsa_exception_fp_ieee_invalid_op 0
		.amdhsa_exception_fp_denorm_src 0
		.amdhsa_exception_fp_ieee_div_zero 0
		.amdhsa_exception_fp_ieee_overflow 0
		.amdhsa_exception_fp_ieee_underflow 0
		.amdhsa_exception_fp_ieee_inexact 0
		.amdhsa_exception_int_div_zero 0
	.end_amdhsa_kernel
	.section	.text._ZL30rocblas_trmm_outofplace_kernelIdLi32ELi2ELb0ELb1ELb1ELb0EdKddEv17rocblas_diagonal_iiT6_lPT7_lllS4_lllPT8_llli,"axG",@progbits,_ZL30rocblas_trmm_outofplace_kernelIdLi32ELi2ELb0ELb1ELb1ELb0EdKddEv17rocblas_diagonal_iiT6_lPT7_lllS4_lllPT8_llli,comdat
.Lfunc_end55:
	.size	_ZL30rocblas_trmm_outofplace_kernelIdLi32ELi2ELb0ELb1ELb1ELb0EdKddEv17rocblas_diagonal_iiT6_lPT7_lllS4_lllPT8_llli, .Lfunc_end55-_ZL30rocblas_trmm_outofplace_kernelIdLi32ELi2ELb0ELb1ELb1ELb0EdKddEv17rocblas_diagonal_iiT6_lPT7_lllS4_lllPT8_llli
                                        ; -- End function
	.set _ZL30rocblas_trmm_outofplace_kernelIdLi32ELi2ELb0ELb1ELb1ELb0EdKddEv17rocblas_diagonal_iiT6_lPT7_lllS4_lllPT8_llli.num_vgpr, 77
	.set _ZL30rocblas_trmm_outofplace_kernelIdLi32ELi2ELb0ELb1ELb1ELb0EdKddEv17rocblas_diagonal_iiT6_lPT7_lllS4_lllPT8_llli.num_agpr, 0
	.set _ZL30rocblas_trmm_outofplace_kernelIdLi32ELi2ELb0ELb1ELb1ELb0EdKddEv17rocblas_diagonal_iiT6_lPT7_lllS4_lllPT8_llli.numbered_sgpr, 63
	.set _ZL30rocblas_trmm_outofplace_kernelIdLi32ELi2ELb0ELb1ELb1ELb0EdKddEv17rocblas_diagonal_iiT6_lPT7_lllS4_lllPT8_llli.num_named_barrier, 0
	.set _ZL30rocblas_trmm_outofplace_kernelIdLi32ELi2ELb0ELb1ELb1ELb0EdKddEv17rocblas_diagonal_iiT6_lPT7_lllS4_lllPT8_llli.private_seg_size, 0
	.set _ZL30rocblas_trmm_outofplace_kernelIdLi32ELi2ELb0ELb1ELb1ELb0EdKddEv17rocblas_diagonal_iiT6_lPT7_lllS4_lllPT8_llli.uses_vcc, 1
	.set _ZL30rocblas_trmm_outofplace_kernelIdLi32ELi2ELb0ELb1ELb1ELb0EdKddEv17rocblas_diagonal_iiT6_lPT7_lllS4_lllPT8_llli.uses_flat_scratch, 0
	.set _ZL30rocblas_trmm_outofplace_kernelIdLi32ELi2ELb0ELb1ELb1ELb0EdKddEv17rocblas_diagonal_iiT6_lPT7_lllS4_lllPT8_llli.has_dyn_sized_stack, 0
	.set _ZL30rocblas_trmm_outofplace_kernelIdLi32ELi2ELb0ELb1ELb1ELb0EdKddEv17rocblas_diagonal_iiT6_lPT7_lllS4_lllPT8_llli.has_recursion, 0
	.set _ZL30rocblas_trmm_outofplace_kernelIdLi32ELi2ELb0ELb1ELb1ELb0EdKddEv17rocblas_diagonal_iiT6_lPT7_lllS4_lllPT8_llli.has_indirect_call, 0
	.section	.AMDGPU.csdata,"",@progbits
; Kernel info:
; codeLenInByte = 4336
; TotalNumSgprs: 65
; NumVgprs: 77
; ScratchSize: 0
; MemoryBound: 0
; FloatMode: 240
; IeeeMode: 1
; LDSByteSize: 16384 bytes/workgroup (compile time only)
; SGPRBlocks: 0
; VGPRBlocks: 9
; NumSGPRsForWavesPerEU: 65
; NumVGPRsForWavesPerEU: 77
; Occupancy: 16
; WaveLimiterHint : 0
; COMPUTE_PGM_RSRC2:SCRATCH_EN: 0
; COMPUTE_PGM_RSRC2:USER_SGPR: 2
; COMPUTE_PGM_RSRC2:TRAP_HANDLER: 0
; COMPUTE_PGM_RSRC2:TGID_X_EN: 1
; COMPUTE_PGM_RSRC2:TGID_Y_EN: 1
; COMPUTE_PGM_RSRC2:TGID_Z_EN: 1
; COMPUTE_PGM_RSRC2:TIDIG_COMP_CNT: 1
	.section	.text._ZL30rocblas_trmm_outofplace_kernelIdLi32ELi2ELb0ELb0ELb1ELb1EPKdS0_dEv17rocblas_diagonal_iiT6_lPT7_lllS5_lllPT8_llli,"axG",@progbits,_ZL30rocblas_trmm_outofplace_kernelIdLi32ELi2ELb0ELb0ELb1ELb1EPKdS0_dEv17rocblas_diagonal_iiT6_lPT7_lllS5_lllPT8_llli,comdat
	.globl	_ZL30rocblas_trmm_outofplace_kernelIdLi32ELi2ELb0ELb0ELb1ELb1EPKdS0_dEv17rocblas_diagonal_iiT6_lPT7_lllS5_lllPT8_llli ; -- Begin function _ZL30rocblas_trmm_outofplace_kernelIdLi32ELi2ELb0ELb0ELb1ELb1EPKdS0_dEv17rocblas_diagonal_iiT6_lPT7_lllS5_lllPT8_llli
	.p2align	8
	.type	_ZL30rocblas_trmm_outofplace_kernelIdLi32ELi2ELb0ELb0ELb1ELb1EPKdS0_dEv17rocblas_diagonal_iiT6_lPT7_lllS5_lllPT8_llli,@function
_ZL30rocblas_trmm_outofplace_kernelIdLi32ELi2ELb0ELb0ELb1ELb1EPKdS0_dEv17rocblas_diagonal_iiT6_lPT7_lllS5_lllPT8_llli: ; @_ZL30rocblas_trmm_outofplace_kernelIdLi32ELi2ELb0ELb0ELb1ELb1EPKdS0_dEv17rocblas_diagonal_iiT6_lPT7_lllS5_lllPT8_llli
; %bb.0:
	s_load_b32 s33, s[0:1], 0x80
	s_lshr_b32 s34, ttmp7, 16
	s_wait_kmcnt 0x0
	s_cmp_ge_u32 s34, s33
	s_cbranch_scc1 .LBB56_55
; %bb.1:
	s_clause 0x1
	s_load_b96 s[36:38], s[0:1], 0x0
	s_load_b256 s[4:11], s[0:1], 0x50
	v_bfe_u32 v59, v0, 10, 10
	s_clause 0x1
	s_load_b512 s[12:27], s[0:1], 0x10
	s_load_b128 s[28:31], s[0:1], 0x70
	s_add_nc_u64 s[40:41], s[0:1], 0x88
	s_and_b32 s39, ttmp7, 0xffff
	v_mov_b32_e32 v67, 0x3ff00000
	v_lshl_add_u32 v13, v59, 3, 0x80
	v_lshl_add_u32 v66, s39, 5, v59
	s_mov_b32 s35, 0
	s_wait_kmcnt 0x0
	s_add_co_i32 s0, s38, -1
	v_mad_co_u64_u32 v[6:7], null, s4, v59, 0
	v_and_b32_e32 v58, 0x3ff, v0
	s_ashr_i32 s1, s0, 31
	s_delay_alu instid0(SALU_CYCLE_1) | instskip(NEXT) | instid1(VALU_DEP_1)
	s_lshr_b32 s1, s1, 27
	v_lshl_add_u32 v8, ttmp9, 5, v58
	s_add_co_i32 s2, s0, s1
	s_lshl_b64 s[0:1], s[10:11], 3
	s_ashr_i32 s50, s2, 5
	s_wait_alu 0xfffe
	s_add_nc_u64 s[42:43], s[8:9], s[0:1]
	s_cmp_le_i32 s39, s50
	v_ashrrev_i32_e32 v9, 31, v8
	s_cselect_b32 s51, -1, 0
	s_cmp_eq_u32 s36, 0x84
	v_sub_co_u32 v1, vcc_lo, s37, v8
	s_cselect_b32 s36, -1, 0
	s_ashr_i32 s0, s37, 31
	v_cmp_gt_i32_e64 s2, s37, v8
	s_wait_alu 0xfffe
	v_sub_co_ci_u32_e64 v2, null, s0, v9, vcc_lo
	s_mov_b32 s10, s38
	s_ashr_i32 s11, s38, 31
	s_lshl_b64 s[44:45], s[20:21], 8
	v_cmp_gt_i64_e64 s0, 1, v[1:2]
	v_cmp_gt_i64_e64 s1, 17, v[1:2]
	v_mov_b32_e32 v1, v7
	v_mad_co_u64_u32 v[10:11], null, s20, v58, 0
	v_sub_co_u32 v64, s8, 0, v58
	s_delay_alu instid0(VALU_DEP_3)
	v_mad_co_u64_u32 v[1:2], null, s5, v59, v[1:2]
	v_lshlrev_b32_e32 v4, 3, v58
	v_lshlrev_b32_e32 v60, 8, v59
	v_sub_co_ci_u32_e64 v65, null, 0, 0, s8
	s_lshl_b64 s[8:9], s[18:19], 3
	v_mad_co_u64_u32 v[2:3], null, s4, v13, 0
	v_dual_mov_b32 v7, v1 :: v_dual_add_nc_u32 v16, 0x80, v4
	s_wait_alu 0xfffe
	s_add_nc_u64 s[8:9], s[16:17], s[8:9]
	v_or_b32_e32 v61, 0x2000, v4
	v_dual_mov_b32 v1, v11 :: v_dual_add_nc_u32 v62, v60, v4
	s_wait_alu 0xfffe
	v_mad_co_u64_u32 v[4:5], null, s20, v16, s[8:9]
	s_lshl_b64 s[16:17], s[26:27], 3
	v_mad_co_u64_u32 v[11:12], null, s21, v58, v[1:2]
	s_add_nc_u64 s[16:17], s[24:25], s[16:17]
	v_lshlrev_b64_e32 v[6:7], 3, v[6:7]
	v_dual_mov_b32 v0, 0 :: v_dual_add_nc_u32 v63, v61, v60
	v_mad_co_u64_u32 v[12:13], null, s5, v13, v[3:4]
	v_add_nc_u32_e32 v14, 16, v8
	v_lshlrev_b64_e32 v[8:9], 3, v[8:9]
	v_dual_mov_b32 v1, v5 :: v_dual_add_nc_u32 v68, 0x800, v61
	v_add_nc_u32_e32 v69, 0x1000, v61
	v_add_nc_u32_e32 v70, 0x1800, v61
	s_lshl_b64 s[46:47], s[4:5], 8
	s_delay_alu instid0(VALU_DEP_3) | instskip(SKIP_4) | instid1(VALU_DEP_3)
	v_mad_co_u64_u32 v[16:17], null, s21, v16, v[1:2]
	v_add_co_u32 v1, vcc_lo, s16, v8
	s_wait_alu 0xfffd
	v_add_co_ci_u32_e64 v3, null, s17, v9, vcc_lo
	v_lshlrev_b64_e32 v[17:18], 3, v[10:11]
	v_add_co_u32 v10, vcc_lo, 0x80, v1
	s_wait_alu 0xfffd
	s_delay_alu instid0(VALU_DEP_3)
	v_add_co_ci_u32_e64 v11, null, 0, v3, vcc_lo
	v_mov_b32_e32 v3, v12
	v_ashrrev_i32_e32 v15, 31, v14
	v_add_co_u32 v12, vcc_lo, s8, v17
	v_cmp_gt_i32_e64 s3, s37, v14
	v_mov_b32_e32 v5, v16
	s_delay_alu instid0(VALU_DEP_4)
	v_lshlrev_b64_e32 v[14:15], 3, v[14:15]
	s_wait_alu 0xfffd
	v_add_co_ci_u32_e64 v13, null, s9, v18, vcc_lo
	s_add_nc_u64 s[48:49], s[10:11], -16
	s_lshl_b64 s[16:17], s[6:7], 3
	s_lshl_b64 s[18:19], s[22:23], 3
	s_branch .LBB56_4
.LBB56_2:                               ;   in Loop: Header=BB56_4 Depth=1
	s_add_co_i32 s34, s34, 0x10000
	s_wait_alu 0xfffe
	s_cmp_ge_u32 s34, s33
	s_cselect_b32 s4, -1, 0
.LBB56_3:                               ;   in Loop: Header=BB56_4 Depth=1
	s_wait_alu 0xfffe
	s_and_b32 vcc_lo, exec_lo, s4
	s_wait_alu 0xfffe
	s_cbranch_vccnz .LBB56_55
.LBB56_4:                               ; =>This Loop Header: Depth=1
                                        ;     Child Loop BB56_8 Depth 2
                                        ;       Child Loop BB56_11 Depth 3
	s_mul_u64 s[4:5], s[14:15], s[34:35]
	s_wait_alu 0xfffe
	s_lshl_b64 s[4:5], s[4:5], 3
	s_wait_alu 0xfffe
	s_add_nc_u64 s[4:5], s[12:13], s[4:5]
	global_load_b64 v[16:17], v0, s[4:5]
	s_mov_b32 s4, -1
	s_wait_loadcnt 0x0
	v_cmp_eq_f64_e32 vcc_lo, 0, v[16:17]
	s_cbranch_vccnz .LBB56_3
; %bb.5:                                ;   in Loop: Header=BB56_4 Depth=1
	s_and_not1_b32 vcc_lo, exec_lo, s51
	s_wait_alu 0xfffe
	s_cbranch_vccnz .LBB56_2
; %bb.6:                                ;   in Loop: Header=BB56_4 Depth=1
	v_mad_co_u64_u32 v[18:19], null, s16, s34, v[10:11]
	s_load_b32 s24, s[40:41], 0x4
	v_mad_co_u64_u32 v[20:21], null, s18, s34, v[4:5]
	v_mad_co_u64_u32 v[22:23], null, s18, s34, v[12:13]
	s_mul_i32 s6, s19, s34
	v_mov_b32_e32 v1, v19
	s_mul_u64 s[4:5], s[30:31], s[34:35]
	s_mov_b32 s26, s39
	s_wait_alu 0xfffe
	v_add_nc_u32_e32 v21, s6, v21
	s_lshl_b64 s[4:5], s[4:5], 3
	v_mad_co_u64_u32 v[24:25], null, s17, s34, v[1:2]
	v_add_nc_u32_e32 v23, s6, v23
	s_wait_alu 0xfffe
	s_add_nc_u64 s[20:21], s[42:43], s[4:5]
	s_delay_alu instid0(VALU_DEP_2)
	v_dual_mov_b32 v19, v24 :: v_dual_mov_b32 v24, v66
	s_wait_kmcnt 0x0
	s_lshl_b32 s25, s24, 5
	s_branch .LBB56_8
.LBB56_7:                               ;   in Loop: Header=BB56_8 Depth=2
	s_wait_alu 0xfffe
	s_or_b32 exec_lo, exec_lo, s4
	v_add_nc_u32_e32 v24, s25, v24
	s_add_co_i32 s26, s24, s26
	s_wait_alu 0xfffe
	s_cmp_gt_i32 s26, s50
	s_cbranch_scc1 .LBB56_2
.LBB56_8:                               ;   Parent Loop BB56_4 Depth=1
                                        ; =>  This Loop Header: Depth=2
                                        ;       Child Loop BB56_11 Depth 3
	s_lshl_b32 s27, s26, 5
	v_mov_b32_e32 v50, 0
	s_wait_alu 0xfffe
	v_dual_mov_b32 v51, 0 :: v_dual_add_nc_u32 v26, s27, v59
	v_mov_b32_e32 v48, 0
	v_mov_b32_e32 v46, 0
	v_dual_mov_b32 v44, 0 :: v_dual_mov_b32 v49, 0
	v_mov_b32_e32 v47, 0
	v_mov_b32_e32 v45, 0
	v_ashrrev_i32_e32 v27, 31, v26
	s_cmp_lt_i32 s26, 0
	s_cbranch_scc1 .LBB56_47
; %bb.9:                                ;   in Loop: Header=BB56_8 Depth=2
	v_ashrrev_i32_e32 v25, 31, v24
	v_add_co_u32 v28, vcc_lo, v26, 16
	s_wait_alu 0xfffd
	v_add_co_ci_u32_e64 v29, null, 0, v27, vcc_lo
	v_add_co_u32 v30, vcc_lo, v64, v24
	s_wait_alu 0xfffd
	v_add_co_ci_u32_e64 v31, null, v65, v25, vcc_lo
	v_mov_b32_e32 v46, 0
	s_delay_alu instid0(VALU_DEP_3) | instskip(SKIP_1) | instid1(VALU_DEP_3)
	v_add_co_u32 v34, s5, v30, 16
	s_wait_alu 0xf1ff
	v_add_co_ci_u32_e64 v35, null, 0, v31, s5
	v_add_co_u32 v36, s5, v30, -16
	v_lshlrev_b64_e32 v[32:33], 3, v[24:25]
	v_cmp_le_i64_e64 s4, s[10:11], v[28:29]
	v_dual_mov_b32 v44, 0 :: v_dual_mov_b32 v39, v23
	v_dual_mov_b32 v47, 0 :: v_dual_mov_b32 v48, 0
	v_dual_mov_b32 v50, 0 :: v_dual_mov_b32 v43, v19
	s_wait_alu 0xf1ff
	v_add_co_ci_u32_e64 v37, null, -1, v31, s5
	v_dual_mov_b32 v45, 0 :: v_dual_mov_b32 v38, v22
	v_dual_mov_b32 v41, v21 :: v_dual_mov_b32 v40, v20
	v_mov_b32_e32 v49, 0
	v_dual_mov_b32 v51, 0 :: v_dual_mov_b32 v42, v18
	s_mov_b64 s[22:23], 0
	v_cmp_le_i32_e32 vcc_lo, s38, v26
	s_branch .LBB56_11
.LBB56_10:                              ;   in Loop: Header=BB56_11 Depth=3
	s_wait_alu 0xfffe
	s_or_b32 exec_lo, exec_lo, s5
	s_wait_dscnt 0x0
	s_barrier_signal -1
	s_barrier_wait -1
	global_inv scope:SCOPE_SE
	ds_load_b128 v[52:55], v60
	ds_load_2addr_b64 v[71:74], v61 offset1:16
	ds_load_b128 v[75:78], v60 offset:4096
	ds_load_b128 v[79:82], v60 offset:16
	;; [unrolled: 1-line block ×3, first 2 shown]
	v_add_co_u32 v42, s5, v42, s46
	s_wait_alu 0xf1ff
	v_add_co_ci_u32_e64 v43, null, s47, v43, s5
	v_add_co_u32 v40, s5, v40, s44
	s_wait_alu 0xf1ff
	v_add_co_ci_u32_e64 v41, null, s45, v41, s5
	v_add_co_u32 v38, s5, v38, s44
	s_add_nc_u64 s[22:23], s[22:23], 32
	v_add_co_ci_u32_e64 v39, null, s45, v39, s5
	s_wait_alu 0xfffe
	s_sub_co_i32 s5, s22, 32
	s_wait_alu 0xfffe
	s_cmp_ge_i32 s5, s27
	s_wait_dscnt 0x3
	v_fma_f64 v[50:51], v[71:72], v[52:53], v[50:51]
	v_fma_f64 v[48:49], v[73:74], v[52:53], v[48:49]
	s_wait_dscnt 0x2
	v_fma_f64 v[52:53], v[71:72], v[75:76], v[46:47]
	v_fma_f64 v[56:57], v[73:74], v[75:76], v[44:45]
	ds_load_2addr_b64 v[44:47], v61 offset0:32 offset1:48
	s_wait_dscnt 0x0
	v_fma_f64 v[50:51], v[44:45], v[54:55], v[50:51]
	v_fma_f64 v[48:49], v[46:47], v[54:55], v[48:49]
	v_fma_f64 v[52:53], v[44:45], v[77:78], v[52:53]
	v_fma_f64 v[54:55], v[46:47], v[77:78], v[56:57]
	ds_load_2addr_b64 v[44:47], v61 offset0:64 offset1:80
	s_wait_dscnt 0x0
	v_fma_f64 v[50:51], v[44:45], v[79:80], v[50:51]
	v_fma_f64 v[48:49], v[46:47], v[79:80], v[48:49]
	v_fma_f64 v[52:53], v[44:45], v[83:84], v[52:53]
	v_fma_f64 v[54:55], v[46:47], v[83:84], v[54:55]
	ds_load_2addr_b64 v[44:47], v61 offset0:96 offset1:112
	s_wait_dscnt 0x0
	v_fma_f64 v[56:57], v[44:45], v[81:82], v[50:51]
	v_fma_f64 v[79:80], v[46:47], v[81:82], v[48:49]
	v_fma_f64 v[81:82], v[44:45], v[85:86], v[52:53]
	v_fma_f64 v[83:84], v[46:47], v[85:86], v[54:55]
	ds_load_b128 v[44:47], v60 offset:32
	ds_load_2addr_b64 v[48:51], v61 offset0:128 offset1:144
	ds_load_b128 v[52:55], v60 offset:4128
	ds_load_b128 v[71:74], v60 offset:48
	ds_load_b128 v[75:78], v60 offset:4144
	s_wait_dscnt 0x3
	v_fma_f64 v[56:57], v[48:49], v[44:45], v[56:57]
	v_fma_f64 v[44:45], v[50:51], v[44:45], v[79:80]
	s_wait_dscnt 0x2
	v_fma_f64 v[79:80], v[48:49], v[52:53], v[81:82]
	v_fma_f64 v[52:53], v[50:51], v[52:53], v[83:84]
	ds_load_2addr_b64 v[48:51], v61 offset0:160 offset1:176
	s_wait_dscnt 0x0
	v_fma_f64 v[56:57], v[48:49], v[46:47], v[56:57]
	v_fma_f64 v[81:82], v[50:51], v[46:47], v[44:45]
	v_fma_f64 v[48:49], v[48:49], v[54:55], v[79:80]
	v_fma_f64 v[50:51], v[50:51], v[54:55], v[52:53]
	ds_load_2addr_b64 v[44:47], v61 offset0:192 offset1:208
	s_wait_dscnt 0x0
	v_fma_f64 v[52:53], v[44:45], v[71:72], v[56:57]
	v_fma_f64 v[54:55], v[46:47], v[71:72], v[81:82]
	v_fma_f64 v[48:49], v[44:45], v[75:76], v[48:49]
	v_fma_f64 v[50:51], v[46:47], v[75:76], v[50:51]
	ds_load_2addr_b64 v[44:47], v61 offset0:224 offset1:240
	s_wait_dscnt 0x0
	v_fma_f64 v[56:57], v[44:45], v[73:74], v[52:53]
	v_fma_f64 v[79:80], v[46:47], v[73:74], v[54:55]
	v_fma_f64 v[81:82], v[44:45], v[77:78], v[48:49]
	v_fma_f64 v[83:84], v[46:47], v[77:78], v[50:51]
	ds_load_b128 v[44:47], v60 offset:64
	ds_load_2addr_b64 v[48:51], v68 offset1:16
	ds_load_b128 v[52:55], v60 offset:4160
	ds_load_b128 v[71:74], v60 offset:80
	ds_load_b128 v[75:78], v60 offset:4176
	s_wait_dscnt 0x3
	v_fma_f64 v[56:57], v[48:49], v[44:45], v[56:57]
	v_fma_f64 v[44:45], v[50:51], v[44:45], v[79:80]
	s_wait_dscnt 0x2
	v_fma_f64 v[79:80], v[48:49], v[52:53], v[81:82]
	v_fma_f64 v[52:53], v[50:51], v[52:53], v[83:84]
	ds_load_2addr_b64 v[48:51], v68 offset0:32 offset1:48
	s_wait_dscnt 0x0
	v_fma_f64 v[56:57], v[48:49], v[46:47], v[56:57]
	v_fma_f64 v[81:82], v[50:51], v[46:47], v[44:45]
	v_fma_f64 v[48:49], v[48:49], v[54:55], v[79:80]
	v_fma_f64 v[50:51], v[50:51], v[54:55], v[52:53]
	ds_load_2addr_b64 v[44:47], v68 offset0:64 offset1:80
	s_wait_dscnt 0x0
	v_fma_f64 v[52:53], v[44:45], v[71:72], v[56:57]
	v_fma_f64 v[54:55], v[46:47], v[71:72], v[81:82]
	v_fma_f64 v[48:49], v[44:45], v[75:76], v[48:49]
	v_fma_f64 v[50:51], v[46:47], v[75:76], v[50:51]
	ds_load_2addr_b64 v[44:47], v68 offset0:96 offset1:112
	s_wait_dscnt 0x0
	v_fma_f64 v[56:57], v[44:45], v[73:74], v[52:53]
	v_fma_f64 v[79:80], v[46:47], v[73:74], v[54:55]
	v_fma_f64 v[81:82], v[44:45], v[77:78], v[48:49]
	v_fma_f64 v[83:84], v[46:47], v[77:78], v[50:51]
	ds_load_b128 v[44:47], v60 offset:96
	ds_load_2addr_b64 v[48:51], v68 offset0:128 offset1:144
	ds_load_b128 v[52:55], v60 offset:4192
	ds_load_b128 v[71:74], v60 offset:112
	ds_load_b128 v[75:78], v60 offset:4208
	s_wait_dscnt 0x3
	v_fma_f64 v[56:57], v[48:49], v[44:45], v[56:57]
	v_fma_f64 v[44:45], v[50:51], v[44:45], v[79:80]
	s_wait_dscnt 0x2
	v_fma_f64 v[79:80], v[48:49], v[52:53], v[81:82]
	v_fma_f64 v[52:53], v[50:51], v[52:53], v[83:84]
	ds_load_2addr_b64 v[48:51], v68 offset0:160 offset1:176
	s_wait_dscnt 0x0
	v_fma_f64 v[56:57], v[48:49], v[46:47], v[56:57]
	v_fma_f64 v[81:82], v[50:51], v[46:47], v[44:45]
	v_fma_f64 v[48:49], v[48:49], v[54:55], v[79:80]
	v_fma_f64 v[50:51], v[50:51], v[54:55], v[52:53]
	ds_load_2addr_b64 v[44:47], v68 offset0:192 offset1:208
	s_wait_dscnt 0x0
	v_fma_f64 v[52:53], v[44:45], v[71:72], v[56:57]
	v_fma_f64 v[54:55], v[46:47], v[71:72], v[81:82]
	v_fma_f64 v[48:49], v[44:45], v[75:76], v[48:49]
	v_fma_f64 v[50:51], v[46:47], v[75:76], v[50:51]
	ds_load_2addr_b64 v[44:47], v68 offset0:224 offset1:240
	s_wait_dscnt 0x0
	v_fma_f64 v[56:57], v[44:45], v[73:74], v[52:53]
	v_fma_f64 v[79:80], v[46:47], v[73:74], v[54:55]
	v_fma_f64 v[81:82], v[44:45], v[77:78], v[48:49]
	v_fma_f64 v[83:84], v[46:47], v[77:78], v[50:51]
	ds_load_b128 v[44:47], v60 offset:128
	ds_load_2addr_b64 v[48:51], v69 offset1:16
	ds_load_b128 v[52:55], v60 offset:4224
	ds_load_b128 v[71:74], v60 offset:144
	ds_load_b128 v[75:78], v60 offset:4240
	;; [unrolled: 58-line block ×3, first 2 shown]
	s_wait_dscnt 0x3
	v_fma_f64 v[56:57], v[48:49], v[44:45], v[56:57]
	v_fma_f64 v[44:45], v[50:51], v[44:45], v[79:80]
	s_wait_dscnt 0x2
	v_fma_f64 v[79:80], v[48:49], v[52:53], v[81:82]
	v_fma_f64 v[52:53], v[50:51], v[52:53], v[83:84]
	ds_load_2addr_b64 v[48:51], v70 offset0:32 offset1:48
	s_wait_dscnt 0x0
	v_fma_f64 v[56:57], v[48:49], v[46:47], v[56:57]
	v_fma_f64 v[81:82], v[50:51], v[46:47], v[44:45]
	v_fma_f64 v[48:49], v[48:49], v[54:55], v[79:80]
	v_fma_f64 v[50:51], v[50:51], v[54:55], v[52:53]
	ds_load_2addr_b64 v[44:47], v70 offset0:64 offset1:80
	s_wait_dscnt 0x0
	v_fma_f64 v[52:53], v[44:45], v[71:72], v[56:57]
	v_fma_f64 v[54:55], v[46:47], v[71:72], v[81:82]
	;; [unrolled: 6-line block ×3, first 2 shown]
	v_fma_f64 v[81:82], v[44:45], v[77:78], v[48:49]
	v_fma_f64 v[83:84], v[46:47], v[77:78], v[50:51]
	ds_load_b128 v[44:47], v60 offset:224
	ds_load_2addr_b64 v[48:51], v70 offset0:128 offset1:144
	ds_load_b128 v[52:55], v60 offset:4320
	ds_load_b128 v[71:74], v60 offset:240
	;; [unrolled: 1-line block ×3, first 2 shown]
	s_wait_dscnt 0x3
	v_fma_f64 v[56:57], v[48:49], v[44:45], v[56:57]
	v_fma_f64 v[44:45], v[50:51], v[44:45], v[79:80]
	s_wait_dscnt 0x2
	v_fma_f64 v[79:80], v[48:49], v[52:53], v[81:82]
	v_fma_f64 v[52:53], v[50:51], v[52:53], v[83:84]
	ds_load_2addr_b64 v[48:51], v70 offset0:160 offset1:176
	s_wait_dscnt 0x0
	v_fma_f64 v[56:57], v[48:49], v[46:47], v[56:57]
	v_fma_f64 v[81:82], v[50:51], v[46:47], v[44:45]
	;; [unrolled: 1-line block ×4, first 2 shown]
	ds_load_2addr_b64 v[44:47], v70 offset0:192 offset1:208
	ds_load_2addr_b64 v[52:55], v70 offset0:224 offset1:240
	s_wait_loadcnt_dscnt 0x0
	s_barrier_signal -1
	s_barrier_wait -1
	global_inv scope:SCOPE_SE
	v_fma_f64 v[56:57], v[44:45], v[71:72], v[56:57]
	v_fma_f64 v[71:72], v[46:47], v[71:72], v[81:82]
	;; [unrolled: 1-line block ×4, first 2 shown]
	s_delay_alu instid0(VALU_DEP_4) | instskip(NEXT) | instid1(VALU_DEP_4)
	v_fma_f64 v[50:51], v[52:53], v[73:74], v[56:57]
	v_fma_f64 v[48:49], v[54:55], v[73:74], v[71:72]
	s_delay_alu instid0(VALU_DEP_4) | instskip(NEXT) | instid1(VALU_DEP_4)
	v_fma_f64 v[46:47], v[52:53], v[77:78], v[44:45]
	v_fma_f64 v[44:45], v[54:55], v[77:78], v[75:76]
	s_cbranch_scc1 .LBB56_47
.LBB56_11:                              ;   Parent Loop BB56_4 Depth=1
                                        ;     Parent Loop BB56_8 Depth=2
                                        ; =>    This Inner Loop Header: Depth=3
	s_wait_alu 0xfffe
	v_add_co_u32 v52, s5, v58, s22
	s_wait_alu 0xf1ff
	v_add_co_ci_u32_e64 v53, null, 0, s23, s5
	v_cmp_eq_u64_e64 s7, s[22:23], v[30:31]
                                        ; implicit-def: $vgpr56_vgpr57
	s_delay_alu instid0(VALU_DEP_2)
	v_cmp_gt_i64_e64 s5, v[52:53], v[26:27]
	v_cmp_le_i64_e64 s6, s[10:11], v[52:53]
	s_and_b32 s37, s36, s7
	v_add_co_u32 v54, s7, v38, v32
	s_or_b32 s8, vcc_lo, s5
	v_add_co_ci_u32_e64 v55, null, v39, v33, s7
	s_wait_alu 0xfffe
	s_or_b32 s7, s8, s37
	s_wait_alu 0xfffe
	s_nor_b32 s7, s6, s7
	s_wait_alu 0xfffe
	s_and_saveexec_b32 s8, s7
	s_wait_alu 0xfffe
	s_xor_b32 s7, exec_lo, s8
	s_cbranch_execz .LBB56_13
; %bb.12:                               ;   in Loop: Header=BB56_11 Depth=3
	global_load_b64 v[56:57], v[54:55], off
.LBB56_13:                              ;   in Loop: Header=BB56_11 Depth=3
	s_wait_alu 0xfffe
	s_and_not1_saveexec_b32 s7, s7
	s_cbranch_execz .LBB56_15
; %bb.14:                               ;   in Loop: Header=BB56_11 Depth=3
	v_cndmask_b32_e64 v1, 0, 0x3ff00000, s37
	s_wait_loadcnt 0x0
	s_delay_alu instid0(VALU_DEP_1)
	v_dual_mov_b32 v57, v1 :: v_dual_mov_b32 v56, v0
.LBB56_15:                              ;   in Loop: Header=BB56_11 Depth=3
	s_wait_alu 0xfffe
	s_or_b32 exec_lo, exec_lo, s7
	v_add_co_u32 v71, s7, v52, 16
	s_wait_alu 0xf1ff
	v_add_co_ci_u32_e64 v72, null, 0, v53, s7
	v_cmp_eq_u64_e64 s8, s[22:23], v[36:37]
	s_wait_loadcnt 0x0
	ds_store_b64 v62, v[56:57]
	v_cmp_gt_i64_e64 s9, v[71:72], v[26:27]
	v_cmp_le_i64_e64 s7, s[10:11], v[71:72]
	s_and_b32 s52, s36, s8
	s_or_b32 s8, vcc_lo, s9
	s_wait_alu 0xfffe
	s_or_b32 s8, s8, s52
	s_wait_alu 0xfffe
	s_nor_b32 s8, s7, s8
	s_wait_alu 0xfffe
	s_and_saveexec_b32 s9, s8
	s_wait_alu 0xfffe
	s_xor_b32 s9, exec_lo, s9
	s_cbranch_execz .LBB56_17
; %bb.16:                               ;   in Loop: Header=BB56_11 Depth=3
	v_add_co_u32 v56, s8, v40, v32
	s_wait_alu 0xf1ff
	v_add_co_ci_u32_e64 v57, null, v41, v33, s8
	global_load_b64 v[56:57], v[56:57], off
	s_wait_loadcnt 0x0
	ds_store_b64 v62, v[56:57] offset:128
.LBB56_17:                              ;   in Loop: Header=BB56_11 Depth=3
	s_wait_alu 0xfffe
	s_and_not1_saveexec_b32 s8, s9
	s_cbranch_execz .LBB56_23
; %bb.18:                               ;   in Loop: Header=BB56_11 Depth=3
	s_xor_b32 s9, s52, -1
	s_wait_alu 0xfffe
	s_and_saveexec_b32 s52, s9
	s_delay_alu instid0(SALU_CYCLE_1)
	s_xor_b32 s9, exec_lo, s52
; %bb.19:                               ;   in Loop: Header=BB56_11 Depth=3
	v_mov_b32_e32 v1, v0
	ds_store_b64 v62, v[0:1] offset:128
; %bb.20:                               ;   in Loop: Header=BB56_11 Depth=3
	s_wait_alu 0xfffe
	s_and_not1_saveexec_b32 s9, s9
; %bb.21:                               ;   in Loop: Header=BB56_11 Depth=3
	v_mov_b32_e32 v1, v67
	ds_store_b64 v62, v[0:1] offset:128
; %bb.22:                               ;   in Loop: Header=BB56_11 Depth=3
	s_wait_alu 0xfffe
	s_or_b32 exec_lo, exec_lo, s9
.LBB56_23:                              ;   in Loop: Header=BB56_11 Depth=3
	s_wait_alu 0xfffe
	s_or_b32 exec_lo, exec_lo, s8
	v_cmp_eq_u64_e64 s8, s[22:23], v[34:35]
	v_cmp_gt_i64_e64 s9, v[52:53], v[28:29]
                                        ; implicit-def: $vgpr52_vgpr53
	s_and_b32 s8, s36, s8
	s_or_b32 s9, s4, s9
	s_wait_alu 0xfffe
	s_or_b32 s9, s9, s8
	s_wait_alu 0xfffe
	s_nor_b32 s6, s6, s9
	s_wait_alu 0xfffe
	s_and_saveexec_b32 s9, s6
	s_wait_alu 0xfffe
	s_xor_b32 s6, exec_lo, s9
	s_cbranch_execz .LBB56_25
; %bb.24:                               ;   in Loop: Header=BB56_11 Depth=3
	global_load_b64 v[52:53], v[54:55], off offset:128
.LBB56_25:                              ;   in Loop: Header=BB56_11 Depth=3
	s_wait_alu 0xfffe
	s_and_not1_saveexec_b32 s6, s6
	s_cbranch_execz .LBB56_27
; %bb.26:                               ;   in Loop: Header=BB56_11 Depth=3
	v_cndmask_b32_e64 v1, 0, 0x3ff00000, s8
	s_wait_loadcnt 0x0
	s_delay_alu instid0(VALU_DEP_1)
	v_dual_mov_b32 v53, v1 :: v_dual_mov_b32 v52, v0
.LBB56_27:                              ;   in Loop: Header=BB56_11 Depth=3
	s_wait_alu 0xfffe
	s_or_b32 exec_lo, exec_lo, s6
	s_or_b32 s5, s4, s5
	s_wait_loadcnt 0x0
	ds_store_b64 v62, v[52:53] offset:4096
	s_wait_alu 0xfffe
	s_or_b32 s5, s5, s37
	s_wait_alu 0xfffe
	s_nor_b32 s5, s7, s5
	s_wait_alu 0xfffe
	s_and_saveexec_b32 s6, s5
	s_wait_alu 0xfffe
	s_xor_b32 s6, exec_lo, s6
	s_cbranch_execz .LBB56_29
; %bb.28:                               ;   in Loop: Header=BB56_11 Depth=3
	v_add_co_u32 v52, s5, v40, v32
	s_wait_alu 0xf1ff
	v_add_co_ci_u32_e64 v53, null, v41, v33, s5
	global_load_b64 v[52:53], v[52:53], off offset:128
	s_wait_loadcnt 0x0
	ds_store_b64 v62, v[52:53] offset:4224
.LBB56_29:                              ;   in Loop: Header=BB56_11 Depth=3
	s_wait_alu 0xfffe
	s_and_not1_saveexec_b32 s5, s6
	s_cbranch_execz .LBB56_35
; %bb.30:                               ;   in Loop: Header=BB56_11 Depth=3
	s_xor_b32 s6, s37, -1
	s_wait_alu 0xfffe
	s_and_saveexec_b32 s7, s6
	s_wait_alu 0xfffe
	s_xor_b32 s6, exec_lo, s7
; %bb.31:                               ;   in Loop: Header=BB56_11 Depth=3
	v_mov_b32_e32 v1, v0
	ds_store_b64 v62, v[0:1] offset:4224
; %bb.32:                               ;   in Loop: Header=BB56_11 Depth=3
	s_wait_alu 0xfffe
	s_and_not1_saveexec_b32 s6, s6
; %bb.33:                               ;   in Loop: Header=BB56_11 Depth=3
	v_mov_b32_e32 v1, v67
	ds_store_b64 v62, v[0:1] offset:4224
; %bb.34:                               ;   in Loop: Header=BB56_11 Depth=3
	s_wait_alu 0xfffe
	s_or_b32 exec_lo, exec_lo, s6
.LBB56_35:                              ;   in Loop: Header=BB56_11 Depth=3
	s_wait_alu 0xfffe
	s_or_b32 exec_lo, exec_lo, s5
	v_add_co_u32 v52, s5, v59, s22
	s_wait_alu 0xf1ff
	v_add_co_ci_u32_e64 v53, null, 0, s23, s5
	v_add_co_u32 v54, s6, v42, v6
	v_mov_b32_e32 v56, 0
	s_delay_alu instid0(VALU_DEP_3)
	v_cmp_le_i64_e64 s5, s[10:11], v[52:53]
	v_mov_b32_e32 v57, 0
	s_wait_alu 0xf1ff
	v_add_co_ci_u32_e64 v55, null, v43, v7, s6
	s_nor_b32 s7, s5, s0
	s_wait_alu 0xfffe
	s_and_saveexec_b32 s6, s7
	s_cbranch_execz .LBB56_37
; %bb.36:                               ;   in Loop: Header=BB56_11 Depth=3
	global_load_b64 v[56:57], v[54:55], off offset:-128
.LBB56_37:                              ;   in Loop: Header=BB56_11 Depth=3
	s_wait_alu 0xfffe
	s_or_b32 exec_lo, exec_lo, s6
	s_nor_b32 s5, s5, s1
	s_wait_loadcnt 0x0
	ds_store_b64 v63, v[56:57]
	s_wait_alu 0xfffe
	s_and_saveexec_b32 s6, s5
	s_wait_alu 0xfffe
	s_xor_b32 s5, exec_lo, s6
	s_cbranch_execz .LBB56_39
; %bb.38:                               ;   in Loop: Header=BB56_11 Depth=3
	global_load_b64 v[54:55], v[54:55], off
	s_wait_loadcnt 0x0
	ds_store_b64 v63, v[54:55] offset:128
.LBB56_39:                              ;   in Loop: Header=BB56_11 Depth=3
	s_wait_alu 0xfffe
	s_and_not1_saveexec_b32 s5, s5
; %bb.40:                               ;   in Loop: Header=BB56_11 Depth=3
	v_mov_b32_e32 v1, v0
	ds_store_b64 v63, v[0:1] offset:128
; %bb.41:                               ;   in Loop: Header=BB56_11 Depth=3
	s_wait_alu 0xfffe
	s_or_b32 exec_lo, exec_lo, s5
	v_cmp_le_i64_e64 s5, s[48:49], v[52:53]
	v_add_co_u32 v52, s6, v42, v2
	v_mov_b32_e32 v54, 0
	v_mov_b32_e32 v55, 0
	s_wait_alu 0xf1ff
	v_add_co_ci_u32_e64 v53, null, v43, v3, s6
	s_nor_b32 s7, s5, s0
	s_wait_alu 0xfffe
	s_and_saveexec_b32 s6, s7
	s_cbranch_execz .LBB56_43
; %bb.42:                               ;   in Loop: Header=BB56_11 Depth=3
	global_load_b64 v[54:55], v[52:53], off offset:-128
.LBB56_43:                              ;   in Loop: Header=BB56_11 Depth=3
	s_wait_alu 0xfffe
	s_or_b32 exec_lo, exec_lo, s6
	s_nor_b32 s5, s5, s1
	s_wait_loadcnt 0x0
	ds_store_b64 v63, v[54:55] offset:4096
	s_wait_alu 0xfffe
	s_and_saveexec_b32 s6, s5
	s_wait_alu 0xfffe
	s_xor_b32 s5, exec_lo, s6
	s_cbranch_execz .LBB56_45
; %bb.44:                               ;   in Loop: Header=BB56_11 Depth=3
	global_load_b64 v[52:53], v[52:53], off
	s_wait_loadcnt 0x0
	ds_store_b64 v63, v[52:53] offset:4224
.LBB56_45:                              ;   in Loop: Header=BB56_11 Depth=3
	s_wait_alu 0xfffe
	s_and_not1_saveexec_b32 s5, s5
	s_cbranch_execz .LBB56_10
; %bb.46:                               ;   in Loop: Header=BB56_11 Depth=3
	v_mov_b32_e32 v1, v0
	ds_store_b64 v63, v[0:1] offset:4224
	s_branch .LBB56_10
.LBB56_47:                              ;   in Loop: Header=BB56_8 Depth=2
	v_mul_lo_u32 v1, s29, v26
	s_delay_alu instid0(VALU_DEP_2) | instskip(SKIP_2) | instid1(VALU_DEP_2)
	v_mul_lo_u32 v25, s28, v27
	v_mad_co_u64_u32 v[27:28], null, s28, v26, 0
	v_cmp_gt_i32_e32 vcc_lo, s38, v26
	v_add3_u32 v28, v28, v25, v1
	s_delay_alu instid0(VALU_DEP_1) | instskip(SKIP_1) | instid1(VALU_DEP_1)
	v_lshlrev_b64_e32 v[27:28], 3, v[27:28]
	s_wait_alu 0xfffe
	v_add_co_u32 v1, s4, s20, v27
	s_wait_alu 0xf1ff
	s_delay_alu instid0(VALU_DEP_2)
	v_add_co_ci_u32_e64 v25, null, s21, v28, s4
	s_and_b32 s4, s2, vcc_lo
	s_wait_alu 0xfffe
	s_and_saveexec_b32 s5, s4
	s_cbranch_execz .LBB56_49
; %bb.48:                               ;   in Loop: Header=BB56_8 Depth=2
	v_add_co_u32 v27, s4, v1, v8
	s_wait_alu 0xf1ff
	v_add_co_ci_u32_e64 v28, null, v25, v9, s4
	global_load_b64 v[29:30], v[27:28], off
	s_wait_loadcnt 0x0
	v_fma_f64 v[29:30], v[16:17], v[50:51], v[29:30]
	global_store_b64 v[27:28], v[29:30], off
.LBB56_49:                              ;   in Loop: Header=BB56_8 Depth=2
	s_wait_alu 0xfffe
	s_or_b32 exec_lo, exec_lo, s5
	s_and_b32 s5, s3, vcc_lo
	s_wait_alu 0xfffe
	s_and_saveexec_b32 s4, s5
	s_cbranch_execz .LBB56_51
; %bb.50:                               ;   in Loop: Header=BB56_8 Depth=2
	v_add_co_u32 v27, vcc_lo, v1, v14
	s_wait_alu 0xfffd
	v_add_co_ci_u32_e64 v28, null, v25, v15, vcc_lo
	global_load_b64 v[29:30], v[27:28], off
	s_wait_loadcnt 0x0
	v_fma_f64 v[29:30], v[16:17], v[48:49], v[29:30]
	global_store_b64 v[27:28], v[29:30], off
.LBB56_51:                              ;   in Loop: Header=BB56_8 Depth=2
	s_wait_alu 0xfffe
	s_or_b32 exec_lo, exec_lo, s4
	v_add_nc_u32_e32 v1, 16, v26
	s_delay_alu instid0(VALU_DEP_1) | instskip(SKIP_3) | instid1(VALU_DEP_4)
	v_ashrrev_i32_e32 v27, 31, v1
	v_mul_lo_u32 v28, s29, v1
	v_mad_co_u64_u32 v[25:26], null, s28, v1, 0
	v_cmp_gt_i32_e32 vcc_lo, s38, v1
	v_mul_lo_u32 v27, s28, v27
	s_delay_alu instid0(VALU_DEP_1) | instskip(NEXT) | instid1(VALU_DEP_1)
	v_add3_u32 v26, v26, v27, v28
	v_lshlrev_b64_e32 v[25:26], 3, v[25:26]
	s_delay_alu instid0(VALU_DEP_1) | instskip(SKIP_1) | instid1(VALU_DEP_2)
	v_add_co_u32 v1, s4, s20, v25
	s_wait_alu 0xf1ff
	v_add_co_ci_u32_e64 v25, null, s21, v26, s4
	s_and_b32 s4, s2, vcc_lo
	s_wait_alu 0xfffe
	s_and_saveexec_b32 s5, s4
	s_cbranch_execz .LBB56_53
; %bb.52:                               ;   in Loop: Header=BB56_8 Depth=2
	v_add_co_u32 v26, s4, v1, v8
	s_wait_alu 0xf1ff
	v_add_co_ci_u32_e64 v27, null, v25, v9, s4
	global_load_b64 v[28:29], v[26:27], off
	s_wait_loadcnt 0x0
	v_fma_f64 v[28:29], v[16:17], v[46:47], v[28:29]
	global_store_b64 v[26:27], v[28:29], off
.LBB56_53:                              ;   in Loop: Header=BB56_8 Depth=2
	s_wait_alu 0xfffe
	s_or_b32 exec_lo, exec_lo, s5
	s_and_b32 s5, s3, vcc_lo
	s_wait_alu 0xfffe
	s_and_saveexec_b32 s4, s5
	s_cbranch_execz .LBB56_7
; %bb.54:                               ;   in Loop: Header=BB56_8 Depth=2
	v_add_co_u32 v26, vcc_lo, v1, v14
	s_wait_alu 0xfffd
	v_add_co_ci_u32_e64 v27, null, v25, v15, vcc_lo
	global_load_b64 v[28:29], v[26:27], off
	s_wait_loadcnt 0x0
	v_fma_f64 v[28:29], v[16:17], v[44:45], v[28:29]
	global_store_b64 v[26:27], v[28:29], off
	s_branch .LBB56_7
.LBB56_55:
	s_endpgm
	.section	.rodata,"a",@progbits
	.p2align	6, 0x0
	.amdhsa_kernel _ZL30rocblas_trmm_outofplace_kernelIdLi32ELi2ELb0ELb0ELb1ELb1EPKdS0_dEv17rocblas_diagonal_iiT6_lPT7_lllS5_lllPT8_llli
		.amdhsa_group_segment_fixed_size 16384
		.amdhsa_private_segment_fixed_size 0
		.amdhsa_kernarg_size 392
		.amdhsa_user_sgpr_count 2
		.amdhsa_user_sgpr_dispatch_ptr 0
		.amdhsa_user_sgpr_queue_ptr 0
		.amdhsa_user_sgpr_kernarg_segment_ptr 1
		.amdhsa_user_sgpr_dispatch_id 0
		.amdhsa_user_sgpr_private_segment_size 0
		.amdhsa_wavefront_size32 1
		.amdhsa_uses_dynamic_stack 0
		.amdhsa_enable_private_segment 0
		.amdhsa_system_sgpr_workgroup_id_x 1
		.amdhsa_system_sgpr_workgroup_id_y 1
		.amdhsa_system_sgpr_workgroup_id_z 1
		.amdhsa_system_sgpr_workgroup_info 0
		.amdhsa_system_vgpr_workitem_id 1
		.amdhsa_next_free_vgpr 87
		.amdhsa_next_free_sgpr 53
		.amdhsa_reserve_vcc 1
		.amdhsa_float_round_mode_32 0
		.amdhsa_float_round_mode_16_64 0
		.amdhsa_float_denorm_mode_32 3
		.amdhsa_float_denorm_mode_16_64 3
		.amdhsa_fp16_overflow 0
		.amdhsa_workgroup_processor_mode 1
		.amdhsa_memory_ordered 1
		.amdhsa_forward_progress 1
		.amdhsa_inst_pref_size 35
		.amdhsa_round_robin_scheduling 0
		.amdhsa_exception_fp_ieee_invalid_op 0
		.amdhsa_exception_fp_denorm_src 0
		.amdhsa_exception_fp_ieee_div_zero 0
		.amdhsa_exception_fp_ieee_overflow 0
		.amdhsa_exception_fp_ieee_underflow 0
		.amdhsa_exception_fp_ieee_inexact 0
		.amdhsa_exception_int_div_zero 0
	.end_amdhsa_kernel
	.section	.text._ZL30rocblas_trmm_outofplace_kernelIdLi32ELi2ELb0ELb0ELb1ELb1EPKdS0_dEv17rocblas_diagonal_iiT6_lPT7_lllS5_lllPT8_llli,"axG",@progbits,_ZL30rocblas_trmm_outofplace_kernelIdLi32ELi2ELb0ELb0ELb1ELb1EPKdS0_dEv17rocblas_diagonal_iiT6_lPT7_lllS5_lllPT8_llli,comdat
.Lfunc_end56:
	.size	_ZL30rocblas_trmm_outofplace_kernelIdLi32ELi2ELb0ELb0ELb1ELb1EPKdS0_dEv17rocblas_diagonal_iiT6_lPT7_lllS5_lllPT8_llli, .Lfunc_end56-_ZL30rocblas_trmm_outofplace_kernelIdLi32ELi2ELb0ELb0ELb1ELb1EPKdS0_dEv17rocblas_diagonal_iiT6_lPT7_lllS5_lllPT8_llli
                                        ; -- End function
	.set _ZL30rocblas_trmm_outofplace_kernelIdLi32ELi2ELb0ELb0ELb1ELb1EPKdS0_dEv17rocblas_diagonal_iiT6_lPT7_lllS5_lllPT8_llli.num_vgpr, 87
	.set _ZL30rocblas_trmm_outofplace_kernelIdLi32ELi2ELb0ELb0ELb1ELb1EPKdS0_dEv17rocblas_diagonal_iiT6_lPT7_lllS5_lllPT8_llli.num_agpr, 0
	.set _ZL30rocblas_trmm_outofplace_kernelIdLi32ELi2ELb0ELb0ELb1ELb1EPKdS0_dEv17rocblas_diagonal_iiT6_lPT7_lllS5_lllPT8_llli.numbered_sgpr, 53
	.set _ZL30rocblas_trmm_outofplace_kernelIdLi32ELi2ELb0ELb0ELb1ELb1EPKdS0_dEv17rocblas_diagonal_iiT6_lPT7_lllS5_lllPT8_llli.num_named_barrier, 0
	.set _ZL30rocblas_trmm_outofplace_kernelIdLi32ELi2ELb0ELb0ELb1ELb1EPKdS0_dEv17rocblas_diagonal_iiT6_lPT7_lllS5_lllPT8_llli.private_seg_size, 0
	.set _ZL30rocblas_trmm_outofplace_kernelIdLi32ELi2ELb0ELb0ELb1ELb1EPKdS0_dEv17rocblas_diagonal_iiT6_lPT7_lllS5_lllPT8_llli.uses_vcc, 1
	.set _ZL30rocblas_trmm_outofplace_kernelIdLi32ELi2ELb0ELb0ELb1ELb1EPKdS0_dEv17rocblas_diagonal_iiT6_lPT7_lllS5_lllPT8_llli.uses_flat_scratch, 0
	.set _ZL30rocblas_trmm_outofplace_kernelIdLi32ELi2ELb0ELb0ELb1ELb1EPKdS0_dEv17rocblas_diagonal_iiT6_lPT7_lllS5_lllPT8_llli.has_dyn_sized_stack, 0
	.set _ZL30rocblas_trmm_outofplace_kernelIdLi32ELi2ELb0ELb0ELb1ELb1EPKdS0_dEv17rocblas_diagonal_iiT6_lPT7_lllS5_lllPT8_llli.has_recursion, 0
	.set _ZL30rocblas_trmm_outofplace_kernelIdLi32ELi2ELb0ELb0ELb1ELb1EPKdS0_dEv17rocblas_diagonal_iiT6_lPT7_lllS5_lllPT8_llli.has_indirect_call, 0
	.section	.AMDGPU.csdata,"",@progbits
; Kernel info:
; codeLenInByte = 4376
; TotalNumSgprs: 55
; NumVgprs: 87
; ScratchSize: 0
; MemoryBound: 0
; FloatMode: 240
; IeeeMode: 1
; LDSByteSize: 16384 bytes/workgroup (compile time only)
; SGPRBlocks: 0
; VGPRBlocks: 10
; NumSGPRsForWavesPerEU: 55
; NumVGPRsForWavesPerEU: 87
; Occupancy: 16
; WaveLimiterHint : 0
; COMPUTE_PGM_RSRC2:SCRATCH_EN: 0
; COMPUTE_PGM_RSRC2:USER_SGPR: 2
; COMPUTE_PGM_RSRC2:TRAP_HANDLER: 0
; COMPUTE_PGM_RSRC2:TGID_X_EN: 1
; COMPUTE_PGM_RSRC2:TGID_Y_EN: 1
; COMPUTE_PGM_RSRC2:TGID_Z_EN: 1
; COMPUTE_PGM_RSRC2:TIDIG_COMP_CNT: 1
	.section	.text._ZL30rocblas_trmm_outofplace_kernelIdLi32ELi2ELb0ELb0ELb1ELb1EdKddEv17rocblas_diagonal_iiT6_lPT7_lllS4_lllPT8_llli,"axG",@progbits,_ZL30rocblas_trmm_outofplace_kernelIdLi32ELi2ELb0ELb0ELb1ELb1EdKddEv17rocblas_diagonal_iiT6_lPT7_lllS4_lllPT8_llli,comdat
	.globl	_ZL30rocblas_trmm_outofplace_kernelIdLi32ELi2ELb0ELb0ELb1ELb1EdKddEv17rocblas_diagonal_iiT6_lPT7_lllS4_lllPT8_llli ; -- Begin function _ZL30rocblas_trmm_outofplace_kernelIdLi32ELi2ELb0ELb0ELb1ELb1EdKddEv17rocblas_diagonal_iiT6_lPT7_lllS4_lllPT8_llli
	.p2align	8
	.type	_ZL30rocblas_trmm_outofplace_kernelIdLi32ELi2ELb0ELb0ELb1ELb1EdKddEv17rocblas_diagonal_iiT6_lPT7_lllS4_lllPT8_llli,@function
_ZL30rocblas_trmm_outofplace_kernelIdLi32ELi2ELb0ELb0ELb1ELb1EdKddEv17rocblas_diagonal_iiT6_lPT7_lllS4_lllPT8_llli: ; @_ZL30rocblas_trmm_outofplace_kernelIdLi32ELi2ELb0ELb0ELb1ELb1EdKddEv17rocblas_diagonal_iiT6_lPT7_lllS4_lllPT8_llli
; %bb.0:
	s_load_b32 s31, s[0:1], 0x80
	s_lshr_b32 s34, ttmp7, 16
	s_wait_kmcnt 0x0
	s_cmp_ge_u32 s34, s31
	s_cbranch_scc1 .LBB57_54
; %bb.1:
	s_load_b64 s[36:37], s[0:1], 0x10
	s_wait_kmcnt 0x0
	v_cmp_eq_f64_e64 s2, s[36:37], 0
	s_and_b32 vcc_lo, exec_lo, s2
	s_cbranch_vccnz .LBB57_54
; %bb.2:
	s_clause 0x2
	s_load_b96 s[28:30], s[0:1], 0x0
	s_load_b512 s[4:19], s[0:1], 0x20
	s_load_b256 s[20:27], s[0:1], 0x60
	s_add_nc_u64 s[38:39], s[0:1], 0x88
	v_and_b32_e32 v57, 0x3ff, v0
	s_and_b32 s33, ttmp7, 0xffff
	v_bfe_u32 v0, v0, 10, 10
	v_mov_b32_e32 v1, 0
	s_mov_b32 s35, 0
	v_lshl_add_u32 v9, ttmp9, 5, v57
	v_mov_b32_e32 v65, 0x3ff00000
	v_lshl_add_u32 v14, v0, 3, 0x80
	v_lshlrev_b32_e32 v58, 8, v0
	v_lshl_add_u32 v64, s33, 5, v0
	v_ashrrev_i32_e32 v10, 31, v9
	s_wait_kmcnt 0x0
	s_add_co_i32 s0, s30, -1
	v_mad_co_u64_u32 v[7:8], null, s16, v0, 0
	s_wait_alu 0xfffe
	s_ashr_i32 s1, s0, 31
	v_sub_co_u32 v2, vcc_lo, s29, v9
	s_wait_alu 0xfffe
	s_lshr_b32 s1, s1, 27
	s_mov_b32 s40, s30
	s_wait_alu 0xfffe
	s_add_co_i32 s0, s0, s1
	s_wait_alu 0xfffe
	s_ashr_i32 s46, s0, 5
	v_cmp_gt_i32_e64 s0, s29, v9
	s_cmp_le_i32 s33, s46
	s_cselect_b32 s47, -1, 0
	s_cmp_eq_u32 s28, 0x84
	s_cselect_b32 s28, -1, 0
	s_ashr_i32 s1, s29, 31
	s_lshl_b64 s[2:3], s[22:23], 3
	s_wait_alu 0xfffe
	v_sub_co_ci_u32_e64 v3, null, s1, v10, vcc_lo
	s_add_nc_u64 s[20:21], s[20:21], s[2:3]
	s_lshl_b64 s[6:7], s[6:7], 3
	s_ashr_i32 s41, s30, 31
	v_cmp_gt_i64_e64 s1, 1, v[2:3]
	v_cmp_gt_i64_e64 s2, 17, v[2:3]
	v_mov_b32_e32 v2, v8
	v_mad_co_u64_u32 v[11:12], null, s8, v57, 0
	s_add_nc_u64 s[4:5], s[4:5], s[6:7]
	v_add_nc_u32_e32 v15, 16, v9
	v_mad_co_u64_u32 v[2:3], null, s17, v0, v[2:3]
	v_lshlrev_b32_e32 v5, 3, v57
	v_mad_co_u64_u32 v[3:4], null, s16, v14, 0
	v_lshlrev_b64_e32 v[9:10], 3, v[9:10]
	s_lshl_b64 s[6:7], s[14:15], 3
	s_lshl_b64 s[42:43], s[8:9], 8
	s_delay_alu instid0(VALU_DEP_4)
	v_dual_mov_b32 v8, v2 :: v_dual_add_nc_u32 v17, 0x80, v5
	v_or_b32_e32 v59, 0x2000, v5
	v_add_nc_u32_e32 v60, v58, v5
	v_mov_b32_e32 v2, v12
	s_add_nc_u64 s[6:7], s[12:13], s[6:7]
	v_mad_co_u64_u32 v[5:6], null, s8, v17, s[4:5]
	v_add_nc_u32_e32 v61, v59, v58
	s_delay_alu instid0(VALU_DEP_3)
	v_mad_co_u64_u32 v[12:13], null, s9, v57, v[2:3]
	v_ashrrev_i32_e32 v16, 31, v15
	v_cmp_gt_i32_e64 s3, s29, v15
	v_sub_co_u32 v62, s29, 0, v57
	v_mov_b32_e32 v2, v6
	v_mad_co_u64_u32 v[13:14], null, s17, v14, v[4:5]
	v_lshlrev_b64_e32 v[7:8], 3, v[7:8]
	v_lshlrev_b64_e32 v[15:16], 3, v[15:16]
	s_delay_alu instid0(VALU_DEP_4) | instskip(SKIP_4) | instid1(VALU_DEP_3)
	v_mad_co_u64_u32 v[17:18], null, s9, v17, v[2:3]
	v_add_co_u32 v2, vcc_lo, s6, v9
	v_lshlrev_b64_e32 v[18:19], 3, v[11:12]
	s_wait_alu 0xfffd
	v_add_co_ci_u32_e64 v4, null, s7, v10, vcc_lo
	v_add_co_u32 v11, vcc_lo, 0x80, v2
	s_wait_alu 0xf1ff
	v_sub_co_ci_u32_e64 v63, null, 0, 0, s29
	s_wait_alu 0xfffd
	v_add_co_ci_u32_e64 v12, null, 0, v4, vcc_lo
	v_mov_b32_e32 v4, v13
	v_add_co_u32 v13, vcc_lo, s4, v18
	v_dual_mov_b32 v6, v17 :: v_dual_add_nc_u32 v67, 0x1000, v59
	s_wait_alu 0xfffd
	v_add_co_ci_u32_e64 v14, null, s5, v19, vcc_lo
	v_add_nc_u32_e32 v66, 0x800, v59
	v_add_nc_u32_e32 v68, 0x1800, v59
	s_lshl_b64 s[22:23], s[16:17], 8
	s_add_nc_u64 s[44:45], s[40:41], -16
	s_lshl_b64 s[12:13], s[18:19], 3
	s_lshl_b64 s[10:11], s[10:11], 3
	s_branch .LBB57_4
.LBB57_3:                               ;   in Loop: Header=BB57_4 Depth=1
	s_add_co_i32 s34, s34, 0x10000
	s_wait_alu 0xfffe
	s_cmp_ge_u32 s34, s31
	s_cbranch_scc1 .LBB57_54
.LBB57_4:                               ; =>This Loop Header: Depth=1
                                        ;     Child Loop BB57_7 Depth 2
                                        ;       Child Loop BB57_10 Depth 3
	s_and_not1_b32 vcc_lo, exec_lo, s47
	s_wait_alu 0xfffe
	s_cbranch_vccnz .LBB57_3
; %bb.5:                                ;   in Loop: Header=BB57_4 Depth=1
	v_mad_co_u64_u32 v[17:18], null, s12, s34, v[11:12]
	s_load_b32 s18, s[38:39], 0x4
	v_mad_co_u64_u32 v[19:20], null, s10, s34, v[5:6]
	v_mad_co_u64_u32 v[21:22], null, s10, s34, v[13:14]
	s_mul_i32 s6, s11, s34
	v_mov_b32_e32 v2, v18
	s_mul_u64 s[4:5], s[26:27], s[34:35]
	s_mov_b32 s29, s33
	s_wait_alu 0xfffe
	v_add_nc_u32_e32 v20, s6, v20
	s_lshl_b64 s[4:5], s[4:5], 3
	v_mad_co_u64_u32 v[23:24], null, s13, s34, v[2:3]
	v_add_nc_u32_e32 v22, s6, v22
	s_wait_alu 0xfffe
	s_add_nc_u64 s[14:15], s[20:21], s[4:5]
	s_delay_alu instid0(VALU_DEP_2)
	v_dual_mov_b32 v18, v23 :: v_dual_mov_b32 v23, v64
	s_wait_kmcnt 0x0
	s_lshl_b32 s19, s18, 5
	s_branch .LBB57_7
.LBB57_6:                               ;   in Loop: Header=BB57_7 Depth=2
	s_wait_alu 0xfffe
	s_or_b32 exec_lo, exec_lo, s4
	v_add_nc_u32_e32 v23, s19, v23
	s_add_co_i32 s29, s18, s29
	s_wait_alu 0xfffe
	s_cmp_gt_i32 s29, s46
	s_cbranch_scc1 .LBB57_3
.LBB57_7:                               ;   Parent Loop BB57_4 Depth=1
                                        ; =>  This Loop Header: Depth=2
                                        ;       Child Loop BB57_10 Depth 3
	s_lshl_b32 s48, s29, 5
	v_mov_b32_e32 v49, 0
	s_wait_alu 0xfffe
	v_dual_mov_b32 v50, 0 :: v_dual_add_nc_u32 v25, s48, v0
	v_mov_b32_e32 v47, 0
	v_mov_b32_e32 v45, 0
	v_dual_mov_b32 v43, 0 :: v_dual_mov_b32 v48, 0
	v_mov_b32_e32 v46, 0
	v_mov_b32_e32 v44, 0
	v_ashrrev_i32_e32 v26, 31, v25
	s_cmp_lt_i32 s29, 0
	s_cbranch_scc1 .LBB57_46
; %bb.8:                                ;   in Loop: Header=BB57_7 Depth=2
	v_ashrrev_i32_e32 v24, 31, v23
	v_add_co_u32 v27, vcc_lo, v25, 16
	s_wait_alu 0xfffd
	v_add_co_ci_u32_e64 v28, null, 0, v26, vcc_lo
	v_add_co_u32 v29, vcc_lo, v62, v23
	s_wait_alu 0xfffd
	v_add_co_ci_u32_e64 v30, null, v63, v24, vcc_lo
	v_mov_b32_e32 v45, 0
	s_delay_alu instid0(VALU_DEP_3) | instskip(SKIP_1) | instid1(VALU_DEP_3)
	v_add_co_u32 v33, s5, v29, 16
	s_wait_alu 0xf1ff
	v_add_co_ci_u32_e64 v34, null, 0, v30, s5
	v_add_co_u32 v35, s5, v29, -16
	v_lshlrev_b64_e32 v[31:32], 3, v[23:24]
	v_cmp_le_i64_e64 s4, s[40:41], v[27:28]
	v_dual_mov_b32 v43, 0 :: v_dual_mov_b32 v38, v22
	v_dual_mov_b32 v46, 0 :: v_dual_mov_b32 v47, 0
	;; [unrolled: 1-line block ×3, first 2 shown]
	s_wait_alu 0xf1ff
	v_add_co_ci_u32_e64 v36, null, -1, v30, s5
	v_dual_mov_b32 v44, 0 :: v_dual_mov_b32 v37, v21
	v_dual_mov_b32 v40, v20 :: v_dual_mov_b32 v39, v19
	v_mov_b32_e32 v48, 0
	v_dual_mov_b32 v50, 0 :: v_dual_mov_b32 v41, v17
	s_mov_b64 s[16:17], 0
	v_cmp_le_i32_e32 vcc_lo, s30, v25
	s_branch .LBB57_10
.LBB57_9:                               ;   in Loop: Header=BB57_10 Depth=3
	s_wait_alu 0xfffe
	s_or_b32 exec_lo, exec_lo, s5
	s_wait_dscnt 0x0
	s_barrier_signal -1
	s_barrier_wait -1
	global_inv scope:SCOPE_SE
	ds_load_b128 v[51:54], v58
	ds_load_2addr_b64 v[69:72], v59 offset1:16
	ds_load_b128 v[73:76], v58 offset:4096
	ds_load_b128 v[77:80], v58 offset:16
	;; [unrolled: 1-line block ×3, first 2 shown]
	v_add_co_u32 v41, s5, v41, s22
	s_wait_alu 0xf1ff
	v_add_co_ci_u32_e64 v42, null, s23, v42, s5
	v_add_co_u32 v39, s5, v39, s42
	s_wait_alu 0xf1ff
	v_add_co_ci_u32_e64 v40, null, s43, v40, s5
	v_add_co_u32 v37, s5, v37, s42
	s_add_nc_u64 s[16:17], s[16:17], 32
	v_add_co_ci_u32_e64 v38, null, s43, v38, s5
	s_wait_alu 0xfffe
	s_sub_co_i32 s5, s16, 32
	s_wait_alu 0xfffe
	s_cmp_ge_i32 s5, s48
	s_wait_dscnt 0x3
	v_fma_f64 v[49:50], v[69:70], v[51:52], v[49:50]
	v_fma_f64 v[47:48], v[71:72], v[51:52], v[47:48]
	s_wait_dscnt 0x2
	v_fma_f64 v[51:52], v[69:70], v[73:74], v[45:46]
	v_fma_f64 v[55:56], v[71:72], v[73:74], v[43:44]
	ds_load_2addr_b64 v[43:46], v59 offset0:32 offset1:48
	s_wait_dscnt 0x0
	v_fma_f64 v[49:50], v[43:44], v[53:54], v[49:50]
	v_fma_f64 v[47:48], v[45:46], v[53:54], v[47:48]
	v_fma_f64 v[51:52], v[43:44], v[75:76], v[51:52]
	v_fma_f64 v[53:54], v[45:46], v[75:76], v[55:56]
	ds_load_2addr_b64 v[43:46], v59 offset0:64 offset1:80
	s_wait_dscnt 0x0
	v_fma_f64 v[49:50], v[43:44], v[77:78], v[49:50]
	v_fma_f64 v[47:48], v[45:46], v[77:78], v[47:48]
	v_fma_f64 v[51:52], v[43:44], v[81:82], v[51:52]
	v_fma_f64 v[53:54], v[45:46], v[81:82], v[53:54]
	ds_load_2addr_b64 v[43:46], v59 offset0:96 offset1:112
	s_wait_dscnt 0x0
	v_fma_f64 v[55:56], v[43:44], v[79:80], v[49:50]
	v_fma_f64 v[77:78], v[45:46], v[79:80], v[47:48]
	v_fma_f64 v[79:80], v[43:44], v[83:84], v[51:52]
	v_fma_f64 v[81:82], v[45:46], v[83:84], v[53:54]
	ds_load_b128 v[43:46], v58 offset:32
	ds_load_2addr_b64 v[47:50], v59 offset0:128 offset1:144
	ds_load_b128 v[51:54], v58 offset:4128
	ds_load_b128 v[69:72], v58 offset:48
	ds_load_b128 v[73:76], v58 offset:4144
	s_wait_dscnt 0x3
	v_fma_f64 v[55:56], v[47:48], v[43:44], v[55:56]
	v_fma_f64 v[43:44], v[49:50], v[43:44], v[77:78]
	s_wait_dscnt 0x2
	v_fma_f64 v[77:78], v[47:48], v[51:52], v[79:80]
	v_fma_f64 v[51:52], v[49:50], v[51:52], v[81:82]
	ds_load_2addr_b64 v[47:50], v59 offset0:160 offset1:176
	s_wait_dscnt 0x0
	v_fma_f64 v[55:56], v[47:48], v[45:46], v[55:56]
	v_fma_f64 v[79:80], v[49:50], v[45:46], v[43:44]
	v_fma_f64 v[47:48], v[47:48], v[53:54], v[77:78]
	v_fma_f64 v[49:50], v[49:50], v[53:54], v[51:52]
	ds_load_2addr_b64 v[43:46], v59 offset0:192 offset1:208
	s_wait_dscnt 0x0
	v_fma_f64 v[51:52], v[43:44], v[69:70], v[55:56]
	v_fma_f64 v[53:54], v[45:46], v[69:70], v[79:80]
	v_fma_f64 v[47:48], v[43:44], v[73:74], v[47:48]
	v_fma_f64 v[49:50], v[45:46], v[73:74], v[49:50]
	ds_load_2addr_b64 v[43:46], v59 offset0:224 offset1:240
	s_wait_dscnt 0x0
	v_fma_f64 v[55:56], v[43:44], v[71:72], v[51:52]
	v_fma_f64 v[77:78], v[45:46], v[71:72], v[53:54]
	v_fma_f64 v[79:80], v[43:44], v[75:76], v[47:48]
	v_fma_f64 v[81:82], v[45:46], v[75:76], v[49:50]
	ds_load_b128 v[43:46], v58 offset:64
	ds_load_2addr_b64 v[47:50], v66 offset1:16
	ds_load_b128 v[51:54], v58 offset:4160
	ds_load_b128 v[69:72], v58 offset:80
	ds_load_b128 v[73:76], v58 offset:4176
	s_wait_dscnt 0x3
	v_fma_f64 v[55:56], v[47:48], v[43:44], v[55:56]
	v_fma_f64 v[43:44], v[49:50], v[43:44], v[77:78]
	s_wait_dscnt 0x2
	v_fma_f64 v[77:78], v[47:48], v[51:52], v[79:80]
	v_fma_f64 v[51:52], v[49:50], v[51:52], v[81:82]
	ds_load_2addr_b64 v[47:50], v66 offset0:32 offset1:48
	s_wait_dscnt 0x0
	v_fma_f64 v[55:56], v[47:48], v[45:46], v[55:56]
	v_fma_f64 v[79:80], v[49:50], v[45:46], v[43:44]
	v_fma_f64 v[47:48], v[47:48], v[53:54], v[77:78]
	v_fma_f64 v[49:50], v[49:50], v[53:54], v[51:52]
	ds_load_2addr_b64 v[43:46], v66 offset0:64 offset1:80
	s_wait_dscnt 0x0
	v_fma_f64 v[51:52], v[43:44], v[69:70], v[55:56]
	v_fma_f64 v[53:54], v[45:46], v[69:70], v[79:80]
	v_fma_f64 v[47:48], v[43:44], v[73:74], v[47:48]
	v_fma_f64 v[49:50], v[45:46], v[73:74], v[49:50]
	ds_load_2addr_b64 v[43:46], v66 offset0:96 offset1:112
	s_wait_dscnt 0x0
	v_fma_f64 v[55:56], v[43:44], v[71:72], v[51:52]
	v_fma_f64 v[77:78], v[45:46], v[71:72], v[53:54]
	v_fma_f64 v[79:80], v[43:44], v[75:76], v[47:48]
	v_fma_f64 v[81:82], v[45:46], v[75:76], v[49:50]
	ds_load_b128 v[43:46], v58 offset:96
	ds_load_2addr_b64 v[47:50], v66 offset0:128 offset1:144
	ds_load_b128 v[51:54], v58 offset:4192
	ds_load_b128 v[69:72], v58 offset:112
	ds_load_b128 v[73:76], v58 offset:4208
	s_wait_dscnt 0x3
	v_fma_f64 v[55:56], v[47:48], v[43:44], v[55:56]
	v_fma_f64 v[43:44], v[49:50], v[43:44], v[77:78]
	s_wait_dscnt 0x2
	v_fma_f64 v[77:78], v[47:48], v[51:52], v[79:80]
	v_fma_f64 v[51:52], v[49:50], v[51:52], v[81:82]
	ds_load_2addr_b64 v[47:50], v66 offset0:160 offset1:176
	s_wait_dscnt 0x0
	v_fma_f64 v[55:56], v[47:48], v[45:46], v[55:56]
	v_fma_f64 v[79:80], v[49:50], v[45:46], v[43:44]
	v_fma_f64 v[47:48], v[47:48], v[53:54], v[77:78]
	v_fma_f64 v[49:50], v[49:50], v[53:54], v[51:52]
	ds_load_2addr_b64 v[43:46], v66 offset0:192 offset1:208
	s_wait_dscnt 0x0
	v_fma_f64 v[51:52], v[43:44], v[69:70], v[55:56]
	v_fma_f64 v[53:54], v[45:46], v[69:70], v[79:80]
	v_fma_f64 v[47:48], v[43:44], v[73:74], v[47:48]
	v_fma_f64 v[49:50], v[45:46], v[73:74], v[49:50]
	ds_load_2addr_b64 v[43:46], v66 offset0:224 offset1:240
	s_wait_dscnt 0x0
	v_fma_f64 v[55:56], v[43:44], v[71:72], v[51:52]
	v_fma_f64 v[77:78], v[45:46], v[71:72], v[53:54]
	v_fma_f64 v[79:80], v[43:44], v[75:76], v[47:48]
	v_fma_f64 v[81:82], v[45:46], v[75:76], v[49:50]
	ds_load_b128 v[43:46], v58 offset:128
	ds_load_2addr_b64 v[47:50], v67 offset1:16
	ds_load_b128 v[51:54], v58 offset:4224
	ds_load_b128 v[69:72], v58 offset:144
	ds_load_b128 v[73:76], v58 offset:4240
	s_wait_dscnt 0x3
	v_fma_f64 v[55:56], v[47:48], v[43:44], v[55:56]
	v_fma_f64 v[43:44], v[49:50], v[43:44], v[77:78]
	s_wait_dscnt 0x2
	v_fma_f64 v[77:78], v[47:48], v[51:52], v[79:80]
	v_fma_f64 v[51:52], v[49:50], v[51:52], v[81:82]
	ds_load_2addr_b64 v[47:50], v67 offset0:32 offset1:48
	s_wait_dscnt 0x0
	v_fma_f64 v[55:56], v[47:48], v[45:46], v[55:56]
	v_fma_f64 v[79:80], v[49:50], v[45:46], v[43:44]
	v_fma_f64 v[47:48], v[47:48], v[53:54], v[77:78]
	v_fma_f64 v[49:50], v[49:50], v[53:54], v[51:52]
	ds_load_2addr_b64 v[43:46], v67 offset0:64 offset1:80
	s_wait_dscnt 0x0
	v_fma_f64 v[51:52], v[43:44], v[69:70], v[55:56]
	v_fma_f64 v[53:54], v[45:46], v[69:70], v[79:80]
	v_fma_f64 v[47:48], v[43:44], v[73:74], v[47:48]
	v_fma_f64 v[49:50], v[45:46], v[73:74], v[49:50]
	ds_load_2addr_b64 v[43:46], v67 offset0:96 offset1:112
	s_wait_dscnt 0x0
	v_fma_f64 v[55:56], v[43:44], v[71:72], v[51:52]
	v_fma_f64 v[77:78], v[45:46], v[71:72], v[53:54]
	v_fma_f64 v[79:80], v[43:44], v[75:76], v[47:48]
	v_fma_f64 v[81:82], v[45:46], v[75:76], v[49:50]
	ds_load_b128 v[43:46], v58 offset:160
	ds_load_2addr_b64 v[47:50], v67 offset0:128 offset1:144
	ds_load_b128 v[51:54], v58 offset:4256
	ds_load_b128 v[69:72], v58 offset:176
	ds_load_b128 v[73:76], v58 offset:4272
	s_wait_dscnt 0x3
	v_fma_f64 v[55:56], v[47:48], v[43:44], v[55:56]
	v_fma_f64 v[43:44], v[49:50], v[43:44], v[77:78]
	s_wait_dscnt 0x2
	v_fma_f64 v[77:78], v[47:48], v[51:52], v[79:80]
	v_fma_f64 v[51:52], v[49:50], v[51:52], v[81:82]
	ds_load_2addr_b64 v[47:50], v67 offset0:160 offset1:176
	s_wait_dscnt 0x0
	v_fma_f64 v[55:56], v[47:48], v[45:46], v[55:56]
	v_fma_f64 v[79:80], v[49:50], v[45:46], v[43:44]
	v_fma_f64 v[47:48], v[47:48], v[53:54], v[77:78]
	v_fma_f64 v[49:50], v[49:50], v[53:54], v[51:52]
	ds_load_2addr_b64 v[43:46], v67 offset0:192 offset1:208
	s_wait_dscnt 0x0
	v_fma_f64 v[51:52], v[43:44], v[69:70], v[55:56]
	v_fma_f64 v[53:54], v[45:46], v[69:70], v[79:80]
	v_fma_f64 v[47:48], v[43:44], v[73:74], v[47:48]
	v_fma_f64 v[49:50], v[45:46], v[73:74], v[49:50]
	ds_load_2addr_b64 v[43:46], v67 offset0:224 offset1:240
	s_wait_dscnt 0x0
	v_fma_f64 v[55:56], v[43:44], v[71:72], v[51:52]
	v_fma_f64 v[77:78], v[45:46], v[71:72], v[53:54]
	v_fma_f64 v[79:80], v[43:44], v[75:76], v[47:48]
	v_fma_f64 v[81:82], v[45:46], v[75:76], v[49:50]
	ds_load_b128 v[43:46], v58 offset:192
	ds_load_2addr_b64 v[47:50], v68 offset1:16
	ds_load_b128 v[51:54], v58 offset:4288
	ds_load_b128 v[69:72], v58 offset:208
	ds_load_b128 v[73:76], v58 offset:4304
	s_wait_dscnt 0x3
	v_fma_f64 v[55:56], v[47:48], v[43:44], v[55:56]
	v_fma_f64 v[43:44], v[49:50], v[43:44], v[77:78]
	s_wait_dscnt 0x2
	v_fma_f64 v[77:78], v[47:48], v[51:52], v[79:80]
	v_fma_f64 v[51:52], v[49:50], v[51:52], v[81:82]
	ds_load_2addr_b64 v[47:50], v68 offset0:32 offset1:48
	s_wait_dscnt 0x0
	v_fma_f64 v[55:56], v[47:48], v[45:46], v[55:56]
	v_fma_f64 v[79:80], v[49:50], v[45:46], v[43:44]
	v_fma_f64 v[47:48], v[47:48], v[53:54], v[77:78]
	v_fma_f64 v[49:50], v[49:50], v[53:54], v[51:52]
	ds_load_2addr_b64 v[43:46], v68 offset0:64 offset1:80
	s_wait_dscnt 0x0
	v_fma_f64 v[51:52], v[43:44], v[69:70], v[55:56]
	v_fma_f64 v[53:54], v[45:46], v[69:70], v[79:80]
	;; [unrolled: 6-line block ×3, first 2 shown]
	v_fma_f64 v[79:80], v[43:44], v[75:76], v[47:48]
	v_fma_f64 v[81:82], v[45:46], v[75:76], v[49:50]
	ds_load_b128 v[43:46], v58 offset:224
	ds_load_2addr_b64 v[47:50], v68 offset0:128 offset1:144
	ds_load_b128 v[51:54], v58 offset:4320
	ds_load_b128 v[69:72], v58 offset:240
	;; [unrolled: 1-line block ×3, first 2 shown]
	s_wait_dscnt 0x3
	v_fma_f64 v[55:56], v[47:48], v[43:44], v[55:56]
	v_fma_f64 v[43:44], v[49:50], v[43:44], v[77:78]
	s_wait_dscnt 0x2
	v_fma_f64 v[77:78], v[47:48], v[51:52], v[79:80]
	v_fma_f64 v[51:52], v[49:50], v[51:52], v[81:82]
	ds_load_2addr_b64 v[47:50], v68 offset0:160 offset1:176
	s_wait_dscnt 0x0
	v_fma_f64 v[55:56], v[47:48], v[45:46], v[55:56]
	v_fma_f64 v[79:80], v[49:50], v[45:46], v[43:44]
	;; [unrolled: 1-line block ×4, first 2 shown]
	ds_load_2addr_b64 v[43:46], v68 offset0:192 offset1:208
	ds_load_2addr_b64 v[51:54], v68 offset0:224 offset1:240
	s_wait_loadcnt_dscnt 0x0
	s_barrier_signal -1
	s_barrier_wait -1
	global_inv scope:SCOPE_SE
	v_fma_f64 v[55:56], v[43:44], v[69:70], v[55:56]
	v_fma_f64 v[69:70], v[45:46], v[69:70], v[79:80]
	;; [unrolled: 1-line block ×4, first 2 shown]
	s_delay_alu instid0(VALU_DEP_4) | instskip(NEXT) | instid1(VALU_DEP_4)
	v_fma_f64 v[49:50], v[51:52], v[71:72], v[55:56]
	v_fma_f64 v[47:48], v[53:54], v[71:72], v[69:70]
	s_delay_alu instid0(VALU_DEP_4) | instskip(NEXT) | instid1(VALU_DEP_4)
	v_fma_f64 v[45:46], v[51:52], v[75:76], v[43:44]
	v_fma_f64 v[43:44], v[53:54], v[75:76], v[73:74]
	s_cbranch_scc1 .LBB57_46
.LBB57_10:                              ;   Parent Loop BB57_4 Depth=1
                                        ;     Parent Loop BB57_7 Depth=2
                                        ; =>    This Inner Loop Header: Depth=3
	s_wait_alu 0xfffe
	v_add_co_u32 v51, s5, v57, s16
	s_wait_alu 0xf1ff
	v_add_co_ci_u32_e64 v52, null, 0, s17, s5
	v_cmp_eq_u64_e64 s7, s[16:17], v[29:30]
                                        ; implicit-def: $vgpr55_vgpr56
	s_delay_alu instid0(VALU_DEP_2)
	v_cmp_gt_i64_e64 s5, v[51:52], v[25:26]
	v_cmp_le_i64_e64 s6, s[40:41], v[51:52]
	s_and_b32 s49, s28, s7
	v_add_co_u32 v53, s7, v37, v31
	s_or_b32 s8, vcc_lo, s5
	v_add_co_ci_u32_e64 v54, null, v38, v32, s7
	s_wait_alu 0xfffe
	s_or_b32 s7, s8, s49
	s_wait_alu 0xfffe
	s_nor_b32 s7, s6, s7
	s_wait_alu 0xfffe
	s_and_saveexec_b32 s8, s7
	s_wait_alu 0xfffe
	s_xor_b32 s7, exec_lo, s8
	s_cbranch_execz .LBB57_12
; %bb.11:                               ;   in Loop: Header=BB57_10 Depth=3
	global_load_b64 v[55:56], v[53:54], off
.LBB57_12:                              ;   in Loop: Header=BB57_10 Depth=3
	s_wait_alu 0xfffe
	s_and_not1_saveexec_b32 s7, s7
	s_cbranch_execz .LBB57_14
; %bb.13:                               ;   in Loop: Header=BB57_10 Depth=3
	v_cndmask_b32_e64 v2, 0, 0x3ff00000, s49
	s_wait_loadcnt 0x0
	s_delay_alu instid0(VALU_DEP_1)
	v_dual_mov_b32 v56, v2 :: v_dual_mov_b32 v55, v1
.LBB57_14:                              ;   in Loop: Header=BB57_10 Depth=3
	s_wait_alu 0xfffe
	s_or_b32 exec_lo, exec_lo, s7
	v_add_co_u32 v69, s7, v51, 16
	s_wait_alu 0xf1ff
	v_add_co_ci_u32_e64 v70, null, 0, v52, s7
	v_cmp_eq_u64_e64 s8, s[16:17], v[35:36]
	s_wait_loadcnt 0x0
	ds_store_b64 v60, v[55:56]
	v_cmp_gt_i64_e64 s9, v[69:70], v[25:26]
	v_cmp_le_i64_e64 s7, s[40:41], v[69:70]
	s_and_b32 s50, s28, s8
	s_or_b32 s8, vcc_lo, s9
	s_wait_alu 0xfffe
	s_or_b32 s8, s8, s50
	s_wait_alu 0xfffe
	s_nor_b32 s8, s7, s8
	s_wait_alu 0xfffe
	s_and_saveexec_b32 s9, s8
	s_wait_alu 0xfffe
	s_xor_b32 s9, exec_lo, s9
	s_cbranch_execz .LBB57_16
; %bb.15:                               ;   in Loop: Header=BB57_10 Depth=3
	v_add_co_u32 v55, s8, v39, v31
	s_wait_alu 0xf1ff
	v_add_co_ci_u32_e64 v56, null, v40, v32, s8
	global_load_b64 v[55:56], v[55:56], off
	s_wait_loadcnt 0x0
	ds_store_b64 v60, v[55:56] offset:128
.LBB57_16:                              ;   in Loop: Header=BB57_10 Depth=3
	s_wait_alu 0xfffe
	s_and_not1_saveexec_b32 s8, s9
	s_cbranch_execz .LBB57_22
; %bb.17:                               ;   in Loop: Header=BB57_10 Depth=3
	s_xor_b32 s9, s50, -1
	s_wait_alu 0xfffe
	s_and_saveexec_b32 s50, s9
	s_delay_alu instid0(SALU_CYCLE_1)
	s_xor_b32 s9, exec_lo, s50
; %bb.18:                               ;   in Loop: Header=BB57_10 Depth=3
	v_mov_b32_e32 v2, v1
	ds_store_b64 v60, v[1:2] offset:128
; %bb.19:                               ;   in Loop: Header=BB57_10 Depth=3
	s_wait_alu 0xfffe
	s_and_not1_saveexec_b32 s9, s9
; %bb.20:                               ;   in Loop: Header=BB57_10 Depth=3
	v_mov_b32_e32 v2, v65
	ds_store_b64 v60, v[1:2] offset:128
; %bb.21:                               ;   in Loop: Header=BB57_10 Depth=3
	s_wait_alu 0xfffe
	s_or_b32 exec_lo, exec_lo, s9
.LBB57_22:                              ;   in Loop: Header=BB57_10 Depth=3
	s_wait_alu 0xfffe
	s_or_b32 exec_lo, exec_lo, s8
	v_cmp_eq_u64_e64 s8, s[16:17], v[33:34]
	v_cmp_gt_i64_e64 s9, v[51:52], v[27:28]
                                        ; implicit-def: $vgpr51_vgpr52
	s_and_b32 s8, s28, s8
	s_or_b32 s9, s4, s9
	s_wait_alu 0xfffe
	s_or_b32 s9, s9, s8
	s_wait_alu 0xfffe
	s_nor_b32 s6, s6, s9
	s_wait_alu 0xfffe
	s_and_saveexec_b32 s9, s6
	s_wait_alu 0xfffe
	s_xor_b32 s6, exec_lo, s9
	s_cbranch_execz .LBB57_24
; %bb.23:                               ;   in Loop: Header=BB57_10 Depth=3
	global_load_b64 v[51:52], v[53:54], off offset:128
.LBB57_24:                              ;   in Loop: Header=BB57_10 Depth=3
	s_wait_alu 0xfffe
	s_and_not1_saveexec_b32 s6, s6
	s_cbranch_execz .LBB57_26
; %bb.25:                               ;   in Loop: Header=BB57_10 Depth=3
	v_cndmask_b32_e64 v2, 0, 0x3ff00000, s8
	s_wait_loadcnt 0x0
	s_delay_alu instid0(VALU_DEP_1)
	v_dual_mov_b32 v52, v2 :: v_dual_mov_b32 v51, v1
.LBB57_26:                              ;   in Loop: Header=BB57_10 Depth=3
	s_wait_alu 0xfffe
	s_or_b32 exec_lo, exec_lo, s6
	s_or_b32 s5, s4, s5
	s_wait_loadcnt 0x0
	ds_store_b64 v60, v[51:52] offset:4096
	s_wait_alu 0xfffe
	s_or_b32 s5, s5, s49
	s_wait_alu 0xfffe
	s_nor_b32 s5, s7, s5
	s_wait_alu 0xfffe
	s_and_saveexec_b32 s6, s5
	s_wait_alu 0xfffe
	s_xor_b32 s6, exec_lo, s6
	s_cbranch_execz .LBB57_28
; %bb.27:                               ;   in Loop: Header=BB57_10 Depth=3
	v_add_co_u32 v51, s5, v39, v31
	s_wait_alu 0xf1ff
	v_add_co_ci_u32_e64 v52, null, v40, v32, s5
	global_load_b64 v[51:52], v[51:52], off offset:128
	s_wait_loadcnt 0x0
	ds_store_b64 v60, v[51:52] offset:4224
.LBB57_28:                              ;   in Loop: Header=BB57_10 Depth=3
	s_wait_alu 0xfffe
	s_and_not1_saveexec_b32 s5, s6
	s_cbranch_execz .LBB57_34
; %bb.29:                               ;   in Loop: Header=BB57_10 Depth=3
	s_xor_b32 s6, s49, -1
	s_wait_alu 0xfffe
	s_and_saveexec_b32 s7, s6
	s_wait_alu 0xfffe
	s_xor_b32 s6, exec_lo, s7
; %bb.30:                               ;   in Loop: Header=BB57_10 Depth=3
	v_mov_b32_e32 v2, v1
	ds_store_b64 v60, v[1:2] offset:4224
; %bb.31:                               ;   in Loop: Header=BB57_10 Depth=3
	s_wait_alu 0xfffe
	s_and_not1_saveexec_b32 s6, s6
; %bb.32:                               ;   in Loop: Header=BB57_10 Depth=3
	v_mov_b32_e32 v2, v65
	ds_store_b64 v60, v[1:2] offset:4224
; %bb.33:                               ;   in Loop: Header=BB57_10 Depth=3
	s_wait_alu 0xfffe
	s_or_b32 exec_lo, exec_lo, s6
.LBB57_34:                              ;   in Loop: Header=BB57_10 Depth=3
	s_wait_alu 0xfffe
	s_or_b32 exec_lo, exec_lo, s5
	v_add_co_u32 v51, s5, v0, s16
	s_wait_alu 0xf1ff
	v_add_co_ci_u32_e64 v52, null, 0, s17, s5
	v_add_co_u32 v53, s6, v41, v7
	v_mov_b32_e32 v55, 0
	s_delay_alu instid0(VALU_DEP_3)
	v_cmp_le_i64_e64 s5, s[40:41], v[51:52]
	v_mov_b32_e32 v56, 0
	s_wait_alu 0xf1ff
	v_add_co_ci_u32_e64 v54, null, v42, v8, s6
	s_nor_b32 s7, s5, s1
	s_wait_alu 0xfffe
	s_and_saveexec_b32 s6, s7
	s_cbranch_execz .LBB57_36
; %bb.35:                               ;   in Loop: Header=BB57_10 Depth=3
	global_load_b64 v[55:56], v[53:54], off offset:-128
.LBB57_36:                              ;   in Loop: Header=BB57_10 Depth=3
	s_wait_alu 0xfffe
	s_or_b32 exec_lo, exec_lo, s6
	s_nor_b32 s5, s5, s2
	s_wait_loadcnt 0x0
	ds_store_b64 v61, v[55:56]
	s_wait_alu 0xfffe
	s_and_saveexec_b32 s6, s5
	s_wait_alu 0xfffe
	s_xor_b32 s5, exec_lo, s6
	s_cbranch_execz .LBB57_38
; %bb.37:                               ;   in Loop: Header=BB57_10 Depth=3
	global_load_b64 v[53:54], v[53:54], off
	s_wait_loadcnt 0x0
	ds_store_b64 v61, v[53:54] offset:128
.LBB57_38:                              ;   in Loop: Header=BB57_10 Depth=3
	s_wait_alu 0xfffe
	s_and_not1_saveexec_b32 s5, s5
; %bb.39:                               ;   in Loop: Header=BB57_10 Depth=3
	v_mov_b32_e32 v2, v1
	ds_store_b64 v61, v[1:2] offset:128
; %bb.40:                               ;   in Loop: Header=BB57_10 Depth=3
	s_wait_alu 0xfffe
	s_or_b32 exec_lo, exec_lo, s5
	v_cmp_le_i64_e64 s5, s[44:45], v[51:52]
	v_add_co_u32 v51, s6, v41, v3
	v_mov_b32_e32 v53, 0
	v_mov_b32_e32 v54, 0
	s_wait_alu 0xf1ff
	v_add_co_ci_u32_e64 v52, null, v42, v4, s6
	s_nor_b32 s7, s5, s1
	s_wait_alu 0xfffe
	s_and_saveexec_b32 s6, s7
	s_cbranch_execz .LBB57_42
; %bb.41:                               ;   in Loop: Header=BB57_10 Depth=3
	global_load_b64 v[53:54], v[51:52], off offset:-128
.LBB57_42:                              ;   in Loop: Header=BB57_10 Depth=3
	s_wait_alu 0xfffe
	s_or_b32 exec_lo, exec_lo, s6
	s_nor_b32 s5, s5, s2
	s_wait_loadcnt 0x0
	ds_store_b64 v61, v[53:54] offset:4096
	s_wait_alu 0xfffe
	s_and_saveexec_b32 s6, s5
	s_wait_alu 0xfffe
	s_xor_b32 s5, exec_lo, s6
	s_cbranch_execz .LBB57_44
; %bb.43:                               ;   in Loop: Header=BB57_10 Depth=3
	global_load_b64 v[51:52], v[51:52], off
	s_wait_loadcnt 0x0
	ds_store_b64 v61, v[51:52] offset:4224
.LBB57_44:                              ;   in Loop: Header=BB57_10 Depth=3
	s_wait_alu 0xfffe
	s_and_not1_saveexec_b32 s5, s5
	s_cbranch_execz .LBB57_9
; %bb.45:                               ;   in Loop: Header=BB57_10 Depth=3
	v_mov_b32_e32 v2, v1
	ds_store_b64 v61, v[1:2] offset:4224
	s_branch .LBB57_9
.LBB57_46:                              ;   in Loop: Header=BB57_7 Depth=2
	v_mul_lo_u32 v2, s25, v25
	s_delay_alu instid0(VALU_DEP_2) | instskip(SKIP_2) | instid1(VALU_DEP_2)
	v_mul_lo_u32 v24, s24, v26
	v_mad_co_u64_u32 v[26:27], null, s24, v25, 0
	v_cmp_gt_i32_e32 vcc_lo, s30, v25
	v_add3_u32 v27, v27, v24, v2
	s_delay_alu instid0(VALU_DEP_1) | instskip(NEXT) | instid1(VALU_DEP_1)
	v_lshlrev_b64_e32 v[26:27], 3, v[26:27]
	v_add_co_u32 v2, s4, s14, v26
	s_wait_alu 0xf1ff
	s_delay_alu instid0(VALU_DEP_2)
	v_add_co_ci_u32_e64 v24, null, s15, v27, s4
	s_and_b32 s4, s0, vcc_lo
	s_wait_alu 0xfffe
	s_and_saveexec_b32 s5, s4
	s_cbranch_execz .LBB57_48
; %bb.47:                               ;   in Loop: Header=BB57_7 Depth=2
	v_add_co_u32 v26, s4, v2, v9
	s_wait_alu 0xf1ff
	v_add_co_ci_u32_e64 v27, null, v24, v10, s4
	global_load_b64 v[28:29], v[26:27], off
	s_wait_loadcnt 0x0
	v_fma_f64 v[28:29], s[36:37], v[49:50], v[28:29]
	global_store_b64 v[26:27], v[28:29], off
.LBB57_48:                              ;   in Loop: Header=BB57_7 Depth=2
	s_wait_alu 0xfffe
	s_or_b32 exec_lo, exec_lo, s5
	s_and_b32 s5, s3, vcc_lo
	s_wait_alu 0xfffe
	s_and_saveexec_b32 s4, s5
	s_cbranch_execz .LBB57_50
; %bb.49:                               ;   in Loop: Header=BB57_7 Depth=2
	v_add_co_u32 v26, vcc_lo, v2, v15
	s_wait_alu 0xfffd
	v_add_co_ci_u32_e64 v27, null, v24, v16, vcc_lo
	global_load_b64 v[28:29], v[26:27], off
	s_wait_loadcnt 0x0
	v_fma_f64 v[28:29], s[36:37], v[47:48], v[28:29]
	global_store_b64 v[26:27], v[28:29], off
.LBB57_50:                              ;   in Loop: Header=BB57_7 Depth=2
	s_wait_alu 0xfffe
	s_or_b32 exec_lo, exec_lo, s4
	v_add_nc_u32_e32 v2, 16, v25
	s_delay_alu instid0(VALU_DEP_1) | instskip(SKIP_3) | instid1(VALU_DEP_4)
	v_ashrrev_i32_e32 v26, 31, v2
	v_mul_lo_u32 v27, s25, v2
	v_mad_co_u64_u32 v[24:25], null, s24, v2, 0
	v_cmp_gt_i32_e32 vcc_lo, s30, v2
	v_mul_lo_u32 v26, s24, v26
	s_delay_alu instid0(VALU_DEP_1) | instskip(NEXT) | instid1(VALU_DEP_1)
	v_add3_u32 v25, v25, v26, v27
	v_lshlrev_b64_e32 v[24:25], 3, v[24:25]
	s_delay_alu instid0(VALU_DEP_1) | instskip(SKIP_1) | instid1(VALU_DEP_2)
	v_add_co_u32 v2, s4, s14, v24
	s_wait_alu 0xf1ff
	v_add_co_ci_u32_e64 v24, null, s15, v25, s4
	s_and_b32 s4, s0, vcc_lo
	s_wait_alu 0xfffe
	s_and_saveexec_b32 s5, s4
	s_cbranch_execz .LBB57_52
; %bb.51:                               ;   in Loop: Header=BB57_7 Depth=2
	v_add_co_u32 v25, s4, v2, v9
	s_wait_alu 0xf1ff
	v_add_co_ci_u32_e64 v26, null, v24, v10, s4
	global_load_b64 v[27:28], v[25:26], off
	s_wait_loadcnt 0x0
	v_fma_f64 v[27:28], s[36:37], v[45:46], v[27:28]
	global_store_b64 v[25:26], v[27:28], off
.LBB57_52:                              ;   in Loop: Header=BB57_7 Depth=2
	s_wait_alu 0xfffe
	s_or_b32 exec_lo, exec_lo, s5
	s_and_b32 s5, s3, vcc_lo
	s_wait_alu 0xfffe
	s_and_saveexec_b32 s4, s5
	s_cbranch_execz .LBB57_6
; %bb.53:                               ;   in Loop: Header=BB57_7 Depth=2
	v_add_co_u32 v25, vcc_lo, v2, v15
	s_wait_alu 0xfffd
	v_add_co_ci_u32_e64 v26, null, v24, v16, vcc_lo
	global_load_b64 v[27:28], v[25:26], off
	s_wait_loadcnt 0x0
	v_fma_f64 v[27:28], s[36:37], v[43:44], v[27:28]
	global_store_b64 v[25:26], v[27:28], off
	s_branch .LBB57_6
.LBB57_54:
	s_endpgm
	.section	.rodata,"a",@progbits
	.p2align	6, 0x0
	.amdhsa_kernel _ZL30rocblas_trmm_outofplace_kernelIdLi32ELi2ELb0ELb0ELb1ELb1EdKddEv17rocblas_diagonal_iiT6_lPT7_lllS4_lllPT8_llli
		.amdhsa_group_segment_fixed_size 16384
		.amdhsa_private_segment_fixed_size 0
		.amdhsa_kernarg_size 392
		.amdhsa_user_sgpr_count 2
		.amdhsa_user_sgpr_dispatch_ptr 0
		.amdhsa_user_sgpr_queue_ptr 0
		.amdhsa_user_sgpr_kernarg_segment_ptr 1
		.amdhsa_user_sgpr_dispatch_id 0
		.amdhsa_user_sgpr_private_segment_size 0
		.amdhsa_wavefront_size32 1
		.amdhsa_uses_dynamic_stack 0
		.amdhsa_enable_private_segment 0
		.amdhsa_system_sgpr_workgroup_id_x 1
		.amdhsa_system_sgpr_workgroup_id_y 1
		.amdhsa_system_sgpr_workgroup_id_z 1
		.amdhsa_system_sgpr_workgroup_info 0
		.amdhsa_system_vgpr_workitem_id 1
		.amdhsa_next_free_vgpr 85
		.amdhsa_next_free_sgpr 51
		.amdhsa_reserve_vcc 1
		.amdhsa_float_round_mode_32 0
		.amdhsa_float_round_mode_16_64 0
		.amdhsa_float_denorm_mode_32 3
		.amdhsa_float_denorm_mode_16_64 3
		.amdhsa_fp16_overflow 0
		.amdhsa_workgroup_processor_mode 1
		.amdhsa_memory_ordered 1
		.amdhsa_forward_progress 1
		.amdhsa_inst_pref_size 34
		.amdhsa_round_robin_scheduling 0
		.amdhsa_exception_fp_ieee_invalid_op 0
		.amdhsa_exception_fp_denorm_src 0
		.amdhsa_exception_fp_ieee_div_zero 0
		.amdhsa_exception_fp_ieee_overflow 0
		.amdhsa_exception_fp_ieee_underflow 0
		.amdhsa_exception_fp_ieee_inexact 0
		.amdhsa_exception_int_div_zero 0
	.end_amdhsa_kernel
	.section	.text._ZL30rocblas_trmm_outofplace_kernelIdLi32ELi2ELb0ELb0ELb1ELb1EdKddEv17rocblas_diagonal_iiT6_lPT7_lllS4_lllPT8_llli,"axG",@progbits,_ZL30rocblas_trmm_outofplace_kernelIdLi32ELi2ELb0ELb0ELb1ELb1EdKddEv17rocblas_diagonal_iiT6_lPT7_lllS4_lllPT8_llli,comdat
.Lfunc_end57:
	.size	_ZL30rocblas_trmm_outofplace_kernelIdLi32ELi2ELb0ELb0ELb1ELb1EdKddEv17rocblas_diagonal_iiT6_lPT7_lllS4_lllPT8_llli, .Lfunc_end57-_ZL30rocblas_trmm_outofplace_kernelIdLi32ELi2ELb0ELb0ELb1ELb1EdKddEv17rocblas_diagonal_iiT6_lPT7_lllS4_lllPT8_llli
                                        ; -- End function
	.set _ZL30rocblas_trmm_outofplace_kernelIdLi32ELi2ELb0ELb0ELb1ELb1EdKddEv17rocblas_diagonal_iiT6_lPT7_lllS4_lllPT8_llli.num_vgpr, 85
	.set _ZL30rocblas_trmm_outofplace_kernelIdLi32ELi2ELb0ELb0ELb1ELb1EdKddEv17rocblas_diagonal_iiT6_lPT7_lllS4_lllPT8_llli.num_agpr, 0
	.set _ZL30rocblas_trmm_outofplace_kernelIdLi32ELi2ELb0ELb0ELb1ELb1EdKddEv17rocblas_diagonal_iiT6_lPT7_lllS4_lllPT8_llli.numbered_sgpr, 51
	.set _ZL30rocblas_trmm_outofplace_kernelIdLi32ELi2ELb0ELb0ELb1ELb1EdKddEv17rocblas_diagonal_iiT6_lPT7_lllS4_lllPT8_llli.num_named_barrier, 0
	.set _ZL30rocblas_trmm_outofplace_kernelIdLi32ELi2ELb0ELb0ELb1ELb1EdKddEv17rocblas_diagonal_iiT6_lPT7_lllS4_lllPT8_llli.private_seg_size, 0
	.set _ZL30rocblas_trmm_outofplace_kernelIdLi32ELi2ELb0ELb0ELb1ELb1EdKddEv17rocblas_diagonal_iiT6_lPT7_lllS4_lllPT8_llli.uses_vcc, 1
	.set _ZL30rocblas_trmm_outofplace_kernelIdLi32ELi2ELb0ELb0ELb1ELb1EdKddEv17rocblas_diagonal_iiT6_lPT7_lllS4_lllPT8_llli.uses_flat_scratch, 0
	.set _ZL30rocblas_trmm_outofplace_kernelIdLi32ELi2ELb0ELb0ELb1ELb1EdKddEv17rocblas_diagonal_iiT6_lPT7_lllS4_lllPT8_llli.has_dyn_sized_stack, 0
	.set _ZL30rocblas_trmm_outofplace_kernelIdLi32ELi2ELb0ELb0ELb1ELb1EdKddEv17rocblas_diagonal_iiT6_lPT7_lllS4_lllPT8_llli.has_recursion, 0
	.set _ZL30rocblas_trmm_outofplace_kernelIdLi32ELi2ELb0ELb0ELb1ELb1EdKddEv17rocblas_diagonal_iiT6_lPT7_lllS4_lllPT8_llli.has_indirect_call, 0
	.section	.AMDGPU.csdata,"",@progbits
; Kernel info:
; codeLenInByte = 4324
; TotalNumSgprs: 53
; NumVgprs: 85
; ScratchSize: 0
; MemoryBound: 0
; FloatMode: 240
; IeeeMode: 1
; LDSByteSize: 16384 bytes/workgroup (compile time only)
; SGPRBlocks: 0
; VGPRBlocks: 10
; NumSGPRsForWavesPerEU: 53
; NumVGPRsForWavesPerEU: 85
; Occupancy: 16
; WaveLimiterHint : 0
; COMPUTE_PGM_RSRC2:SCRATCH_EN: 0
; COMPUTE_PGM_RSRC2:USER_SGPR: 2
; COMPUTE_PGM_RSRC2:TRAP_HANDLER: 0
; COMPUTE_PGM_RSRC2:TGID_X_EN: 1
; COMPUTE_PGM_RSRC2:TGID_Y_EN: 1
; COMPUTE_PGM_RSRC2:TGID_Z_EN: 1
; COMPUTE_PGM_RSRC2:TIDIG_COMP_CNT: 1
	.section	.text._ZL30rocblas_trmm_outofplace_kernelIdLi32ELi2ELb0ELb1ELb1ELb1EPKdS0_dEv17rocblas_diagonal_iiT6_lPT7_lllS5_lllPT8_llli,"axG",@progbits,_ZL30rocblas_trmm_outofplace_kernelIdLi32ELi2ELb0ELb1ELb1ELb1EPKdS0_dEv17rocblas_diagonal_iiT6_lPT7_lllS5_lllPT8_llli,comdat
	.globl	_ZL30rocblas_trmm_outofplace_kernelIdLi32ELi2ELb0ELb1ELb1ELb1EPKdS0_dEv17rocblas_diagonal_iiT6_lPT7_lllS5_lllPT8_llli ; -- Begin function _ZL30rocblas_trmm_outofplace_kernelIdLi32ELi2ELb0ELb1ELb1ELb1EPKdS0_dEv17rocblas_diagonal_iiT6_lPT7_lllS5_lllPT8_llli
	.p2align	8
	.type	_ZL30rocblas_trmm_outofplace_kernelIdLi32ELi2ELb0ELb1ELb1ELb1EPKdS0_dEv17rocblas_diagonal_iiT6_lPT7_lllS5_lllPT8_llli,@function
_ZL30rocblas_trmm_outofplace_kernelIdLi32ELi2ELb0ELb1ELb1ELb1EPKdS0_dEv17rocblas_diagonal_iiT6_lPT7_lllS5_lllPT8_llli: ; @_ZL30rocblas_trmm_outofplace_kernelIdLi32ELi2ELb0ELb1ELb1ELb1EPKdS0_dEv17rocblas_diagonal_iiT6_lPT7_lllS5_lllPT8_llli
; %bb.0:
	s_load_b32 s11, s[0:1], 0x80
	s_lshr_b32 s34, ttmp7, 16
	s_wait_kmcnt 0x0
	s_cmp_ge_u32 s34, s11
	s_cbranch_scc1 .LBB58_56
; %bb.1:
	s_clause 0x3
	s_load_b96 s[8:10], s[0:1], 0x0
	s_load_b256 s[36:43], s[0:1], 0x50
	s_load_b512 s[12:27], s[0:1], 0x10
	s_load_b128 s[28:31], s[0:1], 0x70
	s_add_nc_u64 s[44:45], s[0:1], 0x88
	v_and_b32_e32 v6, 0x3ff, v0
	v_bfe_u32 v52, v0, 10, 10
	s_and_b32 s33, ttmp7, 0xffff
	v_mov_b32_e32 v59, 0x3ff00000
	s_mov_b32 s35, 0
	v_lshl_add_u32 v2, ttmp9, 5, v6
	v_lshlrev_b32_e32 v0, 3, v6
	v_lshlrev_b32_e32 v53, 8, v52
	s_delay_alu instid0(VALU_DEP_3) | instskip(NEXT) | instid1(VALU_DEP_3)
	v_ashrrev_i32_e32 v3, 31, v2
	v_or_b32_e32 v54, 0x2000, v0
	s_delay_alu instid0(VALU_DEP_1)
	v_add_nc_u32_e32 v60, 0x800, v54
	s_wait_kmcnt 0x0
	s_add_co_i32 s0, s10, -1
	s_lshl_b64 s[2:3], s[42:43], 3
	s_wait_alu 0xfffe
	s_ashr_i32 s1, s0, 31
	s_add_nc_u64 s[40:41], s[40:41], s[2:3]
	s_wait_alu 0xfffe
	s_lshr_b32 s1, s1, 27
	v_sub_co_u32 v4, vcc_lo, s9, v2
	s_wait_alu 0xfffe
	s_add_co_i32 s0, s0, s1
	v_add_nc_u32_e32 v61, 0x1000, v54
	s_wait_alu 0xfffe
	s_ashr_i32 s56, s0, 5
	v_cmp_gt_i32_e64 s0, s9, v2
	s_cmp_le_i32 s33, s56
	v_add_nc_u32_e32 v62, 0x1800, v54
	s_cselect_b32 s57, -1, 0
	s_cmp_eq_u32 s8, 0x84
	s_mov_b32 s42, s10
	s_cselect_b32 s58, -1, 0
	s_ashr_i32 s2, s9, 31
	s_lshl_b32 s4, s33, 5
	v_sub_co_ci_u32_e64 v5, null, s2, v3, vcc_lo
	v_dual_mov_b32 v6, 0 :: v_dual_add_nc_u32 v57, s4, v6
	v_add_nc_u32_e32 v55, v53, v0
	v_add_nc_u32_e32 v0, 16, v2
	v_lshlrev_b64_e32 v[2:3], 3, v[2:3]
	v_add_nc_u32_e32 v58, s4, v52
	s_lshl_b64 s[4:5], s[26:27], 3
	v_cmp_gt_i64_e64 s2, 1, v[4:5]
	s_wait_alu 0xfffe
	s_add_nc_u64 s[4:5], s[24:25], s[4:5]
	v_cmp_gt_i64_e64 s3, 17, v[4:5]
	s_wait_alu 0xfffe
	v_add_co_u32 v4, vcc_lo, s4, v2
	v_add_nc_u32_e32 v56, v54, v53
	v_cmp_gt_i32_e64 s1, s9, v0
	v_ashrrev_i32_e32 v1, 31, v0
	s_wait_alu 0xfffd
	v_add_co_ci_u32_e64 v5, null, s5, v3, vcc_lo
	s_ashr_i32 s43, s10, 31
	s_lshl_b64 s[4:5], s[18:19], 3
	s_lshl_b64 s[46:47], s[20:21], 8
	;; [unrolled: 1-line block ×3, first 2 shown]
	s_add_nc_u64 s[50:51], s[42:43], -16
	s_lshl_b64 s[26:27], s[36:37], 3
	s_lshl_b64 s[18:19], s[38:39], 3
	s_wait_alu 0xfffe
	s_add_nc_u64 s[16:17], s[16:17], s[4:5]
	s_lshl_b64 s[22:23], s[22:23], 3
	s_lshl_b64 s[24:25], s[20:21], 3
	s_branch .LBB58_4
.LBB58_2:                               ;   in Loop: Header=BB58_4 Depth=1
	s_add_co_i32 s34, s34, 0x10000
	s_wait_alu 0xfffe
	s_cmp_ge_u32 s34, s11
	s_cselect_b32 s4, -1, 0
.LBB58_3:                               ;   in Loop: Header=BB58_4 Depth=1
	s_wait_alu 0xfffe
	s_and_b32 vcc_lo, exec_lo, s4
	s_wait_alu 0xfffe
	s_cbranch_vccnz .LBB58_56
.LBB58_4:                               ; =>This Loop Header: Depth=1
                                        ;     Child Loop BB58_8 Depth 2
                                        ;       Child Loop BB58_11 Depth 3
	s_mul_u64 s[4:5], s[14:15], s[34:35]
	s_wait_alu 0xfffe
	s_lshl_b64 s[4:5], s[4:5], 3
	s_wait_alu 0xfffe
	s_add_nc_u64 s[4:5], s[12:13], s[4:5]
	global_load_b64 v[8:9], v6, s[4:5]
	s_mov_b32 s4, -1
	s_wait_loadcnt 0x0
	v_cmp_eq_f64_e32 vcc_lo, 0, v[8:9]
	s_cbranch_vccnz .LBB58_3
; %bb.5:                                ;   in Loop: Header=BB58_4 Depth=1
	s_and_not1_b32 vcc_lo, exec_lo, s57
	s_wait_alu 0xfffe
	s_cbranch_vccnz .LBB58_2
; %bb.6:                                ;   in Loop: Header=BB58_4 Depth=1
	s_load_b32 s59, s[44:45], 0x4
	v_mad_co_u64_u32 v[10:11], null, s18, s34, v[4:5]
	s_mul_u64 s[4:5], s[30:31], s[34:35]
	v_mov_b32_e32 v14, v57
	s_mul_u64 s[6:7], s[22:23], s[34:35]
	s_wait_alu 0xfffe
	s_lshl_b64 s[4:5], s[4:5], 3
	s_add_nc_u64 s[52:53], s[16:17], s[6:7]
	s_wait_alu 0xfffe
	s_add_nc_u64 s[38:39], s[40:41], s[4:5]
	v_mov_b32_e32 v7, v11
	s_mov_b32 s61, s33
	s_delay_alu instid0(VALU_DEP_1)
	v_mad_co_u64_u32 v[11:12], null, s19, s34, v[7:8]
	v_mov_b32_e32 v12, v58
	s_wait_kmcnt 0x0
	s_lshl_b32 s60, s59, 5
	s_branch .LBB58_8
.LBB58_7:                               ;   in Loop: Header=BB58_8 Depth=2
	s_wait_alu 0xfffe
	s_or_b32 exec_lo, exec_lo, s4
	v_add_nc_u32_e32 v14, s60, v14
	v_add_nc_u32_e32 v12, s60, v12
	s_add_co_i32 s61, s59, s61
	s_wait_alu 0xfffe
	s_cmp_gt_i32 s61, s56
	s_cbranch_scc1 .LBB58_2
.LBB58_8:                               ;   Parent Loop BB58_4 Depth=1
                                        ; =>  This Loop Header: Depth=2
                                        ;       Child Loop BB58_11 Depth 3
	s_wait_alu 0xfffe
	s_lshl_b32 s4, s61, 5
	v_ashrrev_i32_e32 v15, 31, v14
	s_wait_alu 0xfffe
	v_add_nc_u32_e32 v16, s4, v52
	v_ashrrev_i32_e32 v13, 31, v12
	s_sub_co_i32 s62, s10, s4
	s_wait_alu 0xfffe
	s_cmp_lt_i32 s62, 1
	v_ashrrev_i32_e32 v17, 31, v16
	s_cbranch_scc1 .LBB58_47
; %bb.9:                                ;   in Loop: Header=BB58_8 Depth=2
	v_lshlrev_b64_e32 v[20:21], 3, v[12:13]
	v_lshlrev_b64_e32 v[24:25], 3, v[14:15]
	v_sub_co_u32 v18, vcc_lo, v12, v14
	s_wait_alu 0xfffd
	v_sub_co_ci_u32_e64 v19, null, v13, v15, vcc_lo
	s_delay_alu instid0(VALU_DEP_4)
	v_add_co_u32 v26, vcc_lo, 0x80, v20
	s_wait_alu 0xfffd
	v_add_co_ci_u32_e64 v27, null, 0, v21, vcc_lo
	v_add_co_u32 v28, vcc_lo, 0x80, v24
	v_mad_co_u64_u32 v[22:23], null, s26, v12, 0x80
	v_mul_lo_u32 v7, s26, v13
	v_mul_lo_u32 v30, s27, v12
	s_wait_alu 0xfffd
	v_add_co_ci_u32_e64 v29, null, 0, v25, vcc_lo
	v_mul_lo_u32 v32, s36, v27
	v_mul_lo_u32 v33, s37, v26
	v_mad_co_u64_u32 v[24:25], null, s36, v26, 0x80
	s_delay_alu instid0(VALU_DEP_4)
	v_mul_lo_u32 v34, s20, v29
	v_mul_lo_u32 v35, s21, v28
	v_mad_co_u64_u32 v[26:27], null, s20, v28, s[52:53]
	v_mad_co_u64_u32 v[28:29], null, s24, v14, s[52:53]
	v_mul_lo_u32 v36, s24, v15
	v_mul_lo_u32 v37, s25, v14
	v_add3_u32 v23, v30, v23, v7
	v_add_co_u32 v30, vcc_lo, v16, 16
	s_wait_alu 0xfffd
	v_add_co_ci_u32_e64 v31, null, 0, v17, vcc_lo
	v_add3_u32 v25, v33, v25, v32
	v_add_co_u32 v32, s5, v18, 16
	v_add3_u32 v27, v35, v27, v34
	s_wait_alu 0xf1ff
	v_add_co_ci_u32_e64 v33, null, 0, v19, s5
	v_add_co_u32 v34, s5, v18, -16
	v_mov_b32_e32 v38, 0
	v_mov_b32_e32 v42, 0
	v_cmp_le_i64_e64 s4, s[42:43], v[30:31]
	v_dual_mov_b32 v39, 0 :: v_dual_mov_b32 v40, 0
	v_dual_mov_b32 v43, 0 :: v_dual_mov_b32 v44, 0
	v_add3_u32 v29, v37, v29, v36
	s_wait_alu 0xf1ff
	v_add_co_ci_u32_e64 v35, null, -1, v19, s5
	v_mov_b32_e32 v41, 0
	v_mov_b32_e32 v45, 0
	v_dual_mov_b32 v37, v11 :: v_dual_mov_b32 v36, v10
	s_mov_b64 s[54:55], 0
	v_cmp_le_i32_e32 vcc_lo, s10, v16
	s_branch .LBB58_11
.LBB58_10:                              ;   in Loop: Header=BB58_11 Depth=3
	s_wait_alu 0xfffe
	s_or_b32 exec_lo, exec_lo, s5
	s_wait_dscnt 0x0
	s_barrier_signal -1
	s_barrier_wait -1
	global_inv scope:SCOPE_SE
	ds_load_b128 v[46:49], v53
	ds_load_2addr_b64 v[63:66], v54 offset1:16
	ds_load_b128 v[67:70], v53 offset:4096
	ds_load_b128 v[71:74], v53 offset:16
	ds_load_b128 v[75:78], v53 offset:4112
	v_add_co_u32 v36, s5, v36, s48
	s_wait_alu 0xf1ff
	v_add_co_ci_u32_e64 v37, null, s49, v37, s5
	v_add_co_u32 v26, s5, v26, s46
	s_wait_alu 0xf1ff
	v_add_co_ci_u32_e64 v27, null, s47, v27, s5
	;; [unrolled: 3-line block ×3, first 2 shown]
	s_add_nc_u64 s[54:55], s[54:55], 32
	s_wait_alu 0xfffe
	s_cmp_ge_i32 s54, s62
	s_wait_dscnt 0x3
	v_fma_f64 v[44:45], v[63:64], v[46:47], v[44:45]
	v_fma_f64 v[42:43], v[65:66], v[46:47], v[42:43]
	s_wait_dscnt 0x2
	v_fma_f64 v[46:47], v[63:64], v[67:68], v[40:41]
	v_fma_f64 v[50:51], v[65:66], v[67:68], v[38:39]
	ds_load_2addr_b64 v[38:41], v54 offset0:32 offset1:48
	s_wait_dscnt 0x0
	v_fma_f64 v[44:45], v[38:39], v[48:49], v[44:45]
	v_fma_f64 v[42:43], v[40:41], v[48:49], v[42:43]
	v_fma_f64 v[46:47], v[38:39], v[69:70], v[46:47]
	v_fma_f64 v[48:49], v[40:41], v[69:70], v[50:51]
	ds_load_2addr_b64 v[38:41], v54 offset0:64 offset1:80
	s_wait_dscnt 0x0
	v_fma_f64 v[44:45], v[38:39], v[71:72], v[44:45]
	v_fma_f64 v[42:43], v[40:41], v[71:72], v[42:43]
	v_fma_f64 v[46:47], v[38:39], v[75:76], v[46:47]
	v_fma_f64 v[48:49], v[40:41], v[75:76], v[48:49]
	ds_load_2addr_b64 v[38:41], v54 offset0:96 offset1:112
	s_wait_dscnt 0x0
	v_fma_f64 v[50:51], v[38:39], v[73:74], v[44:45]
	v_fma_f64 v[71:72], v[40:41], v[73:74], v[42:43]
	v_fma_f64 v[73:74], v[38:39], v[77:78], v[46:47]
	v_fma_f64 v[75:76], v[40:41], v[77:78], v[48:49]
	ds_load_b128 v[38:41], v53 offset:32
	ds_load_2addr_b64 v[42:45], v54 offset0:128 offset1:144
	ds_load_b128 v[46:49], v53 offset:4128
	ds_load_b128 v[63:66], v53 offset:48
	ds_load_b128 v[67:70], v53 offset:4144
	s_wait_dscnt 0x3
	v_fma_f64 v[50:51], v[42:43], v[38:39], v[50:51]
	v_fma_f64 v[38:39], v[44:45], v[38:39], v[71:72]
	s_wait_dscnt 0x2
	v_fma_f64 v[71:72], v[42:43], v[46:47], v[73:74]
	v_fma_f64 v[46:47], v[44:45], v[46:47], v[75:76]
	ds_load_2addr_b64 v[42:45], v54 offset0:160 offset1:176
	s_wait_dscnt 0x0
	v_fma_f64 v[50:51], v[42:43], v[40:41], v[50:51]
	v_fma_f64 v[73:74], v[44:45], v[40:41], v[38:39]
	v_fma_f64 v[42:43], v[42:43], v[48:49], v[71:72]
	v_fma_f64 v[44:45], v[44:45], v[48:49], v[46:47]
	ds_load_2addr_b64 v[38:41], v54 offset0:192 offset1:208
	s_wait_dscnt 0x0
	v_fma_f64 v[46:47], v[38:39], v[63:64], v[50:51]
	v_fma_f64 v[48:49], v[40:41], v[63:64], v[73:74]
	v_fma_f64 v[42:43], v[38:39], v[67:68], v[42:43]
	v_fma_f64 v[44:45], v[40:41], v[67:68], v[44:45]
	ds_load_2addr_b64 v[38:41], v54 offset0:224 offset1:240
	s_wait_dscnt 0x0
	v_fma_f64 v[50:51], v[38:39], v[65:66], v[46:47]
	v_fma_f64 v[71:72], v[40:41], v[65:66], v[48:49]
	v_fma_f64 v[73:74], v[38:39], v[69:70], v[42:43]
	v_fma_f64 v[75:76], v[40:41], v[69:70], v[44:45]
	ds_load_b128 v[38:41], v53 offset:64
	ds_load_2addr_b64 v[42:45], v60 offset1:16
	ds_load_b128 v[46:49], v53 offset:4160
	ds_load_b128 v[63:66], v53 offset:80
	ds_load_b128 v[67:70], v53 offset:4176
	s_wait_dscnt 0x3
	v_fma_f64 v[50:51], v[42:43], v[38:39], v[50:51]
	v_fma_f64 v[38:39], v[44:45], v[38:39], v[71:72]
	s_wait_dscnt 0x2
	v_fma_f64 v[71:72], v[42:43], v[46:47], v[73:74]
	v_fma_f64 v[46:47], v[44:45], v[46:47], v[75:76]
	ds_load_2addr_b64 v[42:45], v60 offset0:32 offset1:48
	s_wait_dscnt 0x0
	v_fma_f64 v[50:51], v[42:43], v[40:41], v[50:51]
	v_fma_f64 v[73:74], v[44:45], v[40:41], v[38:39]
	v_fma_f64 v[42:43], v[42:43], v[48:49], v[71:72]
	v_fma_f64 v[44:45], v[44:45], v[48:49], v[46:47]
	ds_load_2addr_b64 v[38:41], v60 offset0:64 offset1:80
	s_wait_dscnt 0x0
	v_fma_f64 v[46:47], v[38:39], v[63:64], v[50:51]
	v_fma_f64 v[48:49], v[40:41], v[63:64], v[73:74]
	v_fma_f64 v[42:43], v[38:39], v[67:68], v[42:43]
	v_fma_f64 v[44:45], v[40:41], v[67:68], v[44:45]
	ds_load_2addr_b64 v[38:41], v60 offset0:96 offset1:112
	s_wait_dscnt 0x0
	v_fma_f64 v[50:51], v[38:39], v[65:66], v[46:47]
	v_fma_f64 v[71:72], v[40:41], v[65:66], v[48:49]
	v_fma_f64 v[73:74], v[38:39], v[69:70], v[42:43]
	v_fma_f64 v[75:76], v[40:41], v[69:70], v[44:45]
	ds_load_b128 v[38:41], v53 offset:96
	ds_load_2addr_b64 v[42:45], v60 offset0:128 offset1:144
	ds_load_b128 v[46:49], v53 offset:4192
	ds_load_b128 v[63:66], v53 offset:112
	ds_load_b128 v[67:70], v53 offset:4208
	s_wait_dscnt 0x3
	v_fma_f64 v[50:51], v[42:43], v[38:39], v[50:51]
	v_fma_f64 v[38:39], v[44:45], v[38:39], v[71:72]
	s_wait_dscnt 0x2
	v_fma_f64 v[71:72], v[42:43], v[46:47], v[73:74]
	v_fma_f64 v[46:47], v[44:45], v[46:47], v[75:76]
	ds_load_2addr_b64 v[42:45], v60 offset0:160 offset1:176
	s_wait_dscnt 0x0
	v_fma_f64 v[50:51], v[42:43], v[40:41], v[50:51]
	v_fma_f64 v[73:74], v[44:45], v[40:41], v[38:39]
	v_fma_f64 v[42:43], v[42:43], v[48:49], v[71:72]
	v_fma_f64 v[44:45], v[44:45], v[48:49], v[46:47]
	ds_load_2addr_b64 v[38:41], v60 offset0:192 offset1:208
	s_wait_dscnt 0x0
	v_fma_f64 v[46:47], v[38:39], v[63:64], v[50:51]
	v_fma_f64 v[48:49], v[40:41], v[63:64], v[73:74]
	v_fma_f64 v[42:43], v[38:39], v[67:68], v[42:43]
	v_fma_f64 v[44:45], v[40:41], v[67:68], v[44:45]
	ds_load_2addr_b64 v[38:41], v60 offset0:224 offset1:240
	s_wait_dscnt 0x0
	v_fma_f64 v[50:51], v[38:39], v[65:66], v[46:47]
	v_fma_f64 v[71:72], v[40:41], v[65:66], v[48:49]
	v_fma_f64 v[73:74], v[38:39], v[69:70], v[42:43]
	v_fma_f64 v[75:76], v[40:41], v[69:70], v[44:45]
	ds_load_b128 v[38:41], v53 offset:128
	ds_load_2addr_b64 v[42:45], v61 offset1:16
	ds_load_b128 v[46:49], v53 offset:4224
	ds_load_b128 v[63:66], v53 offset:144
	ds_load_b128 v[67:70], v53 offset:4240
	s_wait_dscnt 0x3
	v_fma_f64 v[50:51], v[42:43], v[38:39], v[50:51]
	v_fma_f64 v[38:39], v[44:45], v[38:39], v[71:72]
	s_wait_dscnt 0x2
	v_fma_f64 v[71:72], v[42:43], v[46:47], v[73:74]
	v_fma_f64 v[46:47], v[44:45], v[46:47], v[75:76]
	ds_load_2addr_b64 v[42:45], v61 offset0:32 offset1:48
	s_wait_dscnt 0x0
	v_fma_f64 v[50:51], v[42:43], v[40:41], v[50:51]
	v_fma_f64 v[73:74], v[44:45], v[40:41], v[38:39]
	v_fma_f64 v[42:43], v[42:43], v[48:49], v[71:72]
	v_fma_f64 v[44:45], v[44:45], v[48:49], v[46:47]
	ds_load_2addr_b64 v[38:41], v61 offset0:64 offset1:80
	s_wait_dscnt 0x0
	v_fma_f64 v[46:47], v[38:39], v[63:64], v[50:51]
	v_fma_f64 v[48:49], v[40:41], v[63:64], v[73:74]
	v_fma_f64 v[42:43], v[38:39], v[67:68], v[42:43]
	v_fma_f64 v[44:45], v[40:41], v[67:68], v[44:45]
	ds_load_2addr_b64 v[38:41], v61 offset0:96 offset1:112
	s_wait_dscnt 0x0
	v_fma_f64 v[50:51], v[38:39], v[65:66], v[46:47]
	v_fma_f64 v[71:72], v[40:41], v[65:66], v[48:49]
	v_fma_f64 v[73:74], v[38:39], v[69:70], v[42:43]
	v_fma_f64 v[75:76], v[40:41], v[69:70], v[44:45]
	ds_load_b128 v[38:41], v53 offset:160
	ds_load_2addr_b64 v[42:45], v61 offset0:128 offset1:144
	ds_load_b128 v[46:49], v53 offset:4256
	ds_load_b128 v[63:66], v53 offset:176
	ds_load_b128 v[67:70], v53 offset:4272
	s_wait_dscnt 0x3
	v_fma_f64 v[50:51], v[42:43], v[38:39], v[50:51]
	v_fma_f64 v[38:39], v[44:45], v[38:39], v[71:72]
	s_wait_dscnt 0x2
	v_fma_f64 v[71:72], v[42:43], v[46:47], v[73:74]
	v_fma_f64 v[46:47], v[44:45], v[46:47], v[75:76]
	ds_load_2addr_b64 v[42:45], v61 offset0:160 offset1:176
	s_wait_dscnt 0x0
	v_fma_f64 v[50:51], v[42:43], v[40:41], v[50:51]
	v_fma_f64 v[73:74], v[44:45], v[40:41], v[38:39]
	v_fma_f64 v[42:43], v[42:43], v[48:49], v[71:72]
	v_fma_f64 v[44:45], v[44:45], v[48:49], v[46:47]
	ds_load_2addr_b64 v[38:41], v61 offset0:192 offset1:208
	s_wait_dscnt 0x0
	v_fma_f64 v[46:47], v[38:39], v[63:64], v[50:51]
	v_fma_f64 v[48:49], v[40:41], v[63:64], v[73:74]
	v_fma_f64 v[42:43], v[38:39], v[67:68], v[42:43]
	v_fma_f64 v[44:45], v[40:41], v[67:68], v[44:45]
	ds_load_2addr_b64 v[38:41], v61 offset0:224 offset1:240
	s_wait_dscnt 0x0
	v_fma_f64 v[50:51], v[38:39], v[65:66], v[46:47]
	v_fma_f64 v[71:72], v[40:41], v[65:66], v[48:49]
	v_fma_f64 v[73:74], v[38:39], v[69:70], v[42:43]
	v_fma_f64 v[75:76], v[40:41], v[69:70], v[44:45]
	ds_load_b128 v[38:41], v53 offset:192
	ds_load_2addr_b64 v[42:45], v62 offset1:16
	ds_load_b128 v[46:49], v53 offset:4288
	ds_load_b128 v[63:66], v53 offset:208
	ds_load_b128 v[67:70], v53 offset:4304
	s_wait_dscnt 0x3
	v_fma_f64 v[50:51], v[42:43], v[38:39], v[50:51]
	v_fma_f64 v[38:39], v[44:45], v[38:39], v[71:72]
	s_wait_dscnt 0x2
	v_fma_f64 v[71:72], v[42:43], v[46:47], v[73:74]
	v_fma_f64 v[46:47], v[44:45], v[46:47], v[75:76]
	ds_load_2addr_b64 v[42:45], v62 offset0:32 offset1:48
	s_wait_dscnt 0x0
	v_fma_f64 v[50:51], v[42:43], v[40:41], v[50:51]
	v_fma_f64 v[73:74], v[44:45], v[40:41], v[38:39]
	v_fma_f64 v[42:43], v[42:43], v[48:49], v[71:72]
	v_fma_f64 v[44:45], v[44:45], v[48:49], v[46:47]
	ds_load_2addr_b64 v[38:41], v62 offset0:64 offset1:80
	s_wait_dscnt 0x0
	v_fma_f64 v[46:47], v[38:39], v[63:64], v[50:51]
	v_fma_f64 v[48:49], v[40:41], v[63:64], v[73:74]
	;; [unrolled: 6-line block ×3, first 2 shown]
	v_fma_f64 v[73:74], v[38:39], v[69:70], v[42:43]
	v_fma_f64 v[75:76], v[40:41], v[69:70], v[44:45]
	ds_load_b128 v[38:41], v53 offset:224
	ds_load_2addr_b64 v[42:45], v62 offset0:128 offset1:144
	ds_load_b128 v[46:49], v53 offset:4320
	ds_load_b128 v[63:66], v53 offset:240
	;; [unrolled: 1-line block ×3, first 2 shown]
	s_wait_dscnt 0x3
	v_fma_f64 v[50:51], v[42:43], v[38:39], v[50:51]
	v_fma_f64 v[38:39], v[44:45], v[38:39], v[71:72]
	s_wait_dscnt 0x2
	v_fma_f64 v[71:72], v[42:43], v[46:47], v[73:74]
	v_fma_f64 v[46:47], v[44:45], v[46:47], v[75:76]
	ds_load_2addr_b64 v[42:45], v62 offset0:160 offset1:176
	s_wait_dscnt 0x0
	v_fma_f64 v[50:51], v[42:43], v[40:41], v[50:51]
	v_fma_f64 v[73:74], v[44:45], v[40:41], v[38:39]
	;; [unrolled: 1-line block ×4, first 2 shown]
	ds_load_2addr_b64 v[38:41], v62 offset0:192 offset1:208
	ds_load_2addr_b64 v[46:49], v62 offset0:224 offset1:240
	s_wait_loadcnt_dscnt 0x0
	s_barrier_signal -1
	s_barrier_wait -1
	global_inv scope:SCOPE_SE
	v_fma_f64 v[50:51], v[38:39], v[63:64], v[50:51]
	v_fma_f64 v[63:64], v[40:41], v[63:64], v[73:74]
	;; [unrolled: 1-line block ×4, first 2 shown]
	s_delay_alu instid0(VALU_DEP_4) | instskip(NEXT) | instid1(VALU_DEP_4)
	v_fma_f64 v[44:45], v[46:47], v[65:66], v[50:51]
	v_fma_f64 v[42:43], v[48:49], v[65:66], v[63:64]
	s_delay_alu instid0(VALU_DEP_4) | instskip(NEXT) | instid1(VALU_DEP_4)
	v_fma_f64 v[40:41], v[46:47], v[69:70], v[38:39]
	v_fma_f64 v[38:39], v[48:49], v[69:70], v[67:68]
	s_cbranch_scc1 .LBB58_48
.LBB58_11:                              ;   Parent Loop BB58_4 Depth=1
                                        ;     Parent Loop BB58_8 Depth=2
                                        ; =>    This Inner Loop Header: Depth=3
	s_wait_alu 0xfffe
	v_add_co_u32 v46, s5, v14, s54
	s_wait_alu 0xf1ff
	v_add_co_ci_u32_e64 v47, null, s55, v15, s5
	v_cmp_eq_u64_e64 s7, s[54:55], v[18:19]
	v_add_co_u32 v48, s8, v28, v20
	s_delay_alu instid0(VALU_DEP_3)
	v_cmp_lt_i64_e64 s5, v[46:47], v[16:17]
	v_cmp_le_i64_e64 s6, s[42:43], v[46:47]
	s_wait_alu 0xf1ff
	v_add_co_ci_u32_e64 v49, null, v29, v21, s8
	s_and_b32 s63, s58, s7
                                        ; implicit-def: $vgpr50_vgpr51
	s_or_b32 s8, vcc_lo, s5
	s_wait_alu 0xfffe
	s_or_b32 s7, s6, s8
	s_wait_alu 0xfffe
	s_nor_b32 s7, s7, s63
	s_wait_alu 0xfffe
	s_and_saveexec_b32 s8, s7
	s_wait_alu 0xfffe
	s_xor_b32 s7, exec_lo, s8
	s_cbranch_execz .LBB58_13
; %bb.12:                               ;   in Loop: Header=BB58_11 Depth=3
	global_load_b64 v[50:51], v[48:49], off
.LBB58_13:                              ;   in Loop: Header=BB58_11 Depth=3
	s_wait_alu 0xfffe
	s_and_not1_saveexec_b32 s7, s7
	s_cbranch_execz .LBB58_15
; %bb.14:                               ;   in Loop: Header=BB58_11 Depth=3
	v_cndmask_b32_e64 v7, 0, 0x3ff00000, s63
	s_wait_loadcnt 0x0
	s_delay_alu instid0(VALU_DEP_1)
	v_dual_mov_b32 v51, v7 :: v_dual_mov_b32 v50, v6
.LBB58_15:                              ;   in Loop: Header=BB58_11 Depth=3
	s_wait_alu 0xfffe
	s_or_b32 exec_lo, exec_lo, s7
	v_add_co_u32 v63, s7, v46, 16
	s_wait_alu 0xf1ff
	v_add_co_ci_u32_e64 v64, null, 0, v47, s7
	v_cmp_eq_u64_e64 s9, s[54:55], v[34:35]
	s_wait_loadcnt 0x0
	ds_store_b64 v55, v[50:51]
	v_cmp_lt_i64_e64 s8, v[63:64], v[16:17]
	v_cmp_le_i64_e64 s7, s[42:43], v[63:64]
	s_and_b32 s9, s58, s9
	s_or_b32 s8, vcc_lo, s8
	s_wait_alu 0xfffe
	s_or_b32 s8, s7, s8
	s_wait_alu 0xfffe
	s_nor_b32 s8, s8, s9
	s_wait_alu 0xfffe
	s_and_saveexec_b32 s64, s8
	s_delay_alu instid0(SALU_CYCLE_1)
	s_xor_b32 s64, exec_lo, s64
	s_cbranch_execz .LBB58_17
; %bb.16:                               ;   in Loop: Header=BB58_11 Depth=3
	v_add_co_u32 v50, s8, v26, v20
	s_wait_alu 0xf1ff
	v_add_co_ci_u32_e64 v51, null, v27, v21, s8
	global_load_b64 v[50:51], v[50:51], off
	s_wait_loadcnt 0x0
	ds_store_b64 v55, v[50:51] offset:128
.LBB58_17:                              ;   in Loop: Header=BB58_11 Depth=3
	s_and_not1_saveexec_b32 s8, s64
	s_cbranch_execz .LBB58_23
; %bb.18:                               ;   in Loop: Header=BB58_11 Depth=3
	s_xor_b32 s9, s9, -1
	s_wait_alu 0xfffe
	s_and_saveexec_b32 s64, s9
	s_delay_alu instid0(SALU_CYCLE_1)
	s_xor_b32 s9, exec_lo, s64
; %bb.19:                               ;   in Loop: Header=BB58_11 Depth=3
	v_mov_b32_e32 v7, v6
	ds_store_b64 v55, v[6:7] offset:128
; %bb.20:                               ;   in Loop: Header=BB58_11 Depth=3
	s_wait_alu 0xfffe
	s_and_not1_saveexec_b32 s9, s9
; %bb.21:                               ;   in Loop: Header=BB58_11 Depth=3
	v_mov_b32_e32 v7, v59
	ds_store_b64 v55, v[6:7] offset:128
; %bb.22:                               ;   in Loop: Header=BB58_11 Depth=3
	s_wait_alu 0xfffe
	s_or_b32 exec_lo, exec_lo, s9
.LBB58_23:                              ;   in Loop: Header=BB58_11 Depth=3
	s_wait_alu 0xfffe
	s_or_b32 exec_lo, exec_lo, s8
	v_cmp_eq_u64_e64 s8, s[54:55], v[32:33]
	v_cmp_lt_i64_e64 s9, v[46:47], v[30:31]
                                        ; implicit-def: $vgpr46_vgpr47
	s_and_b32 s8, s58, s8
	s_or_b32 s9, s4, s9
	s_wait_alu 0xfffe
	s_or_b32 s9, s9, s8
	s_wait_alu 0xfffe
	s_nor_b32 s6, s6, s9
	s_wait_alu 0xfffe
	s_and_saveexec_b32 s9, s6
	s_wait_alu 0xfffe
	s_xor_b32 s6, exec_lo, s9
	s_cbranch_execz .LBB58_25
; %bb.24:                               ;   in Loop: Header=BB58_11 Depth=3
	global_load_b64 v[46:47], v[48:49], off offset:128
.LBB58_25:                              ;   in Loop: Header=BB58_11 Depth=3
	s_wait_alu 0xfffe
	s_and_not1_saveexec_b32 s6, s6
	s_cbranch_execz .LBB58_27
; %bb.26:                               ;   in Loop: Header=BB58_11 Depth=3
	v_cndmask_b32_e64 v7, 0, 0x3ff00000, s8
	s_wait_loadcnt 0x0
	s_delay_alu instid0(VALU_DEP_1)
	v_dual_mov_b32 v47, v7 :: v_dual_mov_b32 v46, v6
.LBB58_27:                              ;   in Loop: Header=BB58_11 Depth=3
	s_wait_alu 0xfffe
	s_or_b32 exec_lo, exec_lo, s6
	s_or_b32 s5, s4, s5
	s_wait_loadcnt 0x0
	ds_store_b64 v55, v[46:47] offset:4096
	s_wait_alu 0xfffe
	s_or_b32 s5, s7, s5
	s_wait_alu 0xfffe
	s_nor_b32 s5, s5, s63
	s_wait_alu 0xfffe
	s_and_saveexec_b32 s6, s5
	s_wait_alu 0xfffe
	s_xor_b32 s6, exec_lo, s6
	s_cbranch_execz .LBB58_29
; %bb.28:                               ;   in Loop: Header=BB58_11 Depth=3
	v_add_co_u32 v46, s5, v26, v20
	s_wait_alu 0xf1ff
	v_add_co_ci_u32_e64 v47, null, v27, v21, s5
	global_load_b64 v[46:47], v[46:47], off offset:128
	s_wait_loadcnt 0x0
	ds_store_b64 v55, v[46:47] offset:4224
.LBB58_29:                              ;   in Loop: Header=BB58_11 Depth=3
	s_wait_alu 0xfffe
	s_and_not1_saveexec_b32 s5, s6
	s_cbranch_execz .LBB58_35
; %bb.30:                               ;   in Loop: Header=BB58_11 Depth=3
	s_xor_b32 s6, s63, -1
	s_wait_alu 0xfffe
	s_and_saveexec_b32 s7, s6
	s_wait_alu 0xfffe
	s_xor_b32 s6, exec_lo, s7
; %bb.31:                               ;   in Loop: Header=BB58_11 Depth=3
	v_mov_b32_e32 v7, v6
	ds_store_b64 v55, v[6:7] offset:4224
; %bb.32:                               ;   in Loop: Header=BB58_11 Depth=3
	s_wait_alu 0xfffe
	s_and_not1_saveexec_b32 s6, s6
; %bb.33:                               ;   in Loop: Header=BB58_11 Depth=3
	v_mov_b32_e32 v7, v59
	ds_store_b64 v55, v[6:7] offset:4224
; %bb.34:                               ;   in Loop: Header=BB58_11 Depth=3
	s_wait_alu 0xfffe
	s_or_b32 exec_lo, exec_lo, s6
.LBB58_35:                              ;   in Loop: Header=BB58_11 Depth=3
	s_wait_alu 0xfffe
	s_or_b32 exec_lo, exec_lo, s5
	v_add_co_u32 v46, s5, v12, s54
	s_wait_alu 0xf1ff
	v_add_co_ci_u32_e64 v47, null, s55, v13, s5
	v_add_co_u32 v48, s6, v36, v22
	v_mov_b32_e32 v50, 0
	s_delay_alu instid0(VALU_DEP_3)
	v_cmp_le_i64_e64 s5, s[42:43], v[46:47]
	v_mov_b32_e32 v51, 0
	s_wait_alu 0xf1ff
	v_add_co_ci_u32_e64 v49, null, v37, v23, s6
	s_nor_b32 s7, s5, s2
	s_wait_alu 0xfffe
	s_and_saveexec_b32 s6, s7
	s_cbranch_execz .LBB58_37
; %bb.36:                               ;   in Loop: Header=BB58_11 Depth=3
	global_load_b64 v[50:51], v[48:49], off offset:-128
.LBB58_37:                              ;   in Loop: Header=BB58_11 Depth=3
	s_wait_alu 0xfffe
	s_or_b32 exec_lo, exec_lo, s6
	s_nor_b32 s5, s5, s3
	s_wait_loadcnt 0x0
	ds_store_b64 v56, v[50:51]
	s_wait_alu 0xfffe
	s_and_saveexec_b32 s6, s5
	s_wait_alu 0xfffe
	s_xor_b32 s5, exec_lo, s6
	s_cbranch_execz .LBB58_39
; %bb.38:                               ;   in Loop: Header=BB58_11 Depth=3
	global_load_b64 v[48:49], v[48:49], off
	s_wait_loadcnt 0x0
	ds_store_b64 v56, v[48:49] offset:128
.LBB58_39:                              ;   in Loop: Header=BB58_11 Depth=3
	s_wait_alu 0xfffe
	s_and_not1_saveexec_b32 s5, s5
; %bb.40:                               ;   in Loop: Header=BB58_11 Depth=3
	v_mov_b32_e32 v7, v6
	ds_store_b64 v56, v[6:7] offset:128
; %bb.41:                               ;   in Loop: Header=BB58_11 Depth=3
	s_wait_alu 0xfffe
	s_or_b32 exec_lo, exec_lo, s5
	v_cmp_le_i64_e64 s5, s[50:51], v[46:47]
	v_add_co_u32 v46, s6, v36, v24
	v_mov_b32_e32 v48, 0
	v_mov_b32_e32 v49, 0
	s_wait_alu 0xf1ff
	v_add_co_ci_u32_e64 v47, null, v37, v25, s6
	s_nor_b32 s7, s5, s2
	s_wait_alu 0xfffe
	s_and_saveexec_b32 s6, s7
	s_cbranch_execz .LBB58_43
; %bb.42:                               ;   in Loop: Header=BB58_11 Depth=3
	global_load_b64 v[48:49], v[46:47], off offset:-128
.LBB58_43:                              ;   in Loop: Header=BB58_11 Depth=3
	s_wait_alu 0xfffe
	s_or_b32 exec_lo, exec_lo, s6
	s_nor_b32 s5, s5, s3
	s_wait_loadcnt 0x0
	ds_store_b64 v56, v[48:49] offset:4096
	s_wait_alu 0xfffe
	s_and_saveexec_b32 s6, s5
	s_wait_alu 0xfffe
	s_xor_b32 s5, exec_lo, s6
	s_cbranch_execz .LBB58_45
; %bb.44:                               ;   in Loop: Header=BB58_11 Depth=3
	global_load_b64 v[46:47], v[46:47], off
	s_wait_loadcnt 0x0
	ds_store_b64 v56, v[46:47] offset:4224
.LBB58_45:                              ;   in Loop: Header=BB58_11 Depth=3
	s_wait_alu 0xfffe
	s_and_not1_saveexec_b32 s5, s5
	s_cbranch_execz .LBB58_10
; %bb.46:                               ;   in Loop: Header=BB58_11 Depth=3
	v_mov_b32_e32 v7, v6
	ds_store_b64 v56, v[6:7] offset:4224
	s_branch .LBB58_10
.LBB58_47:                              ;   in Loop: Header=BB58_8 Depth=2
	v_mov_b32_e32 v44, 0
	v_dual_mov_b32 v40, 0 :: v_dual_mov_b32 v45, 0
	v_dual_mov_b32 v42, 0 :: v_dual_mov_b32 v41, 0
	;; [unrolled: 1-line block ×3, first 2 shown]
	v_mov_b32_e32 v39, 0
.LBB58_48:                              ;   in Loop: Header=BB58_8 Depth=2
	v_mul_lo_u32 v7, s29, v16
	v_mul_lo_u32 v13, s28, v17
	v_mad_co_u64_u32 v[17:18], null, s28, v16, 0
	v_cmp_gt_i32_e32 vcc_lo, s10, v16
	s_delay_alu instid0(VALU_DEP_2) | instskip(NEXT) | instid1(VALU_DEP_1)
	v_add3_u32 v18, v18, v13, v7
	v_lshlrev_b64_e32 v[17:18], 3, v[17:18]
	s_delay_alu instid0(VALU_DEP_1) | instskip(SKIP_1) | instid1(VALU_DEP_2)
	v_add_co_u32 v7, s4, s38, v17
	s_wait_alu 0xf1ff
	v_add_co_ci_u32_e64 v13, null, s39, v18, s4
	s_and_b32 s4, s0, vcc_lo
	s_wait_alu 0xfffe
	s_and_saveexec_b32 s5, s4
	s_cbranch_execz .LBB58_50
; %bb.49:                               ;   in Loop: Header=BB58_8 Depth=2
	v_add_co_u32 v17, s4, v7, v2
	s_wait_alu 0xf1ff
	v_add_co_ci_u32_e64 v18, null, v13, v3, s4
	global_load_b64 v[19:20], v[17:18], off
	s_wait_loadcnt 0x0
	v_fma_f64 v[19:20], v[8:9], v[44:45], v[19:20]
	global_store_b64 v[17:18], v[19:20], off
.LBB58_50:                              ;   in Loop: Header=BB58_8 Depth=2
	s_wait_alu 0xfffe
	s_or_b32 exec_lo, exec_lo, s5
	s_and_b32 s5, s1, vcc_lo
	s_wait_alu 0xfffe
	s_and_saveexec_b32 s4, s5
	s_cbranch_execz .LBB58_52
; %bb.51:                               ;   in Loop: Header=BB58_8 Depth=2
	v_lshlrev_b64_e32 v[17:18], 3, v[0:1]
	s_delay_alu instid0(VALU_DEP_1) | instskip(SKIP_1) | instid1(VALU_DEP_2)
	v_add_co_u32 v17, vcc_lo, v7, v17
	s_wait_alu 0xfffd
	v_add_co_ci_u32_e64 v18, null, v13, v18, vcc_lo
	global_load_b64 v[19:20], v[17:18], off
	s_wait_loadcnt 0x0
	v_fma_f64 v[19:20], v[8:9], v[42:43], v[19:20]
	global_store_b64 v[17:18], v[19:20], off
.LBB58_52:                              ;   in Loop: Header=BB58_8 Depth=2
	s_wait_alu 0xfffe
	s_or_b32 exec_lo, exec_lo, s4
	v_add_nc_u32_e32 v7, 16, v16
	s_delay_alu instid0(VALU_DEP_1) | instskip(SKIP_3) | instid1(VALU_DEP_4)
	v_ashrrev_i32_e32 v13, 31, v7
	v_mul_lo_u32 v17, s29, v7
	v_mad_co_u64_u32 v[15:16], null, s28, v7, 0
	v_cmp_gt_i32_e32 vcc_lo, s10, v7
	v_mul_lo_u32 v13, s28, v13
	s_delay_alu instid0(VALU_DEP_1) | instskip(NEXT) | instid1(VALU_DEP_1)
	v_add3_u32 v16, v16, v13, v17
	v_lshlrev_b64_e32 v[15:16], 3, v[15:16]
	s_delay_alu instid0(VALU_DEP_1) | instskip(SKIP_1) | instid1(VALU_DEP_2)
	v_add_co_u32 v7, s4, s38, v15
	s_wait_alu 0xf1ff
	v_add_co_ci_u32_e64 v13, null, s39, v16, s4
	s_and_b32 s4, s0, vcc_lo
	s_wait_alu 0xfffe
	s_and_saveexec_b32 s5, s4
	s_cbranch_execz .LBB58_54
; %bb.53:                               ;   in Loop: Header=BB58_8 Depth=2
	v_add_co_u32 v15, s4, v7, v2
	s_wait_alu 0xf1ff
	v_add_co_ci_u32_e64 v16, null, v13, v3, s4
	global_load_b64 v[17:18], v[15:16], off
	s_wait_loadcnt 0x0
	v_fma_f64 v[17:18], v[8:9], v[40:41], v[17:18]
	global_store_b64 v[15:16], v[17:18], off
.LBB58_54:                              ;   in Loop: Header=BB58_8 Depth=2
	s_wait_alu 0xfffe
	s_or_b32 exec_lo, exec_lo, s5
	s_and_b32 s5, s1, vcc_lo
	s_wait_alu 0xfffe
	s_and_saveexec_b32 s4, s5
	s_cbranch_execz .LBB58_7
; %bb.55:                               ;   in Loop: Header=BB58_8 Depth=2
	v_lshlrev_b64_e32 v[15:16], 3, v[0:1]
	s_delay_alu instid0(VALU_DEP_1) | instskip(SKIP_1) | instid1(VALU_DEP_2)
	v_add_co_u32 v15, vcc_lo, v7, v15
	s_wait_alu 0xfffd
	v_add_co_ci_u32_e64 v16, null, v13, v16, vcc_lo
	global_load_b64 v[17:18], v[15:16], off
	s_wait_loadcnt 0x0
	v_fma_f64 v[17:18], v[8:9], v[38:39], v[17:18]
	global_store_b64 v[15:16], v[17:18], off
	s_branch .LBB58_7
.LBB58_56:
	s_endpgm
	.section	.rodata,"a",@progbits
	.p2align	6, 0x0
	.amdhsa_kernel _ZL30rocblas_trmm_outofplace_kernelIdLi32ELi2ELb0ELb1ELb1ELb1EPKdS0_dEv17rocblas_diagonal_iiT6_lPT7_lllS5_lllPT8_llli
		.amdhsa_group_segment_fixed_size 16384
		.amdhsa_private_segment_fixed_size 0
		.amdhsa_kernarg_size 392
		.amdhsa_user_sgpr_count 2
		.amdhsa_user_sgpr_dispatch_ptr 0
		.amdhsa_user_sgpr_queue_ptr 0
		.amdhsa_user_sgpr_kernarg_segment_ptr 1
		.amdhsa_user_sgpr_dispatch_id 0
		.amdhsa_user_sgpr_private_segment_size 0
		.amdhsa_wavefront_size32 1
		.amdhsa_uses_dynamic_stack 0
		.amdhsa_enable_private_segment 0
		.amdhsa_system_sgpr_workgroup_id_x 1
		.amdhsa_system_sgpr_workgroup_id_y 1
		.amdhsa_system_sgpr_workgroup_id_z 1
		.amdhsa_system_sgpr_workgroup_info 0
		.amdhsa_system_vgpr_workitem_id 1
		.amdhsa_next_free_vgpr 79
		.amdhsa_next_free_sgpr 65
		.amdhsa_reserve_vcc 1
		.amdhsa_float_round_mode_32 0
		.amdhsa_float_round_mode_16_64 0
		.amdhsa_float_denorm_mode_32 3
		.amdhsa_float_denorm_mode_16_64 3
		.amdhsa_fp16_overflow 0
		.amdhsa_workgroup_processor_mode 1
		.amdhsa_memory_ordered 1
		.amdhsa_forward_progress 1
		.amdhsa_inst_pref_size 35
		.amdhsa_round_robin_scheduling 0
		.amdhsa_exception_fp_ieee_invalid_op 0
		.amdhsa_exception_fp_denorm_src 0
		.amdhsa_exception_fp_ieee_div_zero 0
		.amdhsa_exception_fp_ieee_overflow 0
		.amdhsa_exception_fp_ieee_underflow 0
		.amdhsa_exception_fp_ieee_inexact 0
		.amdhsa_exception_int_div_zero 0
	.end_amdhsa_kernel
	.section	.text._ZL30rocblas_trmm_outofplace_kernelIdLi32ELi2ELb0ELb1ELb1ELb1EPKdS0_dEv17rocblas_diagonal_iiT6_lPT7_lllS5_lllPT8_llli,"axG",@progbits,_ZL30rocblas_trmm_outofplace_kernelIdLi32ELi2ELb0ELb1ELb1ELb1EPKdS0_dEv17rocblas_diagonal_iiT6_lPT7_lllS5_lllPT8_llli,comdat
.Lfunc_end58:
	.size	_ZL30rocblas_trmm_outofplace_kernelIdLi32ELi2ELb0ELb1ELb1ELb1EPKdS0_dEv17rocblas_diagonal_iiT6_lPT7_lllS5_lllPT8_llli, .Lfunc_end58-_ZL30rocblas_trmm_outofplace_kernelIdLi32ELi2ELb0ELb1ELb1ELb1EPKdS0_dEv17rocblas_diagonal_iiT6_lPT7_lllS5_lllPT8_llli
                                        ; -- End function
	.set _ZL30rocblas_trmm_outofplace_kernelIdLi32ELi2ELb0ELb1ELb1ELb1EPKdS0_dEv17rocblas_diagonal_iiT6_lPT7_lllS5_lllPT8_llli.num_vgpr, 79
	.set _ZL30rocblas_trmm_outofplace_kernelIdLi32ELi2ELb0ELb1ELb1ELb1EPKdS0_dEv17rocblas_diagonal_iiT6_lPT7_lllS5_lllPT8_llli.num_agpr, 0
	.set _ZL30rocblas_trmm_outofplace_kernelIdLi32ELi2ELb0ELb1ELb1ELb1EPKdS0_dEv17rocblas_diagonal_iiT6_lPT7_lllS5_lllPT8_llli.numbered_sgpr, 65
	.set _ZL30rocblas_trmm_outofplace_kernelIdLi32ELi2ELb0ELb1ELb1ELb1EPKdS0_dEv17rocblas_diagonal_iiT6_lPT7_lllS5_lllPT8_llli.num_named_barrier, 0
	.set _ZL30rocblas_trmm_outofplace_kernelIdLi32ELi2ELb0ELb1ELb1ELb1EPKdS0_dEv17rocblas_diagonal_iiT6_lPT7_lllS5_lllPT8_llli.private_seg_size, 0
	.set _ZL30rocblas_trmm_outofplace_kernelIdLi32ELi2ELb0ELb1ELb1ELb1EPKdS0_dEv17rocblas_diagonal_iiT6_lPT7_lllS5_lllPT8_llli.uses_vcc, 1
	.set _ZL30rocblas_trmm_outofplace_kernelIdLi32ELi2ELb0ELb1ELb1ELb1EPKdS0_dEv17rocblas_diagonal_iiT6_lPT7_lllS5_lllPT8_llli.uses_flat_scratch, 0
	.set _ZL30rocblas_trmm_outofplace_kernelIdLi32ELi2ELb0ELb1ELb1ELb1EPKdS0_dEv17rocblas_diagonal_iiT6_lPT7_lllS5_lllPT8_llli.has_dyn_sized_stack, 0
	.set _ZL30rocblas_trmm_outofplace_kernelIdLi32ELi2ELb0ELb1ELb1ELb1EPKdS0_dEv17rocblas_diagonal_iiT6_lPT7_lllS5_lllPT8_llli.has_recursion, 0
	.set _ZL30rocblas_trmm_outofplace_kernelIdLi32ELi2ELb0ELb1ELb1ELb1EPKdS0_dEv17rocblas_diagonal_iiT6_lPT7_lllS5_lllPT8_llli.has_indirect_call, 0
	.section	.AMDGPU.csdata,"",@progbits
; Kernel info:
; codeLenInByte = 4384
; TotalNumSgprs: 67
; NumVgprs: 79
; ScratchSize: 0
; MemoryBound: 0
; FloatMode: 240
; IeeeMode: 1
; LDSByteSize: 16384 bytes/workgroup (compile time only)
; SGPRBlocks: 0
; VGPRBlocks: 9
; NumSGPRsForWavesPerEU: 67
; NumVGPRsForWavesPerEU: 79
; Occupancy: 16
; WaveLimiterHint : 0
; COMPUTE_PGM_RSRC2:SCRATCH_EN: 0
; COMPUTE_PGM_RSRC2:USER_SGPR: 2
; COMPUTE_PGM_RSRC2:TRAP_HANDLER: 0
; COMPUTE_PGM_RSRC2:TGID_X_EN: 1
; COMPUTE_PGM_RSRC2:TGID_Y_EN: 1
; COMPUTE_PGM_RSRC2:TGID_Z_EN: 1
; COMPUTE_PGM_RSRC2:TIDIG_COMP_CNT: 1
	.section	.text._ZL30rocblas_trmm_outofplace_kernelIdLi32ELi2ELb0ELb1ELb1ELb1EdKddEv17rocblas_diagonal_iiT6_lPT7_lllS4_lllPT8_llli,"axG",@progbits,_ZL30rocblas_trmm_outofplace_kernelIdLi32ELi2ELb0ELb1ELb1ELb1EdKddEv17rocblas_diagonal_iiT6_lPT7_lllS4_lllPT8_llli,comdat
	.globl	_ZL30rocblas_trmm_outofplace_kernelIdLi32ELi2ELb0ELb1ELb1ELb1EdKddEv17rocblas_diagonal_iiT6_lPT7_lllS4_lllPT8_llli ; -- Begin function _ZL30rocblas_trmm_outofplace_kernelIdLi32ELi2ELb0ELb1ELb1ELb1EdKddEv17rocblas_diagonal_iiT6_lPT7_lllS4_lllPT8_llli
	.p2align	8
	.type	_ZL30rocblas_trmm_outofplace_kernelIdLi32ELi2ELb0ELb1ELb1ELb1EdKddEv17rocblas_diagonal_iiT6_lPT7_lllS4_lllPT8_llli,@function
_ZL30rocblas_trmm_outofplace_kernelIdLi32ELi2ELb0ELb1ELb1ELb1EdKddEv17rocblas_diagonal_iiT6_lPT7_lllS4_lllPT8_llli: ; @_ZL30rocblas_trmm_outofplace_kernelIdLi32ELi2ELb0ELb1ELb1ELb1EdKddEv17rocblas_diagonal_iiT6_lPT7_lllS4_lllPT8_llli
; %bb.0:
	s_load_b32 s33, s[0:1], 0x80
	s_lshr_b32 s34, ttmp7, 16
	s_wait_kmcnt 0x0
	s_cmp_ge_u32 s34, s33
	s_cbranch_scc1 .LBB59_55
; %bb.1:
	s_load_b64 s[40:41], s[0:1], 0x10
	s_wait_kmcnt 0x0
	v_cmp_eq_f64_e64 s2, s[40:41], 0
	s_and_b32 vcc_lo, exec_lo, s2
	s_cbranch_vccnz .LBB59_55
; %bb.2:
	s_clause 0x1
	s_load_b96 s[36:38], s[0:1], 0x0
	s_load_b512 s[8:23], s[0:1], 0x20
	s_add_nc_u64 s[42:43], s[0:1], 0x88
	s_load_b256 s[24:31], s[0:1], 0x60
	v_and_b32_e32 v6, 0x3ff, v0
	s_and_b32 s39, ttmp7, 0xffff
	v_bfe_u32 v50, v0, 10, 10
	s_mov_b32 s35, 0
	v_mov_b32_e32 v57, 0x3ff00000
	v_lshl_add_u32 v2, ttmp9, 5, v6
	v_lshlrev_b32_e32 v1, 3, v6
	v_lshlrev_b32_e32 v51, 8, v50
	s_delay_alu instid0(VALU_DEP_3)
	v_ashrrev_i32_e32 v3, 31, v2
	v_add_nc_u32_e32 v0, 16, v2
	s_wait_kmcnt 0x0
	s_add_co_i32 s0, s38, -1
	v_sub_co_u32 v4, vcc_lo, s37, v2
	s_wait_alu 0xfffe
	s_ashr_i32 s1, s0, 31
	s_mov_b32 s44, s38
	s_wait_alu 0xfffe
	s_lshr_b32 s1, s1, 27
	s_wait_alu 0xfffe
	s_add_co_i32 s0, s0, s1
	v_cmp_gt_i32_e64 s1, s37, v0
	s_wait_alu 0xfffe
	s_ashr_i32 s54, s0, 5
	v_cmp_gt_i32_e64 s0, s37, v2
	s_cmp_le_i32 s39, s54
	s_cselect_b32 s55, -1, 0
	s_cmp_eq_u32 s36, 0x84
	s_cselect_b32 s56, -1, 0
	s_ashr_i32 s2, s37, 31
	s_lshl_b32 s4, s39, 5
	v_sub_co_ci_u32_e64 v5, null, s2, v3, vcc_lo
	v_lshlrev_b64_e32 v[2:3], 3, v[2:3]
	v_add_nc_u32_e32 v55, s4, v6
	v_add_nc_u32_e32 v56, s4, v50
	s_lshl_b64 s[4:5], s[18:19], 3
	v_mov_b32_e32 v6, 0
	v_or_b32_e32 v52, 0x2000, v1
	s_lshl_b64 s[2:3], s[26:27], 3
	s_wait_alu 0xfffe
	s_add_nc_u64 s[4:5], s[16:17], s[4:5]
	s_add_nc_u64 s[24:25], s[24:25], s[2:3]
	v_cmp_gt_i64_e64 s2, 1, v[4:5]
	v_cmp_gt_i64_e64 s3, 17, v[4:5]
	s_wait_alu 0xfffe
	v_add_co_u32 v4, vcc_lo, s4, v2
	v_add_nc_u32_e32 v53, v51, v1
	v_add_nc_u32_e32 v54, v52, v51
	v_ashrrev_i32_e32 v1, 31, v0
	s_wait_alu 0xfffd
	v_add_co_ci_u32_e64 v5, null, s5, v3, vcc_lo
	v_add_nc_u32_e32 v58, 0x800, v52
	v_add_nc_u32_e32 v59, 0x1000, v52
	;; [unrolled: 1-line block ×3, first 2 shown]
	s_ashr_i32 s45, s38, 31
	s_lshl_b64 s[4:5], s[10:11], 3
	s_lshl_b64 s[46:47], s[12:13], 8
	;; [unrolled: 1-line block ×3, first 2 shown]
	s_add_nc_u64 s[26:27], s[44:45], -16
	s_lshl_b64 s[18:19], s[20:21], 3
	s_lshl_b64 s[10:11], s[22:23], 3
	s_wait_alu 0xfffe
	s_add_nc_u64 s[16:17], s[8:9], s[4:5]
	s_lshl_b64 s[14:15], s[14:15], 3
	s_lshl_b64 s[22:23], s[12:13], 3
	s_branch .LBB59_4
.LBB59_3:                               ;   in Loop: Header=BB59_4 Depth=1
	s_add_co_i32 s34, s34, 0x10000
	s_wait_alu 0xfffe
	s_cmp_ge_u32 s34, s33
	s_cbranch_scc1 .LBB59_55
.LBB59_4:                               ; =>This Loop Header: Depth=1
                                        ;     Child Loop BB59_7 Depth 2
                                        ;       Child Loop BB59_10 Depth 3
	s_and_not1_b32 vcc_lo, exec_lo, s55
	s_wait_alu 0xfffe
	s_cbranch_vccnz .LBB59_3
; %bb.5:                                ;   in Loop: Header=BB59_4 Depth=1
	s_load_b32 s57, s[42:43], 0x4
	v_mad_co_u64_u32 v[8:9], null, s10, s34, v[4:5]
	s_mul_u64 s[4:5], s[30:31], s[34:35]
	v_mov_b32_e32 v12, v55
	s_mul_u64 s[6:7], s[14:15], s[34:35]
	s_wait_alu 0xfffe
	s_lshl_b64 s[4:5], s[4:5], 3
	s_add_nc_u64 s[50:51], s[16:17], s[6:7]
	s_wait_alu 0xfffe
	s_add_nc_u64 s[36:37], s[24:25], s[4:5]
	v_mov_b32_e32 v7, v9
	s_mov_b32 s59, s39
	s_delay_alu instid0(VALU_DEP_1)
	v_mad_co_u64_u32 v[9:10], null, s11, s34, v[7:8]
	v_mov_b32_e32 v10, v56
	s_wait_kmcnt 0x0
	s_lshl_b32 s58, s57, 5
	s_branch .LBB59_7
.LBB59_6:                               ;   in Loop: Header=BB59_7 Depth=2
	s_wait_alu 0xfffe
	s_or_b32 exec_lo, exec_lo, s4
	v_add_nc_u32_e32 v12, s58, v12
	v_add_nc_u32_e32 v10, s58, v10
	s_add_co_i32 s59, s57, s59
	s_wait_alu 0xfffe
	s_cmp_gt_i32 s59, s54
	s_cbranch_scc1 .LBB59_3
.LBB59_7:                               ;   Parent Loop BB59_4 Depth=1
                                        ; =>  This Loop Header: Depth=2
                                        ;       Child Loop BB59_10 Depth 3
	s_wait_alu 0xfffe
	s_lshl_b32 s4, s59, 5
	v_ashrrev_i32_e32 v13, 31, v12
	s_wait_alu 0xfffe
	v_add_nc_u32_e32 v14, s4, v50
	v_ashrrev_i32_e32 v11, 31, v10
	s_sub_co_i32 s60, s38, s4
	s_wait_alu 0xfffe
	s_cmp_lt_i32 s60, 1
	v_ashrrev_i32_e32 v15, 31, v14
	s_cbranch_scc1 .LBB59_46
; %bb.8:                                ;   in Loop: Header=BB59_7 Depth=2
	v_lshlrev_b64_e32 v[18:19], 3, v[10:11]
	v_lshlrev_b64_e32 v[22:23], 3, v[12:13]
	v_sub_co_u32 v16, vcc_lo, v10, v12
	s_wait_alu 0xfffd
	v_sub_co_ci_u32_e64 v17, null, v11, v13, vcc_lo
	s_delay_alu instid0(VALU_DEP_4)
	v_add_co_u32 v24, vcc_lo, 0x80, v18
	s_wait_alu 0xfffd
	v_add_co_ci_u32_e64 v25, null, 0, v19, vcc_lo
	v_add_co_u32 v26, vcc_lo, 0x80, v22
	v_mad_co_u64_u32 v[20:21], null, s18, v10, 0x80
	v_mul_lo_u32 v7, s18, v11
	v_mul_lo_u32 v28, s19, v10
	s_wait_alu 0xfffd
	v_add_co_ci_u32_e64 v27, null, 0, v23, vcc_lo
	v_mul_lo_u32 v30, s20, v25
	v_mul_lo_u32 v31, s21, v24
	v_mad_co_u64_u32 v[22:23], null, s20, v24, 0x80
	s_delay_alu instid0(VALU_DEP_4)
	v_mul_lo_u32 v32, s12, v27
	v_mul_lo_u32 v33, s13, v26
	v_mad_co_u64_u32 v[24:25], null, s12, v26, s[50:51]
	v_mad_co_u64_u32 v[26:27], null, s22, v12, s[50:51]
	v_mul_lo_u32 v34, s22, v13
	v_mul_lo_u32 v35, s23, v12
	v_add3_u32 v21, v28, v21, v7
	v_add_co_u32 v28, vcc_lo, v14, 16
	s_wait_alu 0xfffd
	v_add_co_ci_u32_e64 v29, null, 0, v15, vcc_lo
	v_add3_u32 v23, v31, v23, v30
	v_add_co_u32 v30, s5, v16, 16
	v_add3_u32 v25, v33, v25, v32
	s_wait_alu 0xf1ff
	v_add_co_ci_u32_e64 v31, null, 0, v17, s5
	v_add_co_u32 v32, s5, v16, -16
	v_mov_b32_e32 v36, 0
	v_mov_b32_e32 v40, 0
	v_cmp_le_i64_e64 s4, s[44:45], v[28:29]
	v_dual_mov_b32 v37, 0 :: v_dual_mov_b32 v38, 0
	v_dual_mov_b32 v41, 0 :: v_dual_mov_b32 v42, 0
	v_add3_u32 v27, v35, v27, v34
	s_wait_alu 0xf1ff
	v_add_co_ci_u32_e64 v33, null, -1, v17, s5
	v_mov_b32_e32 v39, 0
	v_mov_b32_e32 v43, 0
	v_dual_mov_b32 v35, v9 :: v_dual_mov_b32 v34, v8
	s_mov_b64 s[52:53], 0
	v_cmp_le_i32_e32 vcc_lo, s38, v14
	s_branch .LBB59_10
.LBB59_9:                               ;   in Loop: Header=BB59_10 Depth=3
	s_wait_alu 0xfffe
	s_or_b32 exec_lo, exec_lo, s5
	s_wait_dscnt 0x0
	s_barrier_signal -1
	s_barrier_wait -1
	global_inv scope:SCOPE_SE
	ds_load_b128 v[44:47], v51
	ds_load_2addr_b64 v[61:64], v52 offset1:16
	ds_load_b128 v[65:68], v51 offset:4096
	ds_load_b128 v[69:72], v51 offset:16
	;; [unrolled: 1-line block ×3, first 2 shown]
	v_add_co_u32 v34, s5, v34, s48
	s_wait_alu 0xf1ff
	v_add_co_ci_u32_e64 v35, null, s49, v35, s5
	v_add_co_u32 v24, s5, v24, s46
	s_wait_alu 0xf1ff
	v_add_co_ci_u32_e64 v25, null, s47, v25, s5
	;; [unrolled: 3-line block ×3, first 2 shown]
	s_add_nc_u64 s[52:53], s[52:53], 32
	s_wait_alu 0xfffe
	s_cmp_ge_i32 s52, s60
	s_wait_dscnt 0x3
	v_fma_f64 v[42:43], v[61:62], v[44:45], v[42:43]
	v_fma_f64 v[40:41], v[63:64], v[44:45], v[40:41]
	s_wait_dscnt 0x2
	v_fma_f64 v[44:45], v[61:62], v[65:66], v[38:39]
	v_fma_f64 v[48:49], v[63:64], v[65:66], v[36:37]
	ds_load_2addr_b64 v[36:39], v52 offset0:32 offset1:48
	s_wait_dscnt 0x0
	v_fma_f64 v[42:43], v[36:37], v[46:47], v[42:43]
	v_fma_f64 v[40:41], v[38:39], v[46:47], v[40:41]
	v_fma_f64 v[44:45], v[36:37], v[67:68], v[44:45]
	v_fma_f64 v[46:47], v[38:39], v[67:68], v[48:49]
	ds_load_2addr_b64 v[36:39], v52 offset0:64 offset1:80
	s_wait_dscnt 0x0
	v_fma_f64 v[42:43], v[36:37], v[69:70], v[42:43]
	v_fma_f64 v[40:41], v[38:39], v[69:70], v[40:41]
	v_fma_f64 v[44:45], v[36:37], v[73:74], v[44:45]
	v_fma_f64 v[46:47], v[38:39], v[73:74], v[46:47]
	ds_load_2addr_b64 v[36:39], v52 offset0:96 offset1:112
	s_wait_dscnt 0x0
	v_fma_f64 v[48:49], v[36:37], v[71:72], v[42:43]
	v_fma_f64 v[69:70], v[38:39], v[71:72], v[40:41]
	v_fma_f64 v[71:72], v[36:37], v[75:76], v[44:45]
	v_fma_f64 v[73:74], v[38:39], v[75:76], v[46:47]
	ds_load_b128 v[36:39], v51 offset:32
	ds_load_2addr_b64 v[40:43], v52 offset0:128 offset1:144
	ds_load_b128 v[44:47], v51 offset:4128
	ds_load_b128 v[61:64], v51 offset:48
	ds_load_b128 v[65:68], v51 offset:4144
	s_wait_dscnt 0x3
	v_fma_f64 v[48:49], v[40:41], v[36:37], v[48:49]
	v_fma_f64 v[36:37], v[42:43], v[36:37], v[69:70]
	s_wait_dscnt 0x2
	v_fma_f64 v[69:70], v[40:41], v[44:45], v[71:72]
	v_fma_f64 v[44:45], v[42:43], v[44:45], v[73:74]
	ds_load_2addr_b64 v[40:43], v52 offset0:160 offset1:176
	s_wait_dscnt 0x0
	v_fma_f64 v[48:49], v[40:41], v[38:39], v[48:49]
	v_fma_f64 v[71:72], v[42:43], v[38:39], v[36:37]
	v_fma_f64 v[40:41], v[40:41], v[46:47], v[69:70]
	v_fma_f64 v[42:43], v[42:43], v[46:47], v[44:45]
	ds_load_2addr_b64 v[36:39], v52 offset0:192 offset1:208
	s_wait_dscnt 0x0
	v_fma_f64 v[44:45], v[36:37], v[61:62], v[48:49]
	v_fma_f64 v[46:47], v[38:39], v[61:62], v[71:72]
	v_fma_f64 v[40:41], v[36:37], v[65:66], v[40:41]
	v_fma_f64 v[42:43], v[38:39], v[65:66], v[42:43]
	ds_load_2addr_b64 v[36:39], v52 offset0:224 offset1:240
	s_wait_dscnt 0x0
	v_fma_f64 v[48:49], v[36:37], v[63:64], v[44:45]
	v_fma_f64 v[69:70], v[38:39], v[63:64], v[46:47]
	v_fma_f64 v[71:72], v[36:37], v[67:68], v[40:41]
	v_fma_f64 v[73:74], v[38:39], v[67:68], v[42:43]
	ds_load_b128 v[36:39], v51 offset:64
	ds_load_2addr_b64 v[40:43], v58 offset1:16
	ds_load_b128 v[44:47], v51 offset:4160
	ds_load_b128 v[61:64], v51 offset:80
	ds_load_b128 v[65:68], v51 offset:4176
	s_wait_dscnt 0x3
	v_fma_f64 v[48:49], v[40:41], v[36:37], v[48:49]
	v_fma_f64 v[36:37], v[42:43], v[36:37], v[69:70]
	s_wait_dscnt 0x2
	v_fma_f64 v[69:70], v[40:41], v[44:45], v[71:72]
	v_fma_f64 v[44:45], v[42:43], v[44:45], v[73:74]
	ds_load_2addr_b64 v[40:43], v58 offset0:32 offset1:48
	s_wait_dscnt 0x0
	v_fma_f64 v[48:49], v[40:41], v[38:39], v[48:49]
	v_fma_f64 v[71:72], v[42:43], v[38:39], v[36:37]
	v_fma_f64 v[40:41], v[40:41], v[46:47], v[69:70]
	v_fma_f64 v[42:43], v[42:43], v[46:47], v[44:45]
	ds_load_2addr_b64 v[36:39], v58 offset0:64 offset1:80
	s_wait_dscnt 0x0
	v_fma_f64 v[44:45], v[36:37], v[61:62], v[48:49]
	v_fma_f64 v[46:47], v[38:39], v[61:62], v[71:72]
	v_fma_f64 v[40:41], v[36:37], v[65:66], v[40:41]
	v_fma_f64 v[42:43], v[38:39], v[65:66], v[42:43]
	ds_load_2addr_b64 v[36:39], v58 offset0:96 offset1:112
	s_wait_dscnt 0x0
	v_fma_f64 v[48:49], v[36:37], v[63:64], v[44:45]
	v_fma_f64 v[69:70], v[38:39], v[63:64], v[46:47]
	v_fma_f64 v[71:72], v[36:37], v[67:68], v[40:41]
	v_fma_f64 v[73:74], v[38:39], v[67:68], v[42:43]
	ds_load_b128 v[36:39], v51 offset:96
	ds_load_2addr_b64 v[40:43], v58 offset0:128 offset1:144
	ds_load_b128 v[44:47], v51 offset:4192
	ds_load_b128 v[61:64], v51 offset:112
	ds_load_b128 v[65:68], v51 offset:4208
	s_wait_dscnt 0x3
	v_fma_f64 v[48:49], v[40:41], v[36:37], v[48:49]
	v_fma_f64 v[36:37], v[42:43], v[36:37], v[69:70]
	s_wait_dscnt 0x2
	v_fma_f64 v[69:70], v[40:41], v[44:45], v[71:72]
	v_fma_f64 v[44:45], v[42:43], v[44:45], v[73:74]
	ds_load_2addr_b64 v[40:43], v58 offset0:160 offset1:176
	s_wait_dscnt 0x0
	v_fma_f64 v[48:49], v[40:41], v[38:39], v[48:49]
	v_fma_f64 v[71:72], v[42:43], v[38:39], v[36:37]
	v_fma_f64 v[40:41], v[40:41], v[46:47], v[69:70]
	v_fma_f64 v[42:43], v[42:43], v[46:47], v[44:45]
	ds_load_2addr_b64 v[36:39], v58 offset0:192 offset1:208
	s_wait_dscnt 0x0
	v_fma_f64 v[44:45], v[36:37], v[61:62], v[48:49]
	v_fma_f64 v[46:47], v[38:39], v[61:62], v[71:72]
	v_fma_f64 v[40:41], v[36:37], v[65:66], v[40:41]
	v_fma_f64 v[42:43], v[38:39], v[65:66], v[42:43]
	ds_load_2addr_b64 v[36:39], v58 offset0:224 offset1:240
	s_wait_dscnt 0x0
	v_fma_f64 v[48:49], v[36:37], v[63:64], v[44:45]
	v_fma_f64 v[69:70], v[38:39], v[63:64], v[46:47]
	v_fma_f64 v[71:72], v[36:37], v[67:68], v[40:41]
	v_fma_f64 v[73:74], v[38:39], v[67:68], v[42:43]
	ds_load_b128 v[36:39], v51 offset:128
	ds_load_2addr_b64 v[40:43], v59 offset1:16
	ds_load_b128 v[44:47], v51 offset:4224
	ds_load_b128 v[61:64], v51 offset:144
	ds_load_b128 v[65:68], v51 offset:4240
	;; [unrolled: 58-line block ×3, first 2 shown]
	s_wait_dscnt 0x3
	v_fma_f64 v[48:49], v[40:41], v[36:37], v[48:49]
	v_fma_f64 v[36:37], v[42:43], v[36:37], v[69:70]
	s_wait_dscnt 0x2
	v_fma_f64 v[69:70], v[40:41], v[44:45], v[71:72]
	v_fma_f64 v[44:45], v[42:43], v[44:45], v[73:74]
	ds_load_2addr_b64 v[40:43], v60 offset0:32 offset1:48
	s_wait_dscnt 0x0
	v_fma_f64 v[48:49], v[40:41], v[38:39], v[48:49]
	v_fma_f64 v[71:72], v[42:43], v[38:39], v[36:37]
	v_fma_f64 v[40:41], v[40:41], v[46:47], v[69:70]
	v_fma_f64 v[42:43], v[42:43], v[46:47], v[44:45]
	ds_load_2addr_b64 v[36:39], v60 offset0:64 offset1:80
	s_wait_dscnt 0x0
	v_fma_f64 v[44:45], v[36:37], v[61:62], v[48:49]
	v_fma_f64 v[46:47], v[38:39], v[61:62], v[71:72]
	;; [unrolled: 6-line block ×3, first 2 shown]
	v_fma_f64 v[71:72], v[36:37], v[67:68], v[40:41]
	v_fma_f64 v[73:74], v[38:39], v[67:68], v[42:43]
	ds_load_b128 v[36:39], v51 offset:224
	ds_load_2addr_b64 v[40:43], v60 offset0:128 offset1:144
	ds_load_b128 v[44:47], v51 offset:4320
	ds_load_b128 v[61:64], v51 offset:240
	;; [unrolled: 1-line block ×3, first 2 shown]
	s_wait_dscnt 0x3
	v_fma_f64 v[48:49], v[40:41], v[36:37], v[48:49]
	v_fma_f64 v[36:37], v[42:43], v[36:37], v[69:70]
	s_wait_dscnt 0x2
	v_fma_f64 v[69:70], v[40:41], v[44:45], v[71:72]
	v_fma_f64 v[44:45], v[42:43], v[44:45], v[73:74]
	ds_load_2addr_b64 v[40:43], v60 offset0:160 offset1:176
	s_wait_dscnt 0x0
	v_fma_f64 v[48:49], v[40:41], v[38:39], v[48:49]
	v_fma_f64 v[71:72], v[42:43], v[38:39], v[36:37]
	;; [unrolled: 1-line block ×4, first 2 shown]
	ds_load_2addr_b64 v[36:39], v60 offset0:192 offset1:208
	ds_load_2addr_b64 v[44:47], v60 offset0:224 offset1:240
	s_wait_loadcnt_dscnt 0x0
	s_barrier_signal -1
	s_barrier_wait -1
	global_inv scope:SCOPE_SE
	v_fma_f64 v[48:49], v[36:37], v[61:62], v[48:49]
	v_fma_f64 v[61:62], v[38:39], v[61:62], v[71:72]
	;; [unrolled: 1-line block ×4, first 2 shown]
	s_delay_alu instid0(VALU_DEP_4) | instskip(NEXT) | instid1(VALU_DEP_4)
	v_fma_f64 v[42:43], v[44:45], v[63:64], v[48:49]
	v_fma_f64 v[40:41], v[46:47], v[63:64], v[61:62]
	s_delay_alu instid0(VALU_DEP_4) | instskip(NEXT) | instid1(VALU_DEP_4)
	v_fma_f64 v[38:39], v[44:45], v[67:68], v[36:37]
	v_fma_f64 v[36:37], v[46:47], v[67:68], v[65:66]
	s_cbranch_scc1 .LBB59_47
.LBB59_10:                              ;   Parent Loop BB59_4 Depth=1
                                        ;     Parent Loop BB59_7 Depth=2
                                        ; =>    This Inner Loop Header: Depth=3
	s_wait_alu 0xfffe
	v_add_co_u32 v44, s5, v12, s52
	s_wait_alu 0xf1ff
	v_add_co_ci_u32_e64 v45, null, s53, v13, s5
	v_cmp_eq_u64_e64 s7, s[52:53], v[16:17]
	v_add_co_u32 v46, s8, v26, v18
	s_delay_alu instid0(VALU_DEP_3)
	v_cmp_lt_i64_e64 s5, v[44:45], v[14:15]
	v_cmp_le_i64_e64 s6, s[44:45], v[44:45]
	s_wait_alu 0xf1ff
	v_add_co_ci_u32_e64 v47, null, v27, v19, s8
	s_and_b32 s61, s56, s7
                                        ; implicit-def: $vgpr48_vgpr49
	s_or_b32 s8, vcc_lo, s5
	s_wait_alu 0xfffe
	s_or_b32 s7, s6, s8
	s_wait_alu 0xfffe
	s_nor_b32 s7, s7, s61
	s_wait_alu 0xfffe
	s_and_saveexec_b32 s8, s7
	s_wait_alu 0xfffe
	s_xor_b32 s7, exec_lo, s8
	s_cbranch_execz .LBB59_12
; %bb.11:                               ;   in Loop: Header=BB59_10 Depth=3
	global_load_b64 v[48:49], v[46:47], off
.LBB59_12:                              ;   in Loop: Header=BB59_10 Depth=3
	s_wait_alu 0xfffe
	s_and_not1_saveexec_b32 s7, s7
	s_cbranch_execz .LBB59_14
; %bb.13:                               ;   in Loop: Header=BB59_10 Depth=3
	v_cndmask_b32_e64 v7, 0, 0x3ff00000, s61
	s_wait_loadcnt 0x0
	s_delay_alu instid0(VALU_DEP_1)
	v_dual_mov_b32 v49, v7 :: v_dual_mov_b32 v48, v6
.LBB59_14:                              ;   in Loop: Header=BB59_10 Depth=3
	s_wait_alu 0xfffe
	s_or_b32 exec_lo, exec_lo, s7
	v_add_co_u32 v61, s7, v44, 16
	s_wait_alu 0xf1ff
	v_add_co_ci_u32_e64 v62, null, 0, v45, s7
	v_cmp_eq_u64_e64 s9, s[52:53], v[32:33]
	s_wait_loadcnt 0x0
	ds_store_b64 v53, v[48:49]
	v_cmp_lt_i64_e64 s8, v[61:62], v[14:15]
	v_cmp_le_i64_e64 s7, s[44:45], v[61:62]
	s_and_b32 s9, s56, s9
	s_or_b32 s8, vcc_lo, s8
	s_wait_alu 0xfffe
	s_or_b32 s8, s7, s8
	s_wait_alu 0xfffe
	s_nor_b32 s8, s8, s9
	s_wait_alu 0xfffe
	s_and_saveexec_b32 s62, s8
	s_delay_alu instid0(SALU_CYCLE_1)
	s_xor_b32 s62, exec_lo, s62
	s_cbranch_execz .LBB59_16
; %bb.15:                               ;   in Loop: Header=BB59_10 Depth=3
	v_add_co_u32 v48, s8, v24, v18
	s_wait_alu 0xf1ff
	v_add_co_ci_u32_e64 v49, null, v25, v19, s8
	global_load_b64 v[48:49], v[48:49], off
	s_wait_loadcnt 0x0
	ds_store_b64 v53, v[48:49] offset:128
.LBB59_16:                              ;   in Loop: Header=BB59_10 Depth=3
	s_and_not1_saveexec_b32 s8, s62
	s_cbranch_execz .LBB59_22
; %bb.17:                               ;   in Loop: Header=BB59_10 Depth=3
	s_xor_b32 s9, s9, -1
	s_wait_alu 0xfffe
	s_and_saveexec_b32 s62, s9
	s_delay_alu instid0(SALU_CYCLE_1)
	s_xor_b32 s9, exec_lo, s62
; %bb.18:                               ;   in Loop: Header=BB59_10 Depth=3
	v_mov_b32_e32 v7, v6
	ds_store_b64 v53, v[6:7] offset:128
; %bb.19:                               ;   in Loop: Header=BB59_10 Depth=3
	s_wait_alu 0xfffe
	s_and_not1_saveexec_b32 s9, s9
; %bb.20:                               ;   in Loop: Header=BB59_10 Depth=3
	v_mov_b32_e32 v7, v57
	ds_store_b64 v53, v[6:7] offset:128
; %bb.21:                               ;   in Loop: Header=BB59_10 Depth=3
	s_wait_alu 0xfffe
	s_or_b32 exec_lo, exec_lo, s9
.LBB59_22:                              ;   in Loop: Header=BB59_10 Depth=3
	s_wait_alu 0xfffe
	s_or_b32 exec_lo, exec_lo, s8
	v_cmp_eq_u64_e64 s8, s[52:53], v[30:31]
	v_cmp_lt_i64_e64 s9, v[44:45], v[28:29]
                                        ; implicit-def: $vgpr44_vgpr45
	s_and_b32 s8, s56, s8
	s_or_b32 s9, s4, s9
	s_wait_alu 0xfffe
	s_or_b32 s9, s9, s8
	s_wait_alu 0xfffe
	s_nor_b32 s6, s6, s9
	s_wait_alu 0xfffe
	s_and_saveexec_b32 s9, s6
	s_wait_alu 0xfffe
	s_xor_b32 s6, exec_lo, s9
	s_cbranch_execz .LBB59_24
; %bb.23:                               ;   in Loop: Header=BB59_10 Depth=3
	global_load_b64 v[44:45], v[46:47], off offset:128
.LBB59_24:                              ;   in Loop: Header=BB59_10 Depth=3
	s_wait_alu 0xfffe
	s_and_not1_saveexec_b32 s6, s6
	s_cbranch_execz .LBB59_26
; %bb.25:                               ;   in Loop: Header=BB59_10 Depth=3
	v_cndmask_b32_e64 v7, 0, 0x3ff00000, s8
	s_wait_loadcnt 0x0
	s_delay_alu instid0(VALU_DEP_1)
	v_dual_mov_b32 v45, v7 :: v_dual_mov_b32 v44, v6
.LBB59_26:                              ;   in Loop: Header=BB59_10 Depth=3
	s_wait_alu 0xfffe
	s_or_b32 exec_lo, exec_lo, s6
	s_or_b32 s5, s4, s5
	s_wait_loadcnt 0x0
	ds_store_b64 v53, v[44:45] offset:4096
	s_wait_alu 0xfffe
	s_or_b32 s5, s7, s5
	s_wait_alu 0xfffe
	s_nor_b32 s5, s5, s61
	s_wait_alu 0xfffe
	s_and_saveexec_b32 s6, s5
	s_wait_alu 0xfffe
	s_xor_b32 s6, exec_lo, s6
	s_cbranch_execz .LBB59_28
; %bb.27:                               ;   in Loop: Header=BB59_10 Depth=3
	v_add_co_u32 v44, s5, v24, v18
	s_wait_alu 0xf1ff
	v_add_co_ci_u32_e64 v45, null, v25, v19, s5
	global_load_b64 v[44:45], v[44:45], off offset:128
	s_wait_loadcnt 0x0
	ds_store_b64 v53, v[44:45] offset:4224
.LBB59_28:                              ;   in Loop: Header=BB59_10 Depth=3
	s_wait_alu 0xfffe
	s_and_not1_saveexec_b32 s5, s6
	s_cbranch_execz .LBB59_34
; %bb.29:                               ;   in Loop: Header=BB59_10 Depth=3
	s_xor_b32 s6, s61, -1
	s_wait_alu 0xfffe
	s_and_saveexec_b32 s7, s6
	s_wait_alu 0xfffe
	s_xor_b32 s6, exec_lo, s7
; %bb.30:                               ;   in Loop: Header=BB59_10 Depth=3
	v_mov_b32_e32 v7, v6
	ds_store_b64 v53, v[6:7] offset:4224
; %bb.31:                               ;   in Loop: Header=BB59_10 Depth=3
	s_wait_alu 0xfffe
	s_and_not1_saveexec_b32 s6, s6
; %bb.32:                               ;   in Loop: Header=BB59_10 Depth=3
	v_mov_b32_e32 v7, v57
	ds_store_b64 v53, v[6:7] offset:4224
; %bb.33:                               ;   in Loop: Header=BB59_10 Depth=3
	s_wait_alu 0xfffe
	s_or_b32 exec_lo, exec_lo, s6
.LBB59_34:                              ;   in Loop: Header=BB59_10 Depth=3
	s_wait_alu 0xfffe
	s_or_b32 exec_lo, exec_lo, s5
	v_add_co_u32 v44, s5, v10, s52
	s_wait_alu 0xf1ff
	v_add_co_ci_u32_e64 v45, null, s53, v11, s5
	v_add_co_u32 v46, s6, v34, v20
	v_mov_b32_e32 v48, 0
	s_delay_alu instid0(VALU_DEP_3)
	v_cmp_le_i64_e64 s5, s[44:45], v[44:45]
	v_mov_b32_e32 v49, 0
	s_wait_alu 0xf1ff
	v_add_co_ci_u32_e64 v47, null, v35, v21, s6
	s_nor_b32 s7, s5, s2
	s_wait_alu 0xfffe
	s_and_saveexec_b32 s6, s7
	s_cbranch_execz .LBB59_36
; %bb.35:                               ;   in Loop: Header=BB59_10 Depth=3
	global_load_b64 v[48:49], v[46:47], off offset:-128
.LBB59_36:                              ;   in Loop: Header=BB59_10 Depth=3
	s_wait_alu 0xfffe
	s_or_b32 exec_lo, exec_lo, s6
	s_nor_b32 s5, s5, s3
	s_wait_loadcnt 0x0
	ds_store_b64 v54, v[48:49]
	s_wait_alu 0xfffe
	s_and_saveexec_b32 s6, s5
	s_wait_alu 0xfffe
	s_xor_b32 s5, exec_lo, s6
	s_cbranch_execz .LBB59_38
; %bb.37:                               ;   in Loop: Header=BB59_10 Depth=3
	global_load_b64 v[46:47], v[46:47], off
	s_wait_loadcnt 0x0
	ds_store_b64 v54, v[46:47] offset:128
.LBB59_38:                              ;   in Loop: Header=BB59_10 Depth=3
	s_wait_alu 0xfffe
	s_and_not1_saveexec_b32 s5, s5
; %bb.39:                               ;   in Loop: Header=BB59_10 Depth=3
	v_mov_b32_e32 v7, v6
	ds_store_b64 v54, v[6:7] offset:128
; %bb.40:                               ;   in Loop: Header=BB59_10 Depth=3
	s_wait_alu 0xfffe
	s_or_b32 exec_lo, exec_lo, s5
	v_cmp_le_i64_e64 s5, s[26:27], v[44:45]
	v_add_co_u32 v44, s6, v34, v22
	v_mov_b32_e32 v46, 0
	v_mov_b32_e32 v47, 0
	s_wait_alu 0xf1ff
	v_add_co_ci_u32_e64 v45, null, v35, v23, s6
	s_nor_b32 s7, s5, s2
	s_wait_alu 0xfffe
	s_and_saveexec_b32 s6, s7
	s_cbranch_execz .LBB59_42
; %bb.41:                               ;   in Loop: Header=BB59_10 Depth=3
	global_load_b64 v[46:47], v[44:45], off offset:-128
.LBB59_42:                              ;   in Loop: Header=BB59_10 Depth=3
	s_wait_alu 0xfffe
	s_or_b32 exec_lo, exec_lo, s6
	s_nor_b32 s5, s5, s3
	s_wait_loadcnt 0x0
	ds_store_b64 v54, v[46:47] offset:4096
	s_wait_alu 0xfffe
	s_and_saveexec_b32 s6, s5
	s_wait_alu 0xfffe
	s_xor_b32 s5, exec_lo, s6
	s_cbranch_execz .LBB59_44
; %bb.43:                               ;   in Loop: Header=BB59_10 Depth=3
	global_load_b64 v[44:45], v[44:45], off
	s_wait_loadcnt 0x0
	ds_store_b64 v54, v[44:45] offset:4224
.LBB59_44:                              ;   in Loop: Header=BB59_10 Depth=3
	s_wait_alu 0xfffe
	s_and_not1_saveexec_b32 s5, s5
	s_cbranch_execz .LBB59_9
; %bb.45:                               ;   in Loop: Header=BB59_10 Depth=3
	v_mov_b32_e32 v7, v6
	ds_store_b64 v54, v[6:7] offset:4224
	s_branch .LBB59_9
.LBB59_46:                              ;   in Loop: Header=BB59_7 Depth=2
	v_mov_b32_e32 v42, 0
	v_dual_mov_b32 v38, 0 :: v_dual_mov_b32 v43, 0
	v_dual_mov_b32 v40, 0 :: v_dual_mov_b32 v39, 0
	;; [unrolled: 1-line block ×3, first 2 shown]
	v_mov_b32_e32 v37, 0
.LBB59_47:                              ;   in Loop: Header=BB59_7 Depth=2
	v_mul_lo_u32 v7, s29, v14
	v_mul_lo_u32 v11, s28, v15
	v_mad_co_u64_u32 v[15:16], null, s28, v14, 0
	v_cmp_gt_i32_e32 vcc_lo, s38, v14
	s_delay_alu instid0(VALU_DEP_2) | instskip(NEXT) | instid1(VALU_DEP_1)
	v_add3_u32 v16, v16, v11, v7
	v_lshlrev_b64_e32 v[15:16], 3, v[15:16]
	s_delay_alu instid0(VALU_DEP_1) | instskip(SKIP_1) | instid1(VALU_DEP_2)
	v_add_co_u32 v7, s4, s36, v15
	s_wait_alu 0xf1ff
	v_add_co_ci_u32_e64 v11, null, s37, v16, s4
	s_and_b32 s4, s0, vcc_lo
	s_wait_alu 0xfffe
	s_and_saveexec_b32 s5, s4
	s_cbranch_execz .LBB59_49
; %bb.48:                               ;   in Loop: Header=BB59_7 Depth=2
	v_add_co_u32 v15, s4, v7, v2
	s_wait_alu 0xf1ff
	v_add_co_ci_u32_e64 v16, null, v11, v3, s4
	global_load_b64 v[17:18], v[15:16], off
	s_wait_loadcnt 0x0
	v_fma_f64 v[17:18], s[40:41], v[42:43], v[17:18]
	global_store_b64 v[15:16], v[17:18], off
.LBB59_49:                              ;   in Loop: Header=BB59_7 Depth=2
	s_wait_alu 0xfffe
	s_or_b32 exec_lo, exec_lo, s5
	s_and_b32 s5, s1, vcc_lo
	s_wait_alu 0xfffe
	s_and_saveexec_b32 s4, s5
	s_cbranch_execz .LBB59_51
; %bb.50:                               ;   in Loop: Header=BB59_7 Depth=2
	v_lshlrev_b64_e32 v[15:16], 3, v[0:1]
	s_delay_alu instid0(VALU_DEP_1) | instskip(SKIP_1) | instid1(VALU_DEP_2)
	v_add_co_u32 v15, vcc_lo, v7, v15
	s_wait_alu 0xfffd
	v_add_co_ci_u32_e64 v16, null, v11, v16, vcc_lo
	global_load_b64 v[17:18], v[15:16], off
	s_wait_loadcnt 0x0
	v_fma_f64 v[17:18], s[40:41], v[40:41], v[17:18]
	global_store_b64 v[15:16], v[17:18], off
.LBB59_51:                              ;   in Loop: Header=BB59_7 Depth=2
	s_wait_alu 0xfffe
	s_or_b32 exec_lo, exec_lo, s4
	v_add_nc_u32_e32 v7, 16, v14
	s_delay_alu instid0(VALU_DEP_1) | instskip(SKIP_3) | instid1(VALU_DEP_4)
	v_ashrrev_i32_e32 v11, 31, v7
	v_mul_lo_u32 v15, s29, v7
	v_mad_co_u64_u32 v[13:14], null, s28, v7, 0
	v_cmp_gt_i32_e32 vcc_lo, s38, v7
	v_mul_lo_u32 v11, s28, v11
	s_delay_alu instid0(VALU_DEP_1) | instskip(NEXT) | instid1(VALU_DEP_1)
	v_add3_u32 v14, v14, v11, v15
	v_lshlrev_b64_e32 v[13:14], 3, v[13:14]
	s_delay_alu instid0(VALU_DEP_1) | instskip(SKIP_1) | instid1(VALU_DEP_2)
	v_add_co_u32 v7, s4, s36, v13
	s_wait_alu 0xf1ff
	v_add_co_ci_u32_e64 v11, null, s37, v14, s4
	s_and_b32 s4, s0, vcc_lo
	s_wait_alu 0xfffe
	s_and_saveexec_b32 s5, s4
	s_cbranch_execz .LBB59_53
; %bb.52:                               ;   in Loop: Header=BB59_7 Depth=2
	v_add_co_u32 v13, s4, v7, v2
	s_wait_alu 0xf1ff
	v_add_co_ci_u32_e64 v14, null, v11, v3, s4
	global_load_b64 v[15:16], v[13:14], off
	s_wait_loadcnt 0x0
	v_fma_f64 v[15:16], s[40:41], v[38:39], v[15:16]
	global_store_b64 v[13:14], v[15:16], off
.LBB59_53:                              ;   in Loop: Header=BB59_7 Depth=2
	s_wait_alu 0xfffe
	s_or_b32 exec_lo, exec_lo, s5
	s_and_b32 s5, s1, vcc_lo
	s_wait_alu 0xfffe
	s_and_saveexec_b32 s4, s5
	s_cbranch_execz .LBB59_6
; %bb.54:                               ;   in Loop: Header=BB59_7 Depth=2
	v_lshlrev_b64_e32 v[13:14], 3, v[0:1]
	s_delay_alu instid0(VALU_DEP_1) | instskip(SKIP_1) | instid1(VALU_DEP_2)
	v_add_co_u32 v13, vcc_lo, v7, v13
	s_wait_alu 0xfffd
	v_add_co_ci_u32_e64 v14, null, v11, v14, vcc_lo
	global_load_b64 v[15:16], v[13:14], off
	s_wait_loadcnt 0x0
	v_fma_f64 v[15:16], s[40:41], v[36:37], v[15:16]
	global_store_b64 v[13:14], v[15:16], off
	s_branch .LBB59_6
.LBB59_55:
	s_endpgm
	.section	.rodata,"a",@progbits
	.p2align	6, 0x0
	.amdhsa_kernel _ZL30rocblas_trmm_outofplace_kernelIdLi32ELi2ELb0ELb1ELb1ELb1EdKddEv17rocblas_diagonal_iiT6_lPT7_lllS4_lllPT8_llli
		.amdhsa_group_segment_fixed_size 16384
		.amdhsa_private_segment_fixed_size 0
		.amdhsa_kernarg_size 392
		.amdhsa_user_sgpr_count 2
		.amdhsa_user_sgpr_dispatch_ptr 0
		.amdhsa_user_sgpr_queue_ptr 0
		.amdhsa_user_sgpr_kernarg_segment_ptr 1
		.amdhsa_user_sgpr_dispatch_id 0
		.amdhsa_user_sgpr_private_segment_size 0
		.amdhsa_wavefront_size32 1
		.amdhsa_uses_dynamic_stack 0
		.amdhsa_enable_private_segment 0
		.amdhsa_system_sgpr_workgroup_id_x 1
		.amdhsa_system_sgpr_workgroup_id_y 1
		.amdhsa_system_sgpr_workgroup_id_z 1
		.amdhsa_system_sgpr_workgroup_info 0
		.amdhsa_system_vgpr_workitem_id 1
		.amdhsa_next_free_vgpr 77
		.amdhsa_next_free_sgpr 63
		.amdhsa_reserve_vcc 1
		.amdhsa_float_round_mode_32 0
		.amdhsa_float_round_mode_16_64 0
		.amdhsa_float_denorm_mode_32 3
		.amdhsa_float_denorm_mode_16_64 3
		.amdhsa_fp16_overflow 0
		.amdhsa_workgroup_processor_mode 1
		.amdhsa_memory_ordered 1
		.amdhsa_forward_progress 1
		.amdhsa_inst_pref_size 34
		.amdhsa_round_robin_scheduling 0
		.amdhsa_exception_fp_ieee_invalid_op 0
		.amdhsa_exception_fp_denorm_src 0
		.amdhsa_exception_fp_ieee_div_zero 0
		.amdhsa_exception_fp_ieee_overflow 0
		.amdhsa_exception_fp_ieee_underflow 0
		.amdhsa_exception_fp_ieee_inexact 0
		.amdhsa_exception_int_div_zero 0
	.end_amdhsa_kernel
	.section	.text._ZL30rocblas_trmm_outofplace_kernelIdLi32ELi2ELb0ELb1ELb1ELb1EdKddEv17rocblas_diagonal_iiT6_lPT7_lllS4_lllPT8_llli,"axG",@progbits,_ZL30rocblas_trmm_outofplace_kernelIdLi32ELi2ELb0ELb1ELb1ELb1EdKddEv17rocblas_diagonal_iiT6_lPT7_lllS4_lllPT8_llli,comdat
.Lfunc_end59:
	.size	_ZL30rocblas_trmm_outofplace_kernelIdLi32ELi2ELb0ELb1ELb1ELb1EdKddEv17rocblas_diagonal_iiT6_lPT7_lllS4_lllPT8_llli, .Lfunc_end59-_ZL30rocblas_trmm_outofplace_kernelIdLi32ELi2ELb0ELb1ELb1ELb1EdKddEv17rocblas_diagonal_iiT6_lPT7_lllS4_lllPT8_llli
                                        ; -- End function
	.set _ZL30rocblas_trmm_outofplace_kernelIdLi32ELi2ELb0ELb1ELb1ELb1EdKddEv17rocblas_diagonal_iiT6_lPT7_lllS4_lllPT8_llli.num_vgpr, 77
	.set _ZL30rocblas_trmm_outofplace_kernelIdLi32ELi2ELb0ELb1ELb1ELb1EdKddEv17rocblas_diagonal_iiT6_lPT7_lllS4_lllPT8_llli.num_agpr, 0
	.set _ZL30rocblas_trmm_outofplace_kernelIdLi32ELi2ELb0ELb1ELb1ELb1EdKddEv17rocblas_diagonal_iiT6_lPT7_lllS4_lllPT8_llli.numbered_sgpr, 63
	.set _ZL30rocblas_trmm_outofplace_kernelIdLi32ELi2ELb0ELb1ELb1ELb1EdKddEv17rocblas_diagonal_iiT6_lPT7_lllS4_lllPT8_llli.num_named_barrier, 0
	.set _ZL30rocblas_trmm_outofplace_kernelIdLi32ELi2ELb0ELb1ELb1ELb1EdKddEv17rocblas_diagonal_iiT6_lPT7_lllS4_lllPT8_llli.private_seg_size, 0
	.set _ZL30rocblas_trmm_outofplace_kernelIdLi32ELi2ELb0ELb1ELb1ELb1EdKddEv17rocblas_diagonal_iiT6_lPT7_lllS4_lllPT8_llli.uses_vcc, 1
	.set _ZL30rocblas_trmm_outofplace_kernelIdLi32ELi2ELb0ELb1ELb1ELb1EdKddEv17rocblas_diagonal_iiT6_lPT7_lllS4_lllPT8_llli.uses_flat_scratch, 0
	.set _ZL30rocblas_trmm_outofplace_kernelIdLi32ELi2ELb0ELb1ELb1ELb1EdKddEv17rocblas_diagonal_iiT6_lPT7_lllS4_lllPT8_llli.has_dyn_sized_stack, 0
	.set _ZL30rocblas_trmm_outofplace_kernelIdLi32ELi2ELb0ELb1ELb1ELb1EdKddEv17rocblas_diagonal_iiT6_lPT7_lllS4_lllPT8_llli.has_recursion, 0
	.set _ZL30rocblas_trmm_outofplace_kernelIdLi32ELi2ELb0ELb1ELb1ELb1EdKddEv17rocblas_diagonal_iiT6_lPT7_lllS4_lllPT8_llli.has_indirect_call, 0
	.section	.AMDGPU.csdata,"",@progbits
; Kernel info:
; codeLenInByte = 4336
; TotalNumSgprs: 65
; NumVgprs: 77
; ScratchSize: 0
; MemoryBound: 0
; FloatMode: 240
; IeeeMode: 1
; LDSByteSize: 16384 bytes/workgroup (compile time only)
; SGPRBlocks: 0
; VGPRBlocks: 9
; NumSGPRsForWavesPerEU: 65
; NumVGPRsForWavesPerEU: 77
; Occupancy: 16
; WaveLimiterHint : 0
; COMPUTE_PGM_RSRC2:SCRATCH_EN: 0
; COMPUTE_PGM_RSRC2:USER_SGPR: 2
; COMPUTE_PGM_RSRC2:TRAP_HANDLER: 0
; COMPUTE_PGM_RSRC2:TGID_X_EN: 1
; COMPUTE_PGM_RSRC2:TGID_Y_EN: 1
; COMPUTE_PGM_RSRC2:TGID_Z_EN: 1
; COMPUTE_PGM_RSRC2:TIDIG_COMP_CNT: 1
	.section	.text._ZL23rocblas_trmm_lNx_kernelILi32EdPKdS0_dEv13rocblas_fill_17rocblas_diagonal_iiT1_lPT2_llS6_llPT3_lli,"axG",@progbits,_ZL23rocblas_trmm_lNx_kernelILi32EdPKdS0_dEv13rocblas_fill_17rocblas_diagonal_iiT1_lPT2_llS6_llPT3_lli,comdat
	.globl	_ZL23rocblas_trmm_lNx_kernelILi32EdPKdS0_dEv13rocblas_fill_17rocblas_diagonal_iiT1_lPT2_llS6_llPT3_lli ; -- Begin function _ZL23rocblas_trmm_lNx_kernelILi32EdPKdS0_dEv13rocblas_fill_17rocblas_diagonal_iiT1_lPT2_llS6_llPT3_lli
	.p2align	8
	.type	_ZL23rocblas_trmm_lNx_kernelILi32EdPKdS0_dEv13rocblas_fill_17rocblas_diagonal_iiT1_lPT2_llS6_llPT3_lli,@function
_ZL23rocblas_trmm_lNx_kernelILi32EdPKdS0_dEv13rocblas_fill_17rocblas_diagonal_iiT1_lPT2_llS6_llPT3_lli: ; @_ZL23rocblas_trmm_lNx_kernelILi32EdPKdS0_dEv13rocblas_fill_17rocblas_diagonal_iiT1_lPT2_llS6_llPT3_lli
; %bb.0:
	s_load_b32 s30, s[0:1], 0x68
	s_lshr_b32 s2, ttmp7, 16
	s_wait_kmcnt 0x0
	s_cmp_ge_u32 s2, s30
	s_cbranch_scc1 .LBB60_19
; %bb.1:
	s_clause 0x1
	s_load_b128 s[20:23], s[0:1], 0x0
	s_load_b512 s[4:19], s[0:1], 0x10
	v_bfe_u32 v14, v0, 10, 10
	s_clause 0x1
	s_load_b128 s[24:27], s[0:1], 0x50
	s_load_b64 s[28:29], s[0:1], 0x60
	v_and_b32_e32 v15, 0x3ff, v0
	s_wait_kmcnt 0x0
	s_add_co_i32 s1, s23, -1
	v_mad_co_u64_u32 v[7:8], null, s16, v14, 0
	v_mad_co_u64_u32 v[1:2], null, s10, v14, 0
	v_lshlrev_b32_e32 v0, 5, v14
	v_mad_co_u64_u32 v[11:12], null, s26, v14, 0
	s_ashr_i32 s0, s1, 31
	v_mov_b32_e32 v3, v8
	v_add_lshl_u32 v4, v0, v15, 3
	v_mov_b32_e32 v0, 0
	s_lshr_b32 s3, s0, 27
	v_cmp_gt_i32_e32 vcc_lo, s22, v14
	v_mad_co_u64_u32 v[8:9], null, s11, v14, v[2:3]
	v_lshlrev_b32_e32 v5, 3, v15
	s_add_co_i32 s1, s1, s3
	v_dual_mov_b32 v9, v12 :: v_dual_add_nc_u32 v6, 0x2000, v4
	v_mad_co_u64_u32 v[12:13], null, s17, v14, v[3:4]
	s_delay_alu instid0(VALU_DEP_4)
	v_mov_b32_e32 v2, v8
	s_ashr_i32 s3, s1, 5
	s_and_not1_b32 s1, s1, 31
	v_cmp_gt_i32_e64 s0, s22, v15
	s_sub_co_i32 s1, s23, s1
	v_lshlrev_b64_e32 v[1:2], 3, v[1:2]
	s_cmp_ge_i32 ttmp9, s3
	v_mov_b32_e32 v8, v12
	s_cselect_b32 s1, s1, 32
	s_and_b32 s10, vcc_lo, s0
	v_cmp_gt_i32_e32 vcc_lo, s1, v14
	v_add_co_u32 v3, s1, s8, v1
	s_lshl_b32 s22, ttmp9, 5
	v_add_co_ci_u32_e64 v10, null, s9, v2, s1
	s_wait_alu 0xfffe
	s_ashr_i32 s23, s22, 31
	v_lshlrev_b64_e32 v[1:2], 3, v[7:8]
	s_wait_alu 0xfffe
	s_mul_u64 s[16:17], s[16:17], s[22:23]
	v_add_co_u32 v7, s1, v3, v5
	s_wait_alu 0xfffe
	s_lshl_b64 s[16:17], s[16:17], 3
	v_add_co_ci_u32_e64 v8, null, 0, v10, s1
	v_mad_co_u64_u32 v[9:10], null, s27, v14, v[9:10]
	s_wait_alu 0xfffe
	s_add_nc_u64 s[14:15], s[14:15], s[16:17]
	s_and_b32 s8, s0, vcc_lo
	v_add_co_u32 v1, vcc_lo, s14, v1
	s_mul_u64 s[22:23], s[26:27], s[22:23]
	v_add_co_ci_u32_e64 v2, null, s15, v2, vcc_lo
	s_wait_alu 0xfffe
	s_lshl_b64 s[22:23], s[22:23], 3
	v_cmp_eq_u32_e32 vcc_lo, v14, v15
	v_mov_b32_e32 v12, v9
	s_cmp_eq_u32 s21, 0x84
	v_add_co_u32 v9, s0, v1, v5
	s_wait_alu 0xf1ff
	v_add_co_ci_u32_e64 v10, null, 0, v2, s0
	s_cselect_b32 s0, -1, 0
	v_cmp_gt_u32_e64 s1, v15, v14
	s_wait_alu 0xfffe
	s_and_b32 s9, vcc_lo, s0
	v_cmp_lt_u32_e64 s0, v15, v14
	v_add_nc_u32_e32 v15, 0x1000, v5
	v_lshlrev_b64_e32 v[1:2], 3, v[11:12]
	s_add_nc_u64 s[16:17], s[24:25], s[22:23]
	v_lshl_add_u32 v11, v14, 8, 0x2000
	v_add_nc_u32_e32 v14, 0x800, v5
	v_add_nc_u32_e32 v16, 0x1800, v5
	s_cmp_lg_u32 s20, 0x79
	s_wait_alu 0xfffe
	v_add_co_u32 v1, vcc_lo, s16, v1
	s_wait_alu 0xfffd
	v_add_co_ci_u32_e64 v2, null, s17, v2, vcc_lo
	s_cselect_b32 s11, -1, 0
	v_add_co_u32 v12, vcc_lo, v1, v5
	s_wait_alu 0xfffd
	v_add_co_ci_u32_e64 v13, null, 0, v2, vcc_lo
	v_mov_b32_e32 v1, 0x3ff00000
	s_mov_b32 s3, 0
	s_branch .LBB60_4
.LBB60_2:                               ;   in Loop: Header=BB60_4 Depth=1
	s_wait_alu 0xfffe
	s_or_b32 exec_lo, exec_lo, s14
.LBB60_3:                               ;   in Loop: Header=BB60_4 Depth=1
	s_add_co_i32 s2, s2, 0x10000
	s_delay_alu instid0(SALU_CYCLE_1)
	s_cmp_lt_u32 s2, s30
	s_cbranch_scc0 .LBB60_19
.LBB60_4:                               ; =>This Inner Loop Header: Depth=1
	s_mul_u64 s[14:15], s[6:7], s[2:3]
	s_wait_alu 0xfffe
	s_lshl_b64 s[14:15], s[14:15], 3
	s_wait_alu 0xfffe
	s_add_nc_u64 s[14:15], s[4:5], s[14:15]
	global_load_b64 v[2:3], v0, s[14:15]
	s_wait_loadcnt 0x0
	v_cmp_eq_f64_e32 vcc_lo, 0, v[2:3]
	s_cbranch_vccnz .LBB60_3
; %bb.5:                                ;   in Loop: Header=BB60_4 Depth=1
	s_mov_b32 s14, s3
	s_mov_b32 s15, s3
	s_wait_alu 0xfffe
	v_dual_mov_b32 v18, s15 :: v_dual_mov_b32 v17, s14
	ds_store_b64 v4, v[17:18]
	ds_store_b64 v6, v[17:18]
	s_and_saveexec_b32 s14, s10
	s_cbranch_execnz .LBB60_10
; %bb.6:                                ;   in Loop: Header=BB60_4 Depth=1
	s_wait_alu 0xfffe
	s_or_b32 exec_lo, exec_lo, s14
	s_and_saveexec_b32 s14, s8
	s_cbranch_execnz .LBB60_11
.LBB60_7:                               ;   in Loop: Header=BB60_4 Depth=1
	s_wait_alu 0xfffe
	s_or_b32 exec_lo, exec_lo, s14
	s_and_saveexec_b32 s14, s9
	s_cbranch_execnz .LBB60_12
.LBB60_8:                               ;   in Loop: Header=BB60_4 Depth=1
	s_wait_alu 0xfffe
	s_or_b32 exec_lo, exec_lo, s14
	s_delay_alu instid0(SALU_CYCLE_1)
	s_and_b32 vcc_lo, exec_lo, s11
	s_wait_alu 0xfffe
	s_cbranch_vccz .LBB60_13
.LBB60_9:                               ;   in Loop: Header=BB60_4 Depth=1
	s_and_b32 s14, s0, exec_lo
	s_cbranch_execz .LBB60_14
	s_branch .LBB60_15
.LBB60_10:                              ;   in Loop: Header=BB60_4 Depth=1
	s_mul_u64 s[16:17], s[12:13], s[2:3]
	s_wait_alu 0xfffe
	s_lshl_b64 s[16:17], s[16:17], 3
	s_wait_alu 0xfffe
	v_add_co_u32 v17, vcc_lo, v7, s16
	s_wait_alu 0xfffd
	v_add_co_ci_u32_e64 v18, null, s17, v8, vcc_lo
	global_load_b64 v[17:18], v[17:18], off
	s_wait_loadcnt 0x0
	ds_store_b64 v4, v[17:18]
	s_or_b32 exec_lo, exec_lo, s14
	s_and_saveexec_b32 s14, s8
	s_cbranch_execz .LBB60_7
.LBB60_11:                              ;   in Loop: Header=BB60_4 Depth=1
	s_mul_u64 s[16:17], s[18:19], s[2:3]
	s_wait_alu 0xfffe
	s_lshl_b64 s[16:17], s[16:17], 3
	s_wait_alu 0xfffe
	v_add_co_u32 v17, vcc_lo, v9, s16
	s_wait_alu 0xfffd
	v_add_co_ci_u32_e64 v18, null, s17, v10, vcc_lo
	global_load_b64 v[17:18], v[17:18], off
	s_wait_loadcnt 0x0
	ds_store_b64 v6, v[17:18]
	s_or_b32 exec_lo, exec_lo, s14
	s_and_saveexec_b32 s14, s9
	s_cbranch_execz .LBB60_8
.LBB60_12:                              ;   in Loop: Header=BB60_4 Depth=1
	ds_store_b64 v4, v[0:1]
	s_wait_alu 0xfffe
	s_or_b32 exec_lo, exec_lo, s14
	s_delay_alu instid0(SALU_CYCLE_1)
	s_and_b32 vcc_lo, exec_lo, s11
	s_wait_alu 0xfffe
	s_cbranch_vccnz .LBB60_9
.LBB60_13:                              ;   in Loop: Header=BB60_4 Depth=1
	s_mov_b32 s14, 0
.LBB60_14:                              ;   in Loop: Header=BB60_4 Depth=1
	s_wait_alu 0xfffe
	s_and_not1_b32 s14, s14, exec_lo
	s_and_b32 s15, s1, exec_lo
	s_wait_alu 0xfffe
	s_or_b32 s14, s14, s15
.LBB60_15:                              ;   in Loop: Header=BB60_4 Depth=1
	s_wait_alu 0xfffe
	s_and_saveexec_b32 s15, s14
; %bb.16:                               ;   in Loop: Header=BB60_4 Depth=1
	v_dual_mov_b32 v17, v0 :: v_dual_mov_b32 v18, v0
	ds_store_b64 v4, v[17:18]
; %bb.17:                               ;   in Loop: Header=BB60_4 Depth=1
	s_wait_alu 0xfffe
	s_or_b32 exec_lo, exec_lo, s15
	s_wait_dscnt 0x0
	s_barrier_signal -1
	s_barrier_wait -1
	global_inv scope:SCOPE_SE
	s_and_saveexec_b32 s14, s8
	s_cbranch_execz .LBB60_2
; %bb.18:                               ;   in Loop: Header=BB60_4 Depth=1
	ds_load_2addr_b64 v[17:20], v5 offset1:32
	ds_load_b128 v[21:24], v11
	ds_load_b128 v[25:28], v11 offset:16
	s_mul_u64 s[16:17], s[28:29], s[2:3]
	s_wait_alu 0xfffe
	s_lshl_b64 s[16:17], s[16:17], 3
	s_wait_dscnt 0x1
	v_fma_f64 v[17:18], v[17:18], v[21:22], 0
	s_delay_alu instid0(VALU_DEP_1) | instskip(SKIP_3) | instid1(VALU_DEP_1)
	v_fma_f64 v[21:22], v[19:20], v[23:24], v[17:18]
	ds_load_2addr_b64 v[17:20], v5 offset0:64 offset1:96
	s_wait_dscnt 0x0
	v_fma_f64 v[17:18], v[17:18], v[25:26], v[21:22]
	v_fma_f64 v[29:30], v[19:20], v[27:28], v[17:18]
	ds_load_2addr_b64 v[17:20], v5 offset0:128 offset1:160
	ds_load_b128 v[21:24], v11 offset:32
	ds_load_b128 v[25:28], v11 offset:48
	s_wait_dscnt 0x1
	v_fma_f64 v[17:18], v[17:18], v[21:22], v[29:30]
	s_delay_alu instid0(VALU_DEP_1) | instskip(SKIP_3) | instid1(VALU_DEP_1)
	v_fma_f64 v[21:22], v[19:20], v[23:24], v[17:18]
	ds_load_2addr_b64 v[17:20], v5 offset0:192 offset1:224
	s_wait_dscnt 0x0
	v_fma_f64 v[17:18], v[17:18], v[25:26], v[21:22]
	v_fma_f64 v[29:30], v[19:20], v[27:28], v[17:18]
	ds_load_2addr_b64 v[17:20], v14 offset1:32
	ds_load_b128 v[21:24], v11 offset:64
	ds_load_b128 v[25:28], v11 offset:80
	s_wait_dscnt 0x1
	v_fma_f64 v[17:18], v[17:18], v[21:22], v[29:30]
	s_delay_alu instid0(VALU_DEP_1) | instskip(SKIP_3) | instid1(VALU_DEP_1)
	v_fma_f64 v[21:22], v[19:20], v[23:24], v[17:18]
	ds_load_2addr_b64 v[17:20], v14 offset0:64 offset1:96
	s_wait_dscnt 0x0
	v_fma_f64 v[17:18], v[17:18], v[25:26], v[21:22]
	v_fma_f64 v[29:30], v[19:20], v[27:28], v[17:18]
	ds_load_2addr_b64 v[17:20], v14 offset0:128 offset1:160
	ds_load_b128 v[21:24], v11 offset:96
	ds_load_b128 v[25:28], v11 offset:112
	s_wait_dscnt 0x1
	v_fma_f64 v[17:18], v[17:18], v[21:22], v[29:30]
	s_delay_alu instid0(VALU_DEP_1) | instskip(SKIP_3) | instid1(VALU_DEP_1)
	v_fma_f64 v[21:22], v[19:20], v[23:24], v[17:18]
	ds_load_2addr_b64 v[17:20], v14 offset0:192 offset1:224
	s_wait_dscnt 0x0
	v_fma_f64 v[17:18], v[17:18], v[25:26], v[21:22]
	v_fma_f64 v[29:30], v[19:20], v[27:28], v[17:18]
	ds_load_2addr_b64 v[17:20], v15 offset1:32
	ds_load_b128 v[21:24], v11 offset:128
	ds_load_b128 v[25:28], v11 offset:144
	s_wait_dscnt 0x1
	v_fma_f64 v[17:18], v[17:18], v[21:22], v[29:30]
	s_delay_alu instid0(VALU_DEP_1) | instskip(SKIP_3) | instid1(VALU_DEP_1)
	v_fma_f64 v[21:22], v[19:20], v[23:24], v[17:18]
	ds_load_2addr_b64 v[17:20], v15 offset0:64 offset1:96
	s_wait_dscnt 0x0
	v_fma_f64 v[17:18], v[17:18], v[25:26], v[21:22]
	v_fma_f64 v[29:30], v[19:20], v[27:28], v[17:18]
	ds_load_2addr_b64 v[17:20], v15 offset0:128 offset1:160
	ds_load_b128 v[21:24], v11 offset:160
	ds_load_b128 v[25:28], v11 offset:176
	s_wait_dscnt 0x1
	v_fma_f64 v[17:18], v[17:18], v[21:22], v[29:30]
	s_delay_alu instid0(VALU_DEP_1) | instskip(SKIP_3) | instid1(VALU_DEP_1)
	v_fma_f64 v[21:22], v[19:20], v[23:24], v[17:18]
	ds_load_2addr_b64 v[17:20], v15 offset0:192 offset1:224
	s_wait_dscnt 0x0
	v_fma_f64 v[17:18], v[17:18], v[25:26], v[21:22]
	v_fma_f64 v[29:30], v[19:20], v[27:28], v[17:18]
	ds_load_2addr_b64 v[17:20], v16 offset1:32
	ds_load_b128 v[21:24], v11 offset:192
	ds_load_b128 v[25:28], v11 offset:208
	s_wait_dscnt 0x1
	v_fma_f64 v[17:18], v[17:18], v[21:22], v[29:30]
	s_delay_alu instid0(VALU_DEP_1) | instskip(SKIP_3) | instid1(VALU_DEP_1)
	v_fma_f64 v[21:22], v[19:20], v[23:24], v[17:18]
	ds_load_2addr_b64 v[17:20], v16 offset0:64 offset1:96
	s_wait_dscnt 0x0
	v_fma_f64 v[17:18], v[17:18], v[25:26], v[21:22]
	v_fma_f64 v[29:30], v[19:20], v[27:28], v[17:18]
	ds_load_2addr_b64 v[17:20], v16 offset0:128 offset1:160
	ds_load_b128 v[21:24], v11 offset:224
	ds_load_b128 v[25:28], v11 offset:240
	s_wait_dscnt 0x1
	v_fma_f64 v[17:18], v[17:18], v[21:22], v[29:30]
	s_delay_alu instid0(VALU_DEP_1) | instskip(SKIP_3) | instid1(VALU_DEP_1)
	v_fma_f64 v[21:22], v[19:20], v[23:24], v[17:18]
	ds_load_2addr_b64 v[17:20], v16 offset0:192 offset1:224
	s_wait_dscnt 0x0
	v_fma_f64 v[17:18], v[17:18], v[25:26], v[21:22]
	v_fma_f64 v[17:18], v[19:20], v[27:28], v[17:18]
	s_delay_alu instid0(VALU_DEP_1)
	v_mul_f64_e32 v[2:3], v[2:3], v[17:18]
	s_wait_alu 0xfffe
	v_add_co_u32 v17, vcc_lo, v12, s16
	s_wait_alu 0xfffd
	v_add_co_ci_u32_e64 v18, null, s17, v13, vcc_lo
	global_store_b64 v[17:18], v[2:3], off
	s_branch .LBB60_2
.LBB60_19:
	s_endpgm
	.section	.rodata,"a",@progbits
	.p2align	6, 0x0
	.amdhsa_kernel _ZL23rocblas_trmm_lNx_kernelILi32EdPKdS0_dEv13rocblas_fill_17rocblas_diagonal_iiT1_lPT2_llS6_llPT3_lli
		.amdhsa_group_segment_fixed_size 16384
		.amdhsa_private_segment_fixed_size 0
		.amdhsa_kernarg_size 108
		.amdhsa_user_sgpr_count 2
		.amdhsa_user_sgpr_dispatch_ptr 0
		.amdhsa_user_sgpr_queue_ptr 0
		.amdhsa_user_sgpr_kernarg_segment_ptr 1
		.amdhsa_user_sgpr_dispatch_id 0
		.amdhsa_user_sgpr_private_segment_size 0
		.amdhsa_wavefront_size32 1
		.amdhsa_uses_dynamic_stack 0
		.amdhsa_enable_private_segment 0
		.amdhsa_system_sgpr_workgroup_id_x 1
		.amdhsa_system_sgpr_workgroup_id_y 0
		.amdhsa_system_sgpr_workgroup_id_z 1
		.amdhsa_system_sgpr_workgroup_info 0
		.amdhsa_system_vgpr_workitem_id 1
		.amdhsa_next_free_vgpr 31
		.amdhsa_next_free_sgpr 31
		.amdhsa_reserve_vcc 1
		.amdhsa_float_round_mode_32 0
		.amdhsa_float_round_mode_16_64 0
		.amdhsa_float_denorm_mode_32 3
		.amdhsa_float_denorm_mode_16_64 3
		.amdhsa_fp16_overflow 0
		.amdhsa_workgroup_processor_mode 1
		.amdhsa_memory_ordered 1
		.amdhsa_forward_progress 1
		.amdhsa_inst_pref_size 13
		.amdhsa_round_robin_scheduling 0
		.amdhsa_exception_fp_ieee_invalid_op 0
		.amdhsa_exception_fp_denorm_src 0
		.amdhsa_exception_fp_ieee_div_zero 0
		.amdhsa_exception_fp_ieee_overflow 0
		.amdhsa_exception_fp_ieee_underflow 0
		.amdhsa_exception_fp_ieee_inexact 0
		.amdhsa_exception_int_div_zero 0
	.end_amdhsa_kernel
	.section	.text._ZL23rocblas_trmm_lNx_kernelILi32EdPKdS0_dEv13rocblas_fill_17rocblas_diagonal_iiT1_lPT2_llS6_llPT3_lli,"axG",@progbits,_ZL23rocblas_trmm_lNx_kernelILi32EdPKdS0_dEv13rocblas_fill_17rocblas_diagonal_iiT1_lPT2_llS6_llPT3_lli,comdat
.Lfunc_end60:
	.size	_ZL23rocblas_trmm_lNx_kernelILi32EdPKdS0_dEv13rocblas_fill_17rocblas_diagonal_iiT1_lPT2_llS6_llPT3_lli, .Lfunc_end60-_ZL23rocblas_trmm_lNx_kernelILi32EdPKdS0_dEv13rocblas_fill_17rocblas_diagonal_iiT1_lPT2_llS6_llPT3_lli
                                        ; -- End function
	.set _ZL23rocblas_trmm_lNx_kernelILi32EdPKdS0_dEv13rocblas_fill_17rocblas_diagonal_iiT1_lPT2_llS6_llPT3_lli.num_vgpr, 31
	.set _ZL23rocblas_trmm_lNx_kernelILi32EdPKdS0_dEv13rocblas_fill_17rocblas_diagonal_iiT1_lPT2_llS6_llPT3_lli.num_agpr, 0
	.set _ZL23rocblas_trmm_lNx_kernelILi32EdPKdS0_dEv13rocblas_fill_17rocblas_diagonal_iiT1_lPT2_llS6_llPT3_lli.numbered_sgpr, 31
	.set _ZL23rocblas_trmm_lNx_kernelILi32EdPKdS0_dEv13rocblas_fill_17rocblas_diagonal_iiT1_lPT2_llS6_llPT3_lli.num_named_barrier, 0
	.set _ZL23rocblas_trmm_lNx_kernelILi32EdPKdS0_dEv13rocblas_fill_17rocblas_diagonal_iiT1_lPT2_llS6_llPT3_lli.private_seg_size, 0
	.set _ZL23rocblas_trmm_lNx_kernelILi32EdPKdS0_dEv13rocblas_fill_17rocblas_diagonal_iiT1_lPT2_llS6_llPT3_lli.uses_vcc, 1
	.set _ZL23rocblas_trmm_lNx_kernelILi32EdPKdS0_dEv13rocblas_fill_17rocblas_diagonal_iiT1_lPT2_llS6_llPT3_lli.uses_flat_scratch, 0
	.set _ZL23rocblas_trmm_lNx_kernelILi32EdPKdS0_dEv13rocblas_fill_17rocblas_diagonal_iiT1_lPT2_llS6_llPT3_lli.has_dyn_sized_stack, 0
	.set _ZL23rocblas_trmm_lNx_kernelILi32EdPKdS0_dEv13rocblas_fill_17rocblas_diagonal_iiT1_lPT2_llS6_llPT3_lli.has_recursion, 0
	.set _ZL23rocblas_trmm_lNx_kernelILi32EdPKdS0_dEv13rocblas_fill_17rocblas_diagonal_iiT1_lPT2_llS6_llPT3_lli.has_indirect_call, 0
	.section	.AMDGPU.csdata,"",@progbits
; Kernel info:
; codeLenInByte = 1644
; TotalNumSgprs: 33
; NumVgprs: 31
; ScratchSize: 0
; MemoryBound: 0
; FloatMode: 240
; IeeeMode: 1
; LDSByteSize: 16384 bytes/workgroup (compile time only)
; SGPRBlocks: 0
; VGPRBlocks: 3
; NumSGPRsForWavesPerEU: 33
; NumVGPRsForWavesPerEU: 31
; Occupancy: 16
; WaveLimiterHint : 0
; COMPUTE_PGM_RSRC2:SCRATCH_EN: 0
; COMPUTE_PGM_RSRC2:USER_SGPR: 2
; COMPUTE_PGM_RSRC2:TRAP_HANDLER: 0
; COMPUTE_PGM_RSRC2:TGID_X_EN: 1
; COMPUTE_PGM_RSRC2:TGID_Y_EN: 0
; COMPUTE_PGM_RSRC2:TGID_Z_EN: 1
; COMPUTE_PGM_RSRC2:TIDIG_COMP_CNT: 1
	.section	.text._ZL23rocblas_trmm_lNx_kernelILi32EddKddEv13rocblas_fill_17rocblas_diagonal_iiT1_lPT2_llS5_llPT3_lli,"axG",@progbits,_ZL23rocblas_trmm_lNx_kernelILi32EddKddEv13rocblas_fill_17rocblas_diagonal_iiT1_lPT2_llS5_llPT3_lli,comdat
	.globl	_ZL23rocblas_trmm_lNx_kernelILi32EddKddEv13rocblas_fill_17rocblas_diagonal_iiT1_lPT2_llS5_llPT3_lli ; -- Begin function _ZL23rocblas_trmm_lNx_kernelILi32EddKddEv13rocblas_fill_17rocblas_diagonal_iiT1_lPT2_llS5_llPT3_lli
	.p2align	8
	.type	_ZL23rocblas_trmm_lNx_kernelILi32EddKddEv13rocblas_fill_17rocblas_diagonal_iiT1_lPT2_llS5_llPT3_lli,@function
_ZL23rocblas_trmm_lNx_kernelILi32EddKddEv13rocblas_fill_17rocblas_diagonal_iiT1_lPT2_llS5_llPT3_lli: ; @_ZL23rocblas_trmm_lNx_kernelILi32EddKddEv13rocblas_fill_17rocblas_diagonal_iiT1_lPT2_llS5_llPT3_lli
; %bb.0:
	s_load_b32 s28, s[0:1], 0x68
	s_lshr_b32 s2, ttmp7, 16
	s_wait_kmcnt 0x0
	s_cmp_ge_u32 s2, s28
	s_cbranch_scc1 .LBB61_19
; %bb.1:
	s_clause 0x1
	s_load_b128 s[20:23], s[0:1], 0x0
	s_load_b512 s[4:19], s[0:1], 0x20
	v_bfe_u32 v13, v0, 10, 10
	s_clause 0x1
	s_load_b64 s[24:25], s[0:1], 0x10
	s_load_b64 s[26:27], s[0:1], 0x60
	s_wait_kmcnt 0x0
	s_add_co_i32 s0, s23, -1
	v_mad_co_u64_u32 v[9:10], null, s18, v13, 0
	v_and_b32_e32 v14, 0x3ff, v0
	v_lshlrev_b32_e32 v0, 5, v13
	v_mad_co_u64_u32 v[5:6], null, s12, v13, 0
	s_ashr_i32 s1, s0, 31
	v_cmp_gt_i32_e32 vcc_lo, s22, v13
	v_mov_b32_e32 v7, v10
	v_add_lshl_u32 v2, v0, v14, 3
	v_mad_co_u64_u32 v[0:1], null, s6, v13, 0
	s_lshr_b32 s1, s1, 27
	s_delay_alu instid0(SALU_CYCLE_1)
	s_add_co_i32 s1, s0, s1
	v_cmp_gt_i32_e64 s0, s22, v14
	s_ashr_i32 s3, s1, 5
	s_and_not1_b32 s1, s1, 31
	v_mad_co_u64_u32 v[10:11], null, s7, v13, v[1:2]
	v_mad_co_u64_u32 v[11:12], null, s13, v13, v[6:7]
	s_sub_co_i32 s1, s23, s1
	v_cmp_neq_f64_e64 s7, s[24:25], 0
	s_cmp_ge_i32 ttmp9, s3
	v_lshlrev_b32_e32 v3, 3, v14
	v_mov_b32_e32 v1, v10
	s_cselect_b32 s1, s1, 32
	v_mov_b32_e32 v6, v11
	s_lshl_b32 s22, ttmp9, 5
	v_mad_co_u64_u32 v[7:8], null, s19, v13, v[7:8]
	v_lshlrev_b64_e32 v[0:1], 3, v[0:1]
	s_and_b32 s6, vcc_lo, s0
	s_wait_alu 0xfffe
	s_ashr_i32 s23, s22, 31
	v_cmp_gt_i32_e32 vcc_lo, s1, v13
	s_wait_alu 0xfffe
	s_mul_u64 s[12:13], s[12:13], s[22:23]
	s_mul_u64 s[18:19], s[18:19], s[22:23]
	v_add_co_u32 v8, s1, s4, v0
	s_wait_alu 0xf1ff
	v_add_co_ci_u32_e64 v10, null, s5, v1, s1
	v_lshlrev_b64_e32 v[0:1], 3, v[5:6]
	s_wait_alu 0xfffe
	s_lshl_b64 s[12:13], s[12:13], 3
	v_add_co_u32 v5, s1, v8, v3
	s_wait_alu 0xfffe
	s_add_nc_u64 s[10:11], s[10:11], s[12:13]
	s_and_b32 s4, s0, vcc_lo
	v_add_co_u32 v0, vcc_lo, s10, v0
	v_add_co_ci_u32_e64 v6, null, 0, v10, s1
	v_add_co_ci_u32_e64 v1, null, s11, v1, vcc_lo
	v_mov_b32_e32 v10, v7
	s_delay_alu instid0(VALU_DEP_4) | instskip(SKIP_1) | instid1(VALU_DEP_3)
	v_add_co_u32 v7, s0, v0, v3
	s_wait_alu 0xf1ff
	v_add_co_ci_u32_e64 v8, null, 0, v1, s0
	s_delay_alu instid0(VALU_DEP_3)
	v_lshlrev_b64_e32 v[0:1], 3, v[9:10]
	s_lshl_b64 s[18:19], s[18:19], 3
	v_cmp_eq_u32_e32 vcc_lo, v13, v14
	s_cmp_eq_u32 s21, 0x84
	s_wait_alu 0xfffe
	s_add_nc_u64 s[12:13], s[16:17], s[18:19]
	s_cselect_b32 s0, -1, 0
	v_add_nc_u32_e32 v4, 0x2000, v2
	s_wait_alu 0xfffe
	s_and_b32 s5, vcc_lo, s0
	v_add_co_u32 v0, vcc_lo, s12, v0
	s_wait_alu 0xfffd
	v_add_co_ci_u32_e64 v1, null, s13, v1, vcc_lo
	v_cmp_lt_u32_e64 s0, v14, v13
	s_delay_alu instid0(VALU_DEP_3)
	v_add_co_u32 v10, vcc_lo, v0, v3
	v_cmp_gt_u32_e64 s1, v14, v13
	v_lshl_add_u32 v9, v13, 8, 0x2000
	s_wait_alu 0xfffd
	v_add_co_ci_u32_e64 v11, null, 0, v1, vcc_lo
	v_dual_mov_b32 v0, 0 :: v_dual_add_nc_u32 v13, 0x1000, v3
	v_mov_b32_e32 v1, 0x3ff00000
	v_add_nc_u32_e32 v12, 0x800, v3
	v_add_nc_u32_e32 v14, 0x1800, v3
	s_cmp_lg_u32 s20, 0x79
	s_mov_b32 s3, 0
	s_cselect_b32 s10, -1, 0
	s_branch .LBB61_4
.LBB61_2:                               ;   in Loop: Header=BB61_4 Depth=1
	s_wait_alu 0xfffe
	s_or_b32 exec_lo, exec_lo, s11
.LBB61_3:                               ;   in Loop: Header=BB61_4 Depth=1
	s_add_co_i32 s2, s2, 0x10000
	s_delay_alu instid0(SALU_CYCLE_1)
	s_cmp_lt_u32 s2, s28
	s_cbranch_scc0 .LBB61_19
.LBB61_4:                               ; =>This Inner Loop Header: Depth=1
	s_and_not1_b32 vcc_lo, exec_lo, s7
	s_wait_alu 0xfffe
	s_cbranch_vccnz .LBB61_3
; %bb.5:                                ;   in Loop: Header=BB61_4 Depth=1
	s_mov_b32 s12, s3
	s_mov_b32 s13, s3
	s_wait_alu 0xfffe
	v_dual_mov_b32 v16, s13 :: v_dual_mov_b32 v15, s12
	ds_store_b64 v2, v[15:16]
	ds_store_b64 v4, v[15:16]
	s_and_saveexec_b32 s11, s6
	s_cbranch_execnz .LBB61_10
; %bb.6:                                ;   in Loop: Header=BB61_4 Depth=1
	s_wait_alu 0xfffe
	s_or_b32 exec_lo, exec_lo, s11
	s_and_saveexec_b32 s11, s4
	s_cbranch_execnz .LBB61_11
.LBB61_7:                               ;   in Loop: Header=BB61_4 Depth=1
	s_wait_alu 0xfffe
	s_or_b32 exec_lo, exec_lo, s11
	s_and_saveexec_b32 s11, s5
	s_cbranch_execnz .LBB61_12
.LBB61_8:                               ;   in Loop: Header=BB61_4 Depth=1
	s_wait_alu 0xfffe
	s_or_b32 exec_lo, exec_lo, s11
	s_delay_alu instid0(SALU_CYCLE_1)
	s_and_b32 vcc_lo, exec_lo, s10
	s_wait_alu 0xfffe
	s_cbranch_vccz .LBB61_13
.LBB61_9:                               ;   in Loop: Header=BB61_4 Depth=1
	s_and_b32 s11, s0, exec_lo
	s_cbranch_execz .LBB61_14
	s_branch .LBB61_15
.LBB61_10:                              ;   in Loop: Header=BB61_4 Depth=1
	s_mul_u64 s[12:13], s[8:9], s[2:3]
	s_wait_alu 0xfffe
	s_lshl_b64 s[12:13], s[12:13], 3
	s_wait_alu 0xfffe
	v_add_co_u32 v15, vcc_lo, v5, s12
	s_wait_alu 0xfffd
	v_add_co_ci_u32_e64 v16, null, s13, v6, vcc_lo
	global_load_b64 v[15:16], v[15:16], off
	s_wait_loadcnt 0x0
	ds_store_b64 v2, v[15:16]
	s_or_b32 exec_lo, exec_lo, s11
	s_and_saveexec_b32 s11, s4
	s_cbranch_execz .LBB61_7
.LBB61_11:                              ;   in Loop: Header=BB61_4 Depth=1
	s_mul_u64 s[12:13], s[14:15], s[2:3]
	s_wait_alu 0xfffe
	s_lshl_b64 s[12:13], s[12:13], 3
	s_wait_alu 0xfffe
	v_add_co_u32 v15, vcc_lo, v7, s12
	s_wait_alu 0xfffd
	v_add_co_ci_u32_e64 v16, null, s13, v8, vcc_lo
	global_load_b64 v[15:16], v[15:16], off
	s_wait_loadcnt 0x0
	ds_store_b64 v4, v[15:16]
	s_or_b32 exec_lo, exec_lo, s11
	s_and_saveexec_b32 s11, s5
	s_cbranch_execz .LBB61_8
.LBB61_12:                              ;   in Loop: Header=BB61_4 Depth=1
	ds_store_b64 v2, v[0:1]
	s_wait_alu 0xfffe
	s_or_b32 exec_lo, exec_lo, s11
	s_delay_alu instid0(SALU_CYCLE_1)
	s_and_b32 vcc_lo, exec_lo, s10
	s_wait_alu 0xfffe
	s_cbranch_vccnz .LBB61_9
.LBB61_13:                              ;   in Loop: Header=BB61_4 Depth=1
	s_mov_b32 s11, 0
.LBB61_14:                              ;   in Loop: Header=BB61_4 Depth=1
	s_wait_alu 0xfffe
	s_and_not1_b32 s11, s11, exec_lo
	s_and_b32 s12, s1, exec_lo
	s_wait_alu 0xfffe
	s_or_b32 s11, s11, s12
.LBB61_15:                              ;   in Loop: Header=BB61_4 Depth=1
	s_wait_alu 0xfffe
	s_and_saveexec_b32 s12, s11
; %bb.16:                               ;   in Loop: Header=BB61_4 Depth=1
	v_dual_mov_b32 v15, v0 :: v_dual_mov_b32 v16, v0
	ds_store_b64 v2, v[15:16]
; %bb.17:                               ;   in Loop: Header=BB61_4 Depth=1
	s_wait_alu 0xfffe
	s_or_b32 exec_lo, exec_lo, s12
	s_wait_dscnt 0x0
	s_barrier_signal -1
	s_barrier_wait -1
	global_inv scope:SCOPE_SE
	s_and_saveexec_b32 s11, s4
	s_cbranch_execz .LBB61_2
; %bb.18:                               ;   in Loop: Header=BB61_4 Depth=1
	ds_load_2addr_b64 v[15:18], v3 offset1:32
	ds_load_b128 v[19:22], v9
	ds_load_b128 v[23:26], v9 offset:16
	s_mul_u64 s[12:13], s[26:27], s[2:3]
	s_wait_alu 0xfffe
	s_lshl_b64 s[12:13], s[12:13], 3
	s_wait_dscnt 0x1
	v_fma_f64 v[15:16], v[15:16], v[19:20], 0
	s_delay_alu instid0(VALU_DEP_1) | instskip(SKIP_3) | instid1(VALU_DEP_1)
	v_fma_f64 v[19:20], v[17:18], v[21:22], v[15:16]
	ds_load_2addr_b64 v[15:18], v3 offset0:64 offset1:96
	s_wait_dscnt 0x0
	v_fma_f64 v[15:16], v[15:16], v[23:24], v[19:20]
	v_fma_f64 v[27:28], v[17:18], v[25:26], v[15:16]
	ds_load_2addr_b64 v[15:18], v3 offset0:128 offset1:160
	ds_load_b128 v[19:22], v9 offset:32
	ds_load_b128 v[23:26], v9 offset:48
	s_wait_dscnt 0x1
	v_fma_f64 v[15:16], v[15:16], v[19:20], v[27:28]
	s_delay_alu instid0(VALU_DEP_1) | instskip(SKIP_3) | instid1(VALU_DEP_1)
	v_fma_f64 v[19:20], v[17:18], v[21:22], v[15:16]
	ds_load_2addr_b64 v[15:18], v3 offset0:192 offset1:224
	s_wait_dscnt 0x0
	v_fma_f64 v[15:16], v[15:16], v[23:24], v[19:20]
	v_fma_f64 v[27:28], v[17:18], v[25:26], v[15:16]
	ds_load_2addr_b64 v[15:18], v12 offset1:32
	ds_load_b128 v[19:22], v9 offset:64
	ds_load_b128 v[23:26], v9 offset:80
	s_wait_dscnt 0x1
	v_fma_f64 v[15:16], v[15:16], v[19:20], v[27:28]
	s_delay_alu instid0(VALU_DEP_1) | instskip(SKIP_3) | instid1(VALU_DEP_1)
	v_fma_f64 v[19:20], v[17:18], v[21:22], v[15:16]
	ds_load_2addr_b64 v[15:18], v12 offset0:64 offset1:96
	s_wait_dscnt 0x0
	v_fma_f64 v[15:16], v[15:16], v[23:24], v[19:20]
	v_fma_f64 v[27:28], v[17:18], v[25:26], v[15:16]
	ds_load_2addr_b64 v[15:18], v12 offset0:128 offset1:160
	ds_load_b128 v[19:22], v9 offset:96
	ds_load_b128 v[23:26], v9 offset:112
	s_wait_dscnt 0x1
	v_fma_f64 v[15:16], v[15:16], v[19:20], v[27:28]
	s_delay_alu instid0(VALU_DEP_1) | instskip(SKIP_3) | instid1(VALU_DEP_1)
	v_fma_f64 v[19:20], v[17:18], v[21:22], v[15:16]
	ds_load_2addr_b64 v[15:18], v12 offset0:192 offset1:224
	s_wait_dscnt 0x0
	v_fma_f64 v[15:16], v[15:16], v[23:24], v[19:20]
	v_fma_f64 v[27:28], v[17:18], v[25:26], v[15:16]
	ds_load_2addr_b64 v[15:18], v13 offset1:32
	ds_load_b128 v[19:22], v9 offset:128
	ds_load_b128 v[23:26], v9 offset:144
	;; [unrolled: 22-line block ×3, first 2 shown]
	s_wait_dscnt 0x1
	v_fma_f64 v[15:16], v[15:16], v[19:20], v[27:28]
	s_delay_alu instid0(VALU_DEP_1) | instskip(SKIP_3) | instid1(VALU_DEP_1)
	v_fma_f64 v[19:20], v[17:18], v[21:22], v[15:16]
	ds_load_2addr_b64 v[15:18], v14 offset0:64 offset1:96
	s_wait_dscnt 0x0
	v_fma_f64 v[15:16], v[15:16], v[23:24], v[19:20]
	v_fma_f64 v[27:28], v[17:18], v[25:26], v[15:16]
	ds_load_2addr_b64 v[15:18], v14 offset0:128 offset1:160
	ds_load_b128 v[19:22], v9 offset:224
	ds_load_b128 v[23:26], v9 offset:240
	s_wait_dscnt 0x1
	v_fma_f64 v[15:16], v[15:16], v[19:20], v[27:28]
	s_delay_alu instid0(VALU_DEP_1) | instskip(SKIP_3) | instid1(VALU_DEP_1)
	v_fma_f64 v[19:20], v[17:18], v[21:22], v[15:16]
	ds_load_2addr_b64 v[15:18], v14 offset0:192 offset1:224
	s_wait_dscnt 0x0
	v_fma_f64 v[15:16], v[15:16], v[23:24], v[19:20]
	v_fma_f64 v[15:16], v[17:18], v[25:26], v[15:16]
	s_wait_alu 0xfffe
	v_add_co_u32 v17, vcc_lo, v10, s12
	s_wait_alu 0xfffd
	v_add_co_ci_u32_e64 v18, null, s13, v11, vcc_lo
	s_delay_alu instid0(VALU_DEP_3)
	v_mul_f64_e32 v[15:16], s[24:25], v[15:16]
	global_store_b64 v[17:18], v[15:16], off
	s_branch .LBB61_2
.LBB61_19:
	s_endpgm
	.section	.rodata,"a",@progbits
	.p2align	6, 0x0
	.amdhsa_kernel _ZL23rocblas_trmm_lNx_kernelILi32EddKddEv13rocblas_fill_17rocblas_diagonal_iiT1_lPT2_llS5_llPT3_lli
		.amdhsa_group_segment_fixed_size 16384
		.amdhsa_private_segment_fixed_size 0
		.amdhsa_kernarg_size 108
		.amdhsa_user_sgpr_count 2
		.amdhsa_user_sgpr_dispatch_ptr 0
		.amdhsa_user_sgpr_queue_ptr 0
		.amdhsa_user_sgpr_kernarg_segment_ptr 1
		.amdhsa_user_sgpr_dispatch_id 0
		.amdhsa_user_sgpr_private_segment_size 0
		.amdhsa_wavefront_size32 1
		.amdhsa_uses_dynamic_stack 0
		.amdhsa_enable_private_segment 0
		.amdhsa_system_sgpr_workgroup_id_x 1
		.amdhsa_system_sgpr_workgroup_id_y 0
		.amdhsa_system_sgpr_workgroup_id_z 1
		.amdhsa_system_sgpr_workgroup_info 0
		.amdhsa_system_vgpr_workitem_id 1
		.amdhsa_next_free_vgpr 29
		.amdhsa_next_free_sgpr 29
		.amdhsa_reserve_vcc 1
		.amdhsa_float_round_mode_32 0
		.amdhsa_float_round_mode_16_64 0
		.amdhsa_float_denorm_mode_32 3
		.amdhsa_float_denorm_mode_16_64 3
		.amdhsa_fp16_overflow 0
		.amdhsa_workgroup_processor_mode 1
		.amdhsa_memory_ordered 1
		.amdhsa_forward_progress 1
		.amdhsa_inst_pref_size 13
		.amdhsa_round_robin_scheduling 0
		.amdhsa_exception_fp_ieee_invalid_op 0
		.amdhsa_exception_fp_denorm_src 0
		.amdhsa_exception_fp_ieee_div_zero 0
		.amdhsa_exception_fp_ieee_overflow 0
		.amdhsa_exception_fp_ieee_underflow 0
		.amdhsa_exception_fp_ieee_inexact 0
		.amdhsa_exception_int_div_zero 0
	.end_amdhsa_kernel
	.section	.text._ZL23rocblas_trmm_lNx_kernelILi32EddKddEv13rocblas_fill_17rocblas_diagonal_iiT1_lPT2_llS5_llPT3_lli,"axG",@progbits,_ZL23rocblas_trmm_lNx_kernelILi32EddKddEv13rocblas_fill_17rocblas_diagonal_iiT1_lPT2_llS5_llPT3_lli,comdat
.Lfunc_end61:
	.size	_ZL23rocblas_trmm_lNx_kernelILi32EddKddEv13rocblas_fill_17rocblas_diagonal_iiT1_lPT2_llS5_llPT3_lli, .Lfunc_end61-_ZL23rocblas_trmm_lNx_kernelILi32EddKddEv13rocblas_fill_17rocblas_diagonal_iiT1_lPT2_llS5_llPT3_lli
                                        ; -- End function
	.set _ZL23rocblas_trmm_lNx_kernelILi32EddKddEv13rocblas_fill_17rocblas_diagonal_iiT1_lPT2_llS5_llPT3_lli.num_vgpr, 29
	.set _ZL23rocblas_trmm_lNx_kernelILi32EddKddEv13rocblas_fill_17rocblas_diagonal_iiT1_lPT2_llS5_llPT3_lli.num_agpr, 0
	.set _ZL23rocblas_trmm_lNx_kernelILi32EddKddEv13rocblas_fill_17rocblas_diagonal_iiT1_lPT2_llS5_llPT3_lli.numbered_sgpr, 29
	.set _ZL23rocblas_trmm_lNx_kernelILi32EddKddEv13rocblas_fill_17rocblas_diagonal_iiT1_lPT2_llS5_llPT3_lli.num_named_barrier, 0
	.set _ZL23rocblas_trmm_lNx_kernelILi32EddKddEv13rocblas_fill_17rocblas_diagonal_iiT1_lPT2_llS5_llPT3_lli.private_seg_size, 0
	.set _ZL23rocblas_trmm_lNx_kernelILi32EddKddEv13rocblas_fill_17rocblas_diagonal_iiT1_lPT2_llS5_llPT3_lli.uses_vcc, 1
	.set _ZL23rocblas_trmm_lNx_kernelILi32EddKddEv13rocblas_fill_17rocblas_diagonal_iiT1_lPT2_llS5_llPT3_lli.uses_flat_scratch, 0
	.set _ZL23rocblas_trmm_lNx_kernelILi32EddKddEv13rocblas_fill_17rocblas_diagonal_iiT1_lPT2_llS5_llPT3_lli.has_dyn_sized_stack, 0
	.set _ZL23rocblas_trmm_lNx_kernelILi32EddKddEv13rocblas_fill_17rocblas_diagonal_iiT1_lPT2_llS5_llPT3_lli.has_recursion, 0
	.set _ZL23rocblas_trmm_lNx_kernelILi32EddKddEv13rocblas_fill_17rocblas_diagonal_iiT1_lPT2_llS5_llPT3_lli.has_indirect_call, 0
	.section	.AMDGPU.csdata,"",@progbits
; Kernel info:
; codeLenInByte = 1628
; TotalNumSgprs: 31
; NumVgprs: 29
; ScratchSize: 0
; MemoryBound: 0
; FloatMode: 240
; IeeeMode: 1
; LDSByteSize: 16384 bytes/workgroup (compile time only)
; SGPRBlocks: 0
; VGPRBlocks: 3
; NumSGPRsForWavesPerEU: 31
; NumVGPRsForWavesPerEU: 29
; Occupancy: 16
; WaveLimiterHint : 0
; COMPUTE_PGM_RSRC2:SCRATCH_EN: 0
; COMPUTE_PGM_RSRC2:USER_SGPR: 2
; COMPUTE_PGM_RSRC2:TRAP_HANDLER: 0
; COMPUTE_PGM_RSRC2:TGID_X_EN: 1
; COMPUTE_PGM_RSRC2:TGID_Y_EN: 0
; COMPUTE_PGM_RSRC2:TGID_Z_EN: 1
; COMPUTE_PGM_RSRC2:TIDIG_COMP_CNT: 1
	.section	.text._ZL23rocblas_trmm_lTx_kernelILi32ELb0EdPKdS0_dEv13rocblas_fill_17rocblas_diagonal_iiT2_lPT3_llS6_llPT4_lli,"axG",@progbits,_ZL23rocblas_trmm_lTx_kernelILi32ELb0EdPKdS0_dEv13rocblas_fill_17rocblas_diagonal_iiT2_lPT3_llS6_llPT4_lli,comdat
	.globl	_ZL23rocblas_trmm_lTx_kernelILi32ELb0EdPKdS0_dEv13rocblas_fill_17rocblas_diagonal_iiT2_lPT3_llS6_llPT4_lli ; -- Begin function _ZL23rocblas_trmm_lTx_kernelILi32ELb0EdPKdS0_dEv13rocblas_fill_17rocblas_diagonal_iiT2_lPT3_llS6_llPT4_lli
	.p2align	8
	.type	_ZL23rocblas_trmm_lTx_kernelILi32ELb0EdPKdS0_dEv13rocblas_fill_17rocblas_diagonal_iiT2_lPT3_llS6_llPT4_lli,@function
_ZL23rocblas_trmm_lTx_kernelILi32ELb0EdPKdS0_dEv13rocblas_fill_17rocblas_diagonal_iiT2_lPT3_llS6_llPT4_lli: ; @_ZL23rocblas_trmm_lTx_kernelILi32ELb0EdPKdS0_dEv13rocblas_fill_17rocblas_diagonal_iiT2_lPT3_llS6_llPT4_lli
; %bb.0:
	s_load_b32 s30, s[0:1], 0x68
	s_lshr_b32 s2, ttmp7, 16
	s_wait_kmcnt 0x0
	s_cmp_ge_u32 s2, s30
	s_cbranch_scc1 .LBB62_19
; %bb.1:
	s_clause 0x1
	s_load_b128 s[20:23], s[0:1], 0x0
	s_load_b512 s[4:19], s[0:1], 0x10
	v_bfe_u32 v14, v0, 10, 10
	s_clause 0x1
	s_load_b128 s[24:27], s[0:1], 0x50
	s_load_b64 s[28:29], s[0:1], 0x60
	v_and_b32_e32 v15, 0x3ff, v0
	s_wait_kmcnt 0x0
	s_add_co_i32 s1, s23, -1
	v_mad_co_u64_u32 v[7:8], null, s16, v14, 0
	v_mad_co_u64_u32 v[1:2], null, s10, v14, 0
	v_lshlrev_b32_e32 v0, 5, v14
	v_mad_co_u64_u32 v[11:12], null, s26, v14, 0
	s_ashr_i32 s0, s1, 31
	v_mov_b32_e32 v3, v8
	v_add_lshl_u32 v4, v0, v15, 3
	v_mov_b32_e32 v0, 0
	s_lshr_b32 s3, s0, 27
	v_lshlrev_b32_e32 v16, 3, v14
	v_mad_co_u64_u32 v[8:9], null, s11, v14, v[2:3]
	v_lshlrev_b32_e32 v5, 3, v15
	s_add_co_i32 s1, s1, s3
	v_mov_b32_e32 v9, v12
	v_mad_co_u64_u32 v[12:13], null, s17, v14, v[3:4]
	s_ashr_i32 s3, s1, 5
	v_mov_b32_e32 v2, v8
	s_and_not1_b32 s1, s1, 31
	v_cmp_gt_i32_e32 vcc_lo, s22, v14
	v_cmp_gt_i32_e64 s0, s22, v15
	s_sub_co_i32 s1, s23, s1
	v_lshlrev_b64_e32 v[1:2], 3, v[1:2]
	s_cmp_ge_i32 ttmp9, s3
	v_mov_b32_e32 v8, v12
	s_cselect_b32 s1, s1, 32
	s_and_b32 s10, vcc_lo, s0
	v_cmp_gt_i32_e32 vcc_lo, s1, v14
	v_add_co_u32 v3, s1, s8, v1
	s_wait_alu 0xf1ff
	v_add_co_ci_u32_e64 v10, null, s9, v2, s1
	s_lshl_b32 s22, ttmp9, 5
	v_lshlrev_b64_e32 v[1:2], 3, v[7:8]
	s_wait_alu 0xfffe
	s_ashr_i32 s23, s22, 31
	v_add_co_u32 v7, s1, v3, v5
	s_wait_alu 0xfffe
	s_mul_u64 s[16:17], s[16:17], s[22:23]
	v_add_co_ci_u32_e64 v8, null, 0, v10, s1
	v_mad_co_u64_u32 v[9:10], null, s27, v14, v[9:10]
	s_wait_alu 0xfffe
	s_lshl_b64 s[16:17], s[16:17], 3
	s_and_b32 s8, s0, vcc_lo
	s_wait_alu 0xfffe
	s_add_nc_u64 s[14:15], s[14:15], s[16:17]
	s_mul_u64 s[22:23], s[26:27], s[22:23]
	v_add_co_u32 v1, vcc_lo, s14, v1
	s_delay_alu instid0(VALU_DEP_1) | instskip(SKIP_1) | instid1(VALU_DEP_3)
	v_add_co_ci_u32_e64 v2, null, s15, v2, vcc_lo
	v_mov_b32_e32 v12, v9
	v_add_co_u32 v9, s0, v1, v5
	s_wait_alu 0xf1ff
	s_delay_alu instid0(VALU_DEP_3) | instskip(NEXT) | instid1(VALU_DEP_3)
	v_add_co_ci_u32_e64 v10, null, 0, v2, s0
	v_lshlrev_b64_e32 v[1:2], 3, v[11:12]
	s_wait_alu 0xfffe
	s_lshl_b64 s[22:23], s[22:23], 3
	v_cmp_eq_u32_e32 vcc_lo, v14, v15
	s_cmp_eq_u32 s21, 0x84
	s_wait_alu 0xfffe
	s_add_nc_u64 s[16:17], s[24:25], s[22:23]
	s_cselect_b32 s0, -1, 0
	v_lshlrev_b32_e32 v3, 8, v15
	s_wait_alu 0xfffe
	s_and_b32 s9, vcc_lo, s0
	v_add_co_u32 v1, vcc_lo, s16, v1
	s_wait_alu 0xfffd
	v_add_co_ci_u32_e64 v2, null, s17, v2, vcc_lo
	v_add_nc_u32_e32 v6, 0x2000, v4
	s_delay_alu instid0(VALU_DEP_3)
	v_add_co_u32 v12, vcc_lo, v1, v5
	v_cmp_lt_u32_e64 s0, v15, v14
	v_cmp_gt_u32_e64 s1, v15, v14
	v_lshl_add_u32 v11, v14, 8, 0x2000
	s_wait_alu 0xfffd
	v_add_co_ci_u32_e64 v13, null, 0, v2, vcc_lo
	v_dual_mov_b32 v1, 0x3ff00000 :: v_dual_add_nc_u32 v14, v16, v3
	v_add_nc_u32_e32 v15, 0x800, v5
	v_add_nc_u32_e32 v16, 0x1000, v5
	;; [unrolled: 1-line block ×3, first 2 shown]
	s_cmp_lg_u32 s20, 0x7a
	s_mov_b32 s3, 0
	s_cselect_b32 s11, -1, 0
	s_branch .LBB62_4
.LBB62_2:                               ;   in Loop: Header=BB62_4 Depth=1
	s_wait_alu 0xfffe
	s_or_b32 exec_lo, exec_lo, s14
.LBB62_3:                               ;   in Loop: Header=BB62_4 Depth=1
	s_add_co_i32 s2, s2, 0x10000
	s_delay_alu instid0(SALU_CYCLE_1)
	s_cmp_lt_u32 s2, s30
	s_cbranch_scc0 .LBB62_19
.LBB62_4:                               ; =>This Inner Loop Header: Depth=1
	s_mul_u64 s[14:15], s[6:7], s[2:3]
	s_wait_alu 0xfffe
	s_lshl_b64 s[14:15], s[14:15], 3
	s_wait_alu 0xfffe
	s_add_nc_u64 s[14:15], s[4:5], s[14:15]
	global_load_b64 v[2:3], v0, s[14:15]
	s_wait_loadcnt 0x0
	v_cmp_eq_f64_e32 vcc_lo, 0, v[2:3]
	s_cbranch_vccnz .LBB62_3
; %bb.5:                                ;   in Loop: Header=BB62_4 Depth=1
	s_mov_b32 s14, s3
	s_mov_b32 s15, s3
	s_wait_alu 0xfffe
	v_dual_mov_b32 v19, s15 :: v_dual_mov_b32 v18, s14
	ds_store_b64 v4, v[18:19]
	ds_store_b64 v6, v[18:19]
	s_wait_dscnt 0x0
	s_barrier_signal -1
	s_barrier_wait -1
	global_inv scope:SCOPE_SE
	s_and_saveexec_b32 s14, s10
	s_cbranch_execnz .LBB62_11
; %bb.6:                                ;   in Loop: Header=BB62_4 Depth=1
	s_wait_alu 0xfffe
	s_or_b32 exec_lo, exec_lo, s14
	s_and_saveexec_b32 s14, s8
	s_cbranch_execnz .LBB62_12
.LBB62_7:                               ;   in Loop: Header=BB62_4 Depth=1
	s_wait_alu 0xfffe
	s_or_b32 exec_lo, exec_lo, s14
	s_and_saveexec_b32 s14, s9
.LBB62_8:                               ;   in Loop: Header=BB62_4 Depth=1
	ds_store_b64 v4, v[0:1]
.LBB62_9:                               ;   in Loop: Header=BB62_4 Depth=1
	s_wait_alu 0xfffe
	s_or_b32 exec_lo, exec_lo, s14
	s_delay_alu instid0(SALU_CYCLE_1)
	s_and_b32 vcc_lo, exec_lo, s11
	s_wait_loadcnt_dscnt 0x0
	s_barrier_signal -1
	s_barrier_wait -1
	global_inv scope:SCOPE_SE
	s_wait_alu 0xfffe
	s_cbranch_vccz .LBB62_13
; %bb.10:                               ;   in Loop: Header=BB62_4 Depth=1
	s_and_b32 s14, s0, exec_lo
	s_cbranch_execz .LBB62_14
	s_branch .LBB62_15
.LBB62_11:                              ;   in Loop: Header=BB62_4 Depth=1
	s_mul_u64 s[16:17], s[12:13], s[2:3]
	s_wait_alu 0xfffe
	s_lshl_b64 s[16:17], s[16:17], 3
	s_wait_alu 0xfffe
	v_add_co_u32 v18, vcc_lo, v7, s16
	s_wait_alu 0xfffd
	v_add_co_ci_u32_e64 v19, null, s17, v8, vcc_lo
	global_load_b64 v[18:19], v[18:19], off
	s_wait_loadcnt 0x0
	ds_store_b64 v14, v[18:19]
	s_or_b32 exec_lo, exec_lo, s14
	s_and_saveexec_b32 s14, s8
	s_cbranch_execz .LBB62_7
.LBB62_12:                              ;   in Loop: Header=BB62_4 Depth=1
	s_mul_u64 s[16:17], s[18:19], s[2:3]
	s_wait_alu 0xfffe
	s_lshl_b64 s[16:17], s[16:17], 3
	s_wait_alu 0xfffe
	v_add_co_u32 v18, vcc_lo, v9, s16
	s_wait_alu 0xfffd
	v_add_co_ci_u32_e64 v19, null, s17, v10, vcc_lo
	global_load_b64 v[18:19], v[18:19], off
	s_wait_loadcnt 0x0
	ds_store_b64 v6, v[18:19]
	s_or_b32 exec_lo, exec_lo, s14
	s_and_saveexec_b32 s14, s9
	s_cbranch_execnz .LBB62_8
	s_branch .LBB62_9
.LBB62_13:                              ;   in Loop: Header=BB62_4 Depth=1
	s_mov_b32 s14, 0
.LBB62_14:                              ;   in Loop: Header=BB62_4 Depth=1
	s_wait_alu 0xfffe
	s_and_not1_b32 s14, s14, exec_lo
	s_and_b32 s15, s1, exec_lo
	s_wait_alu 0xfffe
	s_or_b32 s14, s14, s15
.LBB62_15:                              ;   in Loop: Header=BB62_4 Depth=1
	s_wait_alu 0xfffe
	s_and_saveexec_b32 s15, s14
; %bb.16:                               ;   in Loop: Header=BB62_4 Depth=1
	v_dual_mov_b32 v18, v0 :: v_dual_mov_b32 v19, v0
	ds_store_b64 v4, v[18:19]
; %bb.17:                               ;   in Loop: Header=BB62_4 Depth=1
	s_wait_alu 0xfffe
	s_or_b32 exec_lo, exec_lo, s15
	s_wait_loadcnt_dscnt 0x0
	s_barrier_signal -1
	s_barrier_wait -1
	global_inv scope:SCOPE_SE
	s_and_saveexec_b32 s14, s8
	s_cbranch_execz .LBB62_2
; %bb.18:                               ;   in Loop: Header=BB62_4 Depth=1
	ds_load_2addr_b64 v[18:21], v5 offset1:32
	ds_load_b128 v[22:25], v11
	ds_load_b128 v[26:29], v11 offset:16
	s_mul_u64 s[16:17], s[28:29], s[2:3]
	s_wait_alu 0xfffe
	s_lshl_b64 s[16:17], s[16:17], 3
	s_wait_dscnt 0x1
	v_fma_f64 v[18:19], v[18:19], v[22:23], 0
	s_delay_alu instid0(VALU_DEP_1) | instskip(SKIP_3) | instid1(VALU_DEP_1)
	v_fma_f64 v[22:23], v[20:21], v[24:25], v[18:19]
	ds_load_2addr_b64 v[18:21], v5 offset0:64 offset1:96
	s_wait_dscnt 0x0
	v_fma_f64 v[18:19], v[18:19], v[26:27], v[22:23]
	v_fma_f64 v[30:31], v[20:21], v[28:29], v[18:19]
	ds_load_2addr_b64 v[18:21], v5 offset0:128 offset1:160
	ds_load_b128 v[22:25], v11 offset:32
	ds_load_b128 v[26:29], v11 offset:48
	s_wait_dscnt 0x1
	v_fma_f64 v[18:19], v[18:19], v[22:23], v[30:31]
	s_delay_alu instid0(VALU_DEP_1) | instskip(SKIP_3) | instid1(VALU_DEP_1)
	v_fma_f64 v[22:23], v[20:21], v[24:25], v[18:19]
	ds_load_2addr_b64 v[18:21], v5 offset0:192 offset1:224
	s_wait_dscnt 0x0
	v_fma_f64 v[18:19], v[18:19], v[26:27], v[22:23]
	v_fma_f64 v[30:31], v[20:21], v[28:29], v[18:19]
	ds_load_2addr_b64 v[18:21], v15 offset1:32
	ds_load_b128 v[22:25], v11 offset:64
	ds_load_b128 v[26:29], v11 offset:80
	s_wait_dscnt 0x1
	v_fma_f64 v[18:19], v[18:19], v[22:23], v[30:31]
	s_delay_alu instid0(VALU_DEP_1) | instskip(SKIP_3) | instid1(VALU_DEP_1)
	v_fma_f64 v[22:23], v[20:21], v[24:25], v[18:19]
	ds_load_2addr_b64 v[18:21], v15 offset0:64 offset1:96
	s_wait_dscnt 0x0
	v_fma_f64 v[18:19], v[18:19], v[26:27], v[22:23]
	v_fma_f64 v[30:31], v[20:21], v[28:29], v[18:19]
	ds_load_2addr_b64 v[18:21], v15 offset0:128 offset1:160
	ds_load_b128 v[22:25], v11 offset:96
	ds_load_b128 v[26:29], v11 offset:112
	s_wait_dscnt 0x1
	v_fma_f64 v[18:19], v[18:19], v[22:23], v[30:31]
	s_delay_alu instid0(VALU_DEP_1) | instskip(SKIP_3) | instid1(VALU_DEP_1)
	v_fma_f64 v[22:23], v[20:21], v[24:25], v[18:19]
	ds_load_2addr_b64 v[18:21], v15 offset0:192 offset1:224
	s_wait_dscnt 0x0
	v_fma_f64 v[18:19], v[18:19], v[26:27], v[22:23]
	v_fma_f64 v[30:31], v[20:21], v[28:29], v[18:19]
	ds_load_2addr_b64 v[18:21], v16 offset1:32
	ds_load_b128 v[22:25], v11 offset:128
	ds_load_b128 v[26:29], v11 offset:144
	;; [unrolled: 22-line block ×3, first 2 shown]
	s_wait_dscnt 0x1
	v_fma_f64 v[18:19], v[18:19], v[22:23], v[30:31]
	s_delay_alu instid0(VALU_DEP_1) | instskip(SKIP_3) | instid1(VALU_DEP_1)
	v_fma_f64 v[22:23], v[20:21], v[24:25], v[18:19]
	ds_load_2addr_b64 v[18:21], v17 offset0:64 offset1:96
	s_wait_dscnt 0x0
	v_fma_f64 v[18:19], v[18:19], v[26:27], v[22:23]
	v_fma_f64 v[30:31], v[20:21], v[28:29], v[18:19]
	ds_load_2addr_b64 v[18:21], v17 offset0:128 offset1:160
	ds_load_b128 v[22:25], v11 offset:224
	ds_load_b128 v[26:29], v11 offset:240
	s_wait_dscnt 0x1
	v_fma_f64 v[18:19], v[18:19], v[22:23], v[30:31]
	s_delay_alu instid0(VALU_DEP_1) | instskip(SKIP_3) | instid1(VALU_DEP_1)
	v_fma_f64 v[22:23], v[20:21], v[24:25], v[18:19]
	ds_load_2addr_b64 v[18:21], v17 offset0:192 offset1:224
	s_wait_dscnt 0x0
	v_fma_f64 v[18:19], v[18:19], v[26:27], v[22:23]
	v_fma_f64 v[18:19], v[20:21], v[28:29], v[18:19]
	s_delay_alu instid0(VALU_DEP_1)
	v_mul_f64_e32 v[2:3], v[2:3], v[18:19]
	s_wait_alu 0xfffe
	v_add_co_u32 v18, vcc_lo, v12, s16
	s_wait_alu 0xfffd
	v_add_co_ci_u32_e64 v19, null, s17, v13, vcc_lo
	global_store_b64 v[18:19], v[2:3], off
	s_branch .LBB62_2
.LBB62_19:
	s_endpgm
	.section	.rodata,"a",@progbits
	.p2align	6, 0x0
	.amdhsa_kernel _ZL23rocblas_trmm_lTx_kernelILi32ELb0EdPKdS0_dEv13rocblas_fill_17rocblas_diagonal_iiT2_lPT3_llS6_llPT4_lli
		.amdhsa_group_segment_fixed_size 16384
		.amdhsa_private_segment_fixed_size 0
		.amdhsa_kernarg_size 108
		.amdhsa_user_sgpr_count 2
		.amdhsa_user_sgpr_dispatch_ptr 0
		.amdhsa_user_sgpr_queue_ptr 0
		.amdhsa_user_sgpr_kernarg_segment_ptr 1
		.amdhsa_user_sgpr_dispatch_id 0
		.amdhsa_user_sgpr_private_segment_size 0
		.amdhsa_wavefront_size32 1
		.amdhsa_uses_dynamic_stack 0
		.amdhsa_enable_private_segment 0
		.amdhsa_system_sgpr_workgroup_id_x 1
		.amdhsa_system_sgpr_workgroup_id_y 0
		.amdhsa_system_sgpr_workgroup_id_z 1
		.amdhsa_system_sgpr_workgroup_info 0
		.amdhsa_system_vgpr_workitem_id 1
		.amdhsa_next_free_vgpr 32
		.amdhsa_next_free_sgpr 31
		.amdhsa_reserve_vcc 1
		.amdhsa_float_round_mode_32 0
		.amdhsa_float_round_mode_16_64 0
		.amdhsa_float_denorm_mode_32 3
		.amdhsa_float_denorm_mode_16_64 3
		.amdhsa_fp16_overflow 0
		.amdhsa_workgroup_processor_mode 1
		.amdhsa_memory_ordered 1
		.amdhsa_forward_progress 1
		.amdhsa_inst_pref_size 14
		.amdhsa_round_robin_scheduling 0
		.amdhsa_exception_fp_ieee_invalid_op 0
		.amdhsa_exception_fp_denorm_src 0
		.amdhsa_exception_fp_ieee_div_zero 0
		.amdhsa_exception_fp_ieee_overflow 0
		.amdhsa_exception_fp_ieee_underflow 0
		.amdhsa_exception_fp_ieee_inexact 0
		.amdhsa_exception_int_div_zero 0
	.end_amdhsa_kernel
	.section	.text._ZL23rocblas_trmm_lTx_kernelILi32ELb0EdPKdS0_dEv13rocblas_fill_17rocblas_diagonal_iiT2_lPT3_llS6_llPT4_lli,"axG",@progbits,_ZL23rocblas_trmm_lTx_kernelILi32ELb0EdPKdS0_dEv13rocblas_fill_17rocblas_diagonal_iiT2_lPT3_llS6_llPT4_lli,comdat
.Lfunc_end62:
	.size	_ZL23rocblas_trmm_lTx_kernelILi32ELb0EdPKdS0_dEv13rocblas_fill_17rocblas_diagonal_iiT2_lPT3_llS6_llPT4_lli, .Lfunc_end62-_ZL23rocblas_trmm_lTx_kernelILi32ELb0EdPKdS0_dEv13rocblas_fill_17rocblas_diagonal_iiT2_lPT3_llS6_llPT4_lli
                                        ; -- End function
	.set _ZL23rocblas_trmm_lTx_kernelILi32ELb0EdPKdS0_dEv13rocblas_fill_17rocblas_diagonal_iiT2_lPT3_llS6_llPT4_lli.num_vgpr, 32
	.set _ZL23rocblas_trmm_lTx_kernelILi32ELb0EdPKdS0_dEv13rocblas_fill_17rocblas_diagonal_iiT2_lPT3_llS6_llPT4_lli.num_agpr, 0
	.set _ZL23rocblas_trmm_lTx_kernelILi32ELb0EdPKdS0_dEv13rocblas_fill_17rocblas_diagonal_iiT2_lPT3_llS6_llPT4_lli.numbered_sgpr, 31
	.set _ZL23rocblas_trmm_lTx_kernelILi32ELb0EdPKdS0_dEv13rocblas_fill_17rocblas_diagonal_iiT2_lPT3_llS6_llPT4_lli.num_named_barrier, 0
	.set _ZL23rocblas_trmm_lTx_kernelILi32ELb0EdPKdS0_dEv13rocblas_fill_17rocblas_diagonal_iiT2_lPT3_llS6_llPT4_lli.private_seg_size, 0
	.set _ZL23rocblas_trmm_lTx_kernelILi32ELb0EdPKdS0_dEv13rocblas_fill_17rocblas_diagonal_iiT2_lPT3_llS6_llPT4_lli.uses_vcc, 1
	.set _ZL23rocblas_trmm_lTx_kernelILi32ELb0EdPKdS0_dEv13rocblas_fill_17rocblas_diagonal_iiT2_lPT3_llS6_llPT4_lli.uses_flat_scratch, 0
	.set _ZL23rocblas_trmm_lTx_kernelILi32ELb0EdPKdS0_dEv13rocblas_fill_17rocblas_diagonal_iiT2_lPT3_llS6_llPT4_lli.has_dyn_sized_stack, 0
	.set _ZL23rocblas_trmm_lTx_kernelILi32ELb0EdPKdS0_dEv13rocblas_fill_17rocblas_diagonal_iiT2_lPT3_llS6_llPT4_lli.has_recursion, 0
	.set _ZL23rocblas_trmm_lTx_kernelILi32ELb0EdPKdS0_dEv13rocblas_fill_17rocblas_diagonal_iiT2_lPT3_llS6_llPT4_lli.has_indirect_call, 0
	.section	.AMDGPU.csdata,"",@progbits
; Kernel info:
; codeLenInByte = 1692
; TotalNumSgprs: 33
; NumVgprs: 32
; ScratchSize: 0
; MemoryBound: 0
; FloatMode: 240
; IeeeMode: 1
; LDSByteSize: 16384 bytes/workgroup (compile time only)
; SGPRBlocks: 0
; VGPRBlocks: 3
; NumSGPRsForWavesPerEU: 33
; NumVGPRsForWavesPerEU: 32
; Occupancy: 16
; WaveLimiterHint : 0
; COMPUTE_PGM_RSRC2:SCRATCH_EN: 0
; COMPUTE_PGM_RSRC2:USER_SGPR: 2
; COMPUTE_PGM_RSRC2:TRAP_HANDLER: 0
; COMPUTE_PGM_RSRC2:TGID_X_EN: 1
; COMPUTE_PGM_RSRC2:TGID_Y_EN: 0
; COMPUTE_PGM_RSRC2:TGID_Z_EN: 1
; COMPUTE_PGM_RSRC2:TIDIG_COMP_CNT: 1
	.section	.text._ZL23rocblas_trmm_lTx_kernelILi32ELb0EddKddEv13rocblas_fill_17rocblas_diagonal_iiT2_lPT3_llS5_llPT4_lli,"axG",@progbits,_ZL23rocblas_trmm_lTx_kernelILi32ELb0EddKddEv13rocblas_fill_17rocblas_diagonal_iiT2_lPT3_llS5_llPT4_lli,comdat
	.globl	_ZL23rocblas_trmm_lTx_kernelILi32ELb0EddKddEv13rocblas_fill_17rocblas_diagonal_iiT2_lPT3_llS5_llPT4_lli ; -- Begin function _ZL23rocblas_trmm_lTx_kernelILi32ELb0EddKddEv13rocblas_fill_17rocblas_diagonal_iiT2_lPT3_llS5_llPT4_lli
	.p2align	8
	.type	_ZL23rocblas_trmm_lTx_kernelILi32ELb0EddKddEv13rocblas_fill_17rocblas_diagonal_iiT2_lPT3_llS5_llPT4_lli,@function
_ZL23rocblas_trmm_lTx_kernelILi32ELb0EddKddEv13rocblas_fill_17rocblas_diagonal_iiT2_lPT3_llS5_llPT4_lli: ; @_ZL23rocblas_trmm_lTx_kernelILi32ELb0EddKddEv13rocblas_fill_17rocblas_diagonal_iiT2_lPT3_llS5_llPT4_lli
; %bb.0:
	s_load_b32 s28, s[0:1], 0x68
	s_lshr_b32 s2, ttmp7, 16
	s_wait_kmcnt 0x0
	s_cmp_ge_u32 s2, s28
	s_cbranch_scc1 .LBB63_19
; %bb.1:
	s_clause 0x1
	s_load_b128 s[20:23], s[0:1], 0x0
	s_load_b512 s[4:19], s[0:1], 0x20
	v_bfe_u32 v12, v0, 10, 10
	s_clause 0x1
	s_load_b64 s[24:25], s[0:1], 0x10
	s_load_b64 s[26:27], s[0:1], 0x60
	s_delay_alu instid0(VALU_DEP_1)
	v_lshlrev_b32_e32 v14, 3, v12
	s_wait_kmcnt 0x0
	s_add_co_i32 s1, s23, -1
	v_mad_co_u64_u32 v[9:10], null, s18, v12, 0
	v_and_b32_e32 v13, 0x3ff, v0
	v_lshlrev_b32_e32 v0, 5, v12
	v_mad_co_u64_u32 v[5:6], null, s12, v12, 0
	s_ashr_i32 s0, s1, 31
	v_cmp_gt_i32_e32 vcc_lo, s22, v12
	v_add_lshl_u32 v2, v0, v13, 3
	v_mad_co_u64_u32 v[0:1], null, s6, v12, 0
	s_lshr_b32 s3, s0, 27
	s_delay_alu instid0(SALU_CYCLE_1)
	s_add_co_i32 s1, s1, s3
	v_add_nc_u32_e32 v4, 0x2000, v2
	s_ashr_i32 s3, s1, 5
	s_and_not1_b32 s1, s1, 31
	v_mad_co_u64_u32 v[7:8], null, s7, v12, v[1:2]
	v_mov_b32_e32 v8, v10
	v_cmp_gt_i32_e64 s0, s22, v13
	s_sub_co_i32 s1, s23, s1
	s_cmp_ge_i32 ttmp9, s3
	v_cmp_neq_f64_e64 s7, s[24:25], 0
	s_cselect_b32 s1, s1, 32
	v_mov_b32_e32 v1, v7
	v_mad_co_u64_u32 v[10:11], null, s13, v12, v[6:7]
	v_lshlrev_b32_e32 v3, 3, v13
	s_and_b32 s6, vcc_lo, s0
	s_delay_alu instid0(VALU_DEP_3) | instskip(SKIP_3) | instid1(VALU_DEP_4)
	v_lshlrev_b64_e32 v[0:1], 3, v[0:1]
	v_cmp_gt_i32_e32 vcc_lo, s1, v12
	s_lshl_b32 s22, ttmp9, 5
	s_mov_b32 s3, 0
	v_mov_b32_e32 v6, v10
	s_wait_alu 0xfffe
	s_ashr_i32 s23, s22, 31
	v_add_co_u32 v7, s1, s4, v0
	s_wait_alu 0xfffe
	s_mul_u64 s[12:13], s[12:13], s[22:23]
	v_add_co_ci_u32_e64 v10, null, s5, v1, s1
	v_lshlrev_b64_e32 v[0:1], 3, v[5:6]
	v_add_co_u32 v5, s1, v7, v3
	v_mad_co_u64_u32 v[7:8], null, s19, v12, v[8:9]
	s_wait_alu 0xfffe
	s_lshl_b64 s[12:13], s[12:13], 3
	s_and_b32 s4, s0, vcc_lo
	s_wait_alu 0xfffe
	s_add_nc_u64 s[10:11], s[10:11], s[12:13]
	v_lshlrev_b32_e32 v15, 8, v13
	v_add_co_u32 v0, vcc_lo, s10, v0
	v_add_co_ci_u32_e64 v6, null, 0, v10, s1
	v_add_co_ci_u32_e64 v1, null, s11, v1, vcc_lo
	v_mov_b32_e32 v10, v7
	s_delay_alu instid0(VALU_DEP_4)
	v_add_co_u32 v7, s0, v0, v3
	s_mul_u64 s[22:23], s[18:19], s[22:23]
	v_add_co_ci_u32_e64 v8, null, 0, v1, s0
	v_lshlrev_b64_e32 v[0:1], 3, v[9:10]
	s_wait_alu 0xfffe
	s_lshl_b64 s[22:23], s[22:23], 3
	v_cmp_eq_u32_e32 vcc_lo, v12, v13
	s_cmp_eq_u32 s21, 0x84
	s_wait_alu 0xfffe
	s_add_nc_u64 s[12:13], s[16:17], s[22:23]
	s_cselect_b32 s0, -1, 0
	v_cmp_gt_u32_e64 s1, v13, v12
	s_wait_alu 0xfffe
	s_and_b32 s5, vcc_lo, s0
	v_add_co_u32 v0, vcc_lo, s12, v0
	s_wait_alu 0xfffd
	v_add_co_ci_u32_e64 v1, null, s13, v1, vcc_lo
	v_cmp_lt_u32_e64 s0, v13, v12
	s_delay_alu instid0(VALU_DEP_3)
	v_add_co_u32 v10, vcc_lo, v0, v3
	v_lshl_add_u32 v9, v12, 8, 0x2000
	s_wait_alu 0xfffd
	v_add_co_ci_u32_e64 v11, null, 0, v1, vcc_lo
	v_dual_mov_b32 v0, 0 :: v_dual_add_nc_u32 v13, 0x800, v3
	v_dual_mov_b32 v1, 0x3ff00000 :: v_dual_add_nc_u32 v12, v14, v15
	v_add_nc_u32_e32 v14, 0x1000, v3
	v_add_nc_u32_e32 v15, 0x1800, v3
	s_cmp_lg_u32 s20, 0x7a
	s_cselect_b32 s10, -1, 0
	s_branch .LBB63_4
.LBB63_2:                               ;   in Loop: Header=BB63_4 Depth=1
	s_wait_alu 0xfffe
	s_or_b32 exec_lo, exec_lo, s11
.LBB63_3:                               ;   in Loop: Header=BB63_4 Depth=1
	s_add_co_i32 s2, s2, 0x10000
	s_delay_alu instid0(SALU_CYCLE_1)
	s_cmp_lt_u32 s2, s28
	s_cbranch_scc0 .LBB63_19
.LBB63_4:                               ; =>This Inner Loop Header: Depth=1
	s_and_not1_b32 vcc_lo, exec_lo, s7
	s_wait_alu 0xfffe
	s_cbranch_vccnz .LBB63_3
; %bb.5:                                ;   in Loop: Header=BB63_4 Depth=1
	s_mov_b32 s12, s3
	s_mov_b32 s13, s3
	s_wait_alu 0xfffe
	v_dual_mov_b32 v17, s13 :: v_dual_mov_b32 v16, s12
	ds_store_b64 v2, v[16:17]
	ds_store_b64 v4, v[16:17]
	s_wait_dscnt 0x0
	s_barrier_signal -1
	s_barrier_wait -1
	global_inv scope:SCOPE_SE
	s_and_saveexec_b32 s11, s6
	s_cbranch_execnz .LBB63_11
; %bb.6:                                ;   in Loop: Header=BB63_4 Depth=1
	s_wait_alu 0xfffe
	s_or_b32 exec_lo, exec_lo, s11
	s_and_saveexec_b32 s11, s4
	s_cbranch_execnz .LBB63_12
.LBB63_7:                               ;   in Loop: Header=BB63_4 Depth=1
	s_wait_alu 0xfffe
	s_or_b32 exec_lo, exec_lo, s11
	s_and_saveexec_b32 s11, s5
.LBB63_8:                               ;   in Loop: Header=BB63_4 Depth=1
	ds_store_b64 v2, v[0:1]
.LBB63_9:                               ;   in Loop: Header=BB63_4 Depth=1
	s_wait_alu 0xfffe
	s_or_b32 exec_lo, exec_lo, s11
	s_delay_alu instid0(SALU_CYCLE_1)
	s_and_b32 vcc_lo, exec_lo, s10
	s_wait_loadcnt_dscnt 0x0
	s_barrier_signal -1
	s_barrier_wait -1
	global_inv scope:SCOPE_SE
	s_wait_alu 0xfffe
	s_cbranch_vccz .LBB63_13
; %bb.10:                               ;   in Loop: Header=BB63_4 Depth=1
	s_and_b32 s11, s0, exec_lo
	s_cbranch_execz .LBB63_14
	s_branch .LBB63_15
.LBB63_11:                              ;   in Loop: Header=BB63_4 Depth=1
	s_mul_u64 s[12:13], s[8:9], s[2:3]
	s_wait_alu 0xfffe
	s_lshl_b64 s[12:13], s[12:13], 3
	s_wait_alu 0xfffe
	v_add_co_u32 v16, vcc_lo, v5, s12
	s_wait_alu 0xfffd
	v_add_co_ci_u32_e64 v17, null, s13, v6, vcc_lo
	global_load_b64 v[16:17], v[16:17], off
	s_wait_loadcnt 0x0
	ds_store_b64 v12, v[16:17]
	s_or_b32 exec_lo, exec_lo, s11
	s_and_saveexec_b32 s11, s4
	s_cbranch_execz .LBB63_7
.LBB63_12:                              ;   in Loop: Header=BB63_4 Depth=1
	s_mul_u64 s[12:13], s[14:15], s[2:3]
	s_wait_alu 0xfffe
	s_lshl_b64 s[12:13], s[12:13], 3
	s_wait_alu 0xfffe
	v_add_co_u32 v16, vcc_lo, v7, s12
	s_wait_alu 0xfffd
	v_add_co_ci_u32_e64 v17, null, s13, v8, vcc_lo
	global_load_b64 v[16:17], v[16:17], off
	s_wait_loadcnt 0x0
	ds_store_b64 v4, v[16:17]
	s_or_b32 exec_lo, exec_lo, s11
	s_and_saveexec_b32 s11, s5
	s_cbranch_execnz .LBB63_8
	s_branch .LBB63_9
.LBB63_13:                              ;   in Loop: Header=BB63_4 Depth=1
	s_mov_b32 s11, 0
.LBB63_14:                              ;   in Loop: Header=BB63_4 Depth=1
	s_wait_alu 0xfffe
	s_and_not1_b32 s11, s11, exec_lo
	s_and_b32 s12, s1, exec_lo
	s_wait_alu 0xfffe
	s_or_b32 s11, s11, s12
.LBB63_15:                              ;   in Loop: Header=BB63_4 Depth=1
	s_wait_alu 0xfffe
	s_and_saveexec_b32 s12, s11
; %bb.16:                               ;   in Loop: Header=BB63_4 Depth=1
	v_dual_mov_b32 v16, v0 :: v_dual_mov_b32 v17, v0
	ds_store_b64 v2, v[16:17]
; %bb.17:                               ;   in Loop: Header=BB63_4 Depth=1
	s_wait_alu 0xfffe
	s_or_b32 exec_lo, exec_lo, s12
	s_wait_loadcnt_dscnt 0x0
	s_barrier_signal -1
	s_barrier_wait -1
	global_inv scope:SCOPE_SE
	s_and_saveexec_b32 s11, s4
	s_cbranch_execz .LBB63_2
; %bb.18:                               ;   in Loop: Header=BB63_4 Depth=1
	ds_load_2addr_b64 v[16:19], v3 offset1:32
	ds_load_b128 v[20:23], v9
	ds_load_b128 v[24:27], v9 offset:16
	s_mul_u64 s[12:13], s[26:27], s[2:3]
	s_wait_alu 0xfffe
	s_lshl_b64 s[12:13], s[12:13], 3
	s_wait_dscnt 0x1
	v_fma_f64 v[16:17], v[16:17], v[20:21], 0
	s_delay_alu instid0(VALU_DEP_1) | instskip(SKIP_3) | instid1(VALU_DEP_1)
	v_fma_f64 v[20:21], v[18:19], v[22:23], v[16:17]
	ds_load_2addr_b64 v[16:19], v3 offset0:64 offset1:96
	s_wait_dscnt 0x0
	v_fma_f64 v[16:17], v[16:17], v[24:25], v[20:21]
	v_fma_f64 v[28:29], v[18:19], v[26:27], v[16:17]
	ds_load_2addr_b64 v[16:19], v3 offset0:128 offset1:160
	ds_load_b128 v[20:23], v9 offset:32
	ds_load_b128 v[24:27], v9 offset:48
	s_wait_dscnt 0x1
	v_fma_f64 v[16:17], v[16:17], v[20:21], v[28:29]
	s_delay_alu instid0(VALU_DEP_1) | instskip(SKIP_3) | instid1(VALU_DEP_1)
	v_fma_f64 v[20:21], v[18:19], v[22:23], v[16:17]
	ds_load_2addr_b64 v[16:19], v3 offset0:192 offset1:224
	s_wait_dscnt 0x0
	v_fma_f64 v[16:17], v[16:17], v[24:25], v[20:21]
	v_fma_f64 v[28:29], v[18:19], v[26:27], v[16:17]
	ds_load_2addr_b64 v[16:19], v13 offset1:32
	ds_load_b128 v[20:23], v9 offset:64
	ds_load_b128 v[24:27], v9 offset:80
	s_wait_dscnt 0x1
	v_fma_f64 v[16:17], v[16:17], v[20:21], v[28:29]
	s_delay_alu instid0(VALU_DEP_1) | instskip(SKIP_3) | instid1(VALU_DEP_1)
	v_fma_f64 v[20:21], v[18:19], v[22:23], v[16:17]
	ds_load_2addr_b64 v[16:19], v13 offset0:64 offset1:96
	s_wait_dscnt 0x0
	v_fma_f64 v[16:17], v[16:17], v[24:25], v[20:21]
	v_fma_f64 v[28:29], v[18:19], v[26:27], v[16:17]
	ds_load_2addr_b64 v[16:19], v13 offset0:128 offset1:160
	ds_load_b128 v[20:23], v9 offset:96
	ds_load_b128 v[24:27], v9 offset:112
	s_wait_dscnt 0x1
	v_fma_f64 v[16:17], v[16:17], v[20:21], v[28:29]
	s_delay_alu instid0(VALU_DEP_1) | instskip(SKIP_3) | instid1(VALU_DEP_1)
	v_fma_f64 v[20:21], v[18:19], v[22:23], v[16:17]
	ds_load_2addr_b64 v[16:19], v13 offset0:192 offset1:224
	s_wait_dscnt 0x0
	v_fma_f64 v[16:17], v[16:17], v[24:25], v[20:21]
	v_fma_f64 v[28:29], v[18:19], v[26:27], v[16:17]
	ds_load_2addr_b64 v[16:19], v14 offset1:32
	ds_load_b128 v[20:23], v9 offset:128
	ds_load_b128 v[24:27], v9 offset:144
	;; [unrolled: 22-line block ×3, first 2 shown]
	s_wait_dscnt 0x1
	v_fma_f64 v[16:17], v[16:17], v[20:21], v[28:29]
	s_delay_alu instid0(VALU_DEP_1) | instskip(SKIP_3) | instid1(VALU_DEP_1)
	v_fma_f64 v[20:21], v[18:19], v[22:23], v[16:17]
	ds_load_2addr_b64 v[16:19], v15 offset0:64 offset1:96
	s_wait_dscnt 0x0
	v_fma_f64 v[16:17], v[16:17], v[24:25], v[20:21]
	v_fma_f64 v[28:29], v[18:19], v[26:27], v[16:17]
	ds_load_2addr_b64 v[16:19], v15 offset0:128 offset1:160
	ds_load_b128 v[20:23], v9 offset:224
	ds_load_b128 v[24:27], v9 offset:240
	s_wait_dscnt 0x1
	v_fma_f64 v[16:17], v[16:17], v[20:21], v[28:29]
	s_delay_alu instid0(VALU_DEP_1) | instskip(SKIP_3) | instid1(VALU_DEP_1)
	v_fma_f64 v[20:21], v[18:19], v[22:23], v[16:17]
	ds_load_2addr_b64 v[16:19], v15 offset0:192 offset1:224
	s_wait_dscnt 0x0
	v_fma_f64 v[16:17], v[16:17], v[24:25], v[20:21]
	v_fma_f64 v[16:17], v[18:19], v[26:27], v[16:17]
	s_wait_alu 0xfffe
	v_add_co_u32 v18, vcc_lo, v10, s12
	s_wait_alu 0xfffd
	v_add_co_ci_u32_e64 v19, null, s13, v11, vcc_lo
	s_delay_alu instid0(VALU_DEP_3)
	v_mul_f64_e32 v[16:17], s[24:25], v[16:17]
	global_store_b64 v[18:19], v[16:17], off
	s_branch .LBB63_2
.LBB63_19:
	s_endpgm
	.section	.rodata,"a",@progbits
	.p2align	6, 0x0
	.amdhsa_kernel _ZL23rocblas_trmm_lTx_kernelILi32ELb0EddKddEv13rocblas_fill_17rocblas_diagonal_iiT2_lPT3_llS5_llPT4_lli
		.amdhsa_group_segment_fixed_size 16384
		.amdhsa_private_segment_fixed_size 0
		.amdhsa_kernarg_size 108
		.amdhsa_user_sgpr_count 2
		.amdhsa_user_sgpr_dispatch_ptr 0
		.amdhsa_user_sgpr_queue_ptr 0
		.amdhsa_user_sgpr_kernarg_segment_ptr 1
		.amdhsa_user_sgpr_dispatch_id 0
		.amdhsa_user_sgpr_private_segment_size 0
		.amdhsa_wavefront_size32 1
		.amdhsa_uses_dynamic_stack 0
		.amdhsa_enable_private_segment 0
		.amdhsa_system_sgpr_workgroup_id_x 1
		.amdhsa_system_sgpr_workgroup_id_y 0
		.amdhsa_system_sgpr_workgroup_id_z 1
		.amdhsa_system_sgpr_workgroup_info 0
		.amdhsa_system_vgpr_workitem_id 1
		.amdhsa_next_free_vgpr 30
		.amdhsa_next_free_sgpr 29
		.amdhsa_reserve_vcc 1
		.amdhsa_float_round_mode_32 0
		.amdhsa_float_round_mode_16_64 0
		.amdhsa_float_denorm_mode_32 3
		.amdhsa_float_denorm_mode_16_64 3
		.amdhsa_fp16_overflow 0
		.amdhsa_workgroup_processor_mode 1
		.amdhsa_memory_ordered 1
		.amdhsa_forward_progress 1
		.amdhsa_inst_pref_size 13
		.amdhsa_round_robin_scheduling 0
		.amdhsa_exception_fp_ieee_invalid_op 0
		.amdhsa_exception_fp_denorm_src 0
		.amdhsa_exception_fp_ieee_div_zero 0
		.amdhsa_exception_fp_ieee_overflow 0
		.amdhsa_exception_fp_ieee_underflow 0
		.amdhsa_exception_fp_ieee_inexact 0
		.amdhsa_exception_int_div_zero 0
	.end_amdhsa_kernel
	.section	.text._ZL23rocblas_trmm_lTx_kernelILi32ELb0EddKddEv13rocblas_fill_17rocblas_diagonal_iiT2_lPT3_llS5_llPT4_lli,"axG",@progbits,_ZL23rocblas_trmm_lTx_kernelILi32ELb0EddKddEv13rocblas_fill_17rocblas_diagonal_iiT2_lPT3_llS5_llPT4_lli,comdat
.Lfunc_end63:
	.size	_ZL23rocblas_trmm_lTx_kernelILi32ELb0EddKddEv13rocblas_fill_17rocblas_diagonal_iiT2_lPT3_llS5_llPT4_lli, .Lfunc_end63-_ZL23rocblas_trmm_lTx_kernelILi32ELb0EddKddEv13rocblas_fill_17rocblas_diagonal_iiT2_lPT3_llS5_llPT4_lli
                                        ; -- End function
	.set _ZL23rocblas_trmm_lTx_kernelILi32ELb0EddKddEv13rocblas_fill_17rocblas_diagonal_iiT2_lPT3_llS5_llPT4_lli.num_vgpr, 30
	.set _ZL23rocblas_trmm_lTx_kernelILi32ELb0EddKddEv13rocblas_fill_17rocblas_diagonal_iiT2_lPT3_llS5_llPT4_lli.num_agpr, 0
	.set _ZL23rocblas_trmm_lTx_kernelILi32ELb0EddKddEv13rocblas_fill_17rocblas_diagonal_iiT2_lPT3_llS5_llPT4_lli.numbered_sgpr, 29
	.set _ZL23rocblas_trmm_lTx_kernelILi32ELb0EddKddEv13rocblas_fill_17rocblas_diagonal_iiT2_lPT3_llS5_llPT4_lli.num_named_barrier, 0
	.set _ZL23rocblas_trmm_lTx_kernelILi32ELb0EddKddEv13rocblas_fill_17rocblas_diagonal_iiT2_lPT3_llS5_llPT4_lli.private_seg_size, 0
	.set _ZL23rocblas_trmm_lTx_kernelILi32ELb0EddKddEv13rocblas_fill_17rocblas_diagonal_iiT2_lPT3_llS5_llPT4_lli.uses_vcc, 1
	.set _ZL23rocblas_trmm_lTx_kernelILi32ELb0EddKddEv13rocblas_fill_17rocblas_diagonal_iiT2_lPT3_llS5_llPT4_lli.uses_flat_scratch, 0
	.set _ZL23rocblas_trmm_lTx_kernelILi32ELb0EddKddEv13rocblas_fill_17rocblas_diagonal_iiT2_lPT3_llS5_llPT4_lli.has_dyn_sized_stack, 0
	.set _ZL23rocblas_trmm_lTx_kernelILi32ELb0EddKddEv13rocblas_fill_17rocblas_diagonal_iiT2_lPT3_llS5_llPT4_lli.has_recursion, 0
	.set _ZL23rocblas_trmm_lTx_kernelILi32ELb0EddKddEv13rocblas_fill_17rocblas_diagonal_iiT2_lPT3_llS5_llPT4_lli.has_indirect_call, 0
	.section	.AMDGPU.csdata,"",@progbits
; Kernel info:
; codeLenInByte = 1664
; TotalNumSgprs: 31
; NumVgprs: 30
; ScratchSize: 0
; MemoryBound: 0
; FloatMode: 240
; IeeeMode: 1
; LDSByteSize: 16384 bytes/workgroup (compile time only)
; SGPRBlocks: 0
; VGPRBlocks: 3
; NumSGPRsForWavesPerEU: 31
; NumVGPRsForWavesPerEU: 30
; Occupancy: 16
; WaveLimiterHint : 0
; COMPUTE_PGM_RSRC2:SCRATCH_EN: 0
; COMPUTE_PGM_RSRC2:USER_SGPR: 2
; COMPUTE_PGM_RSRC2:TRAP_HANDLER: 0
; COMPUTE_PGM_RSRC2:TGID_X_EN: 1
; COMPUTE_PGM_RSRC2:TGID_Y_EN: 0
; COMPUTE_PGM_RSRC2:TGID_Z_EN: 1
; COMPUTE_PGM_RSRC2:TIDIG_COMP_CNT: 1
	.section	.text._ZL23rocblas_trmm_lTx_kernelILi32ELb1EdPKdS0_dEv13rocblas_fill_17rocblas_diagonal_iiT2_lPT3_llS6_llPT4_lli,"axG",@progbits,_ZL23rocblas_trmm_lTx_kernelILi32ELb1EdPKdS0_dEv13rocblas_fill_17rocblas_diagonal_iiT2_lPT3_llS6_llPT4_lli,comdat
	.globl	_ZL23rocblas_trmm_lTx_kernelILi32ELb1EdPKdS0_dEv13rocblas_fill_17rocblas_diagonal_iiT2_lPT3_llS6_llPT4_lli ; -- Begin function _ZL23rocblas_trmm_lTx_kernelILi32ELb1EdPKdS0_dEv13rocblas_fill_17rocblas_diagonal_iiT2_lPT3_llS6_llPT4_lli
	.p2align	8
	.type	_ZL23rocblas_trmm_lTx_kernelILi32ELb1EdPKdS0_dEv13rocblas_fill_17rocblas_diagonal_iiT2_lPT3_llS6_llPT4_lli,@function
_ZL23rocblas_trmm_lTx_kernelILi32ELb1EdPKdS0_dEv13rocblas_fill_17rocblas_diagonal_iiT2_lPT3_llS6_llPT4_lli: ; @_ZL23rocblas_trmm_lTx_kernelILi32ELb1EdPKdS0_dEv13rocblas_fill_17rocblas_diagonal_iiT2_lPT3_llS6_llPT4_lli
; %bb.0:
	s_load_b32 s30, s[0:1], 0x68
	s_lshr_b32 s2, ttmp7, 16
	s_wait_kmcnt 0x0
	s_cmp_ge_u32 s2, s30
	s_cbranch_scc1 .LBB64_19
; %bb.1:
	s_clause 0x1
	s_load_b128 s[20:23], s[0:1], 0x0
	s_load_b512 s[4:19], s[0:1], 0x10
	v_bfe_u32 v14, v0, 10, 10
	s_clause 0x1
	s_load_b128 s[24:27], s[0:1], 0x50
	s_load_b64 s[28:29], s[0:1], 0x60
	v_and_b32_e32 v15, 0x3ff, v0
	s_wait_kmcnt 0x0
	s_add_co_i32 s1, s23, -1
	v_mad_co_u64_u32 v[7:8], null, s16, v14, 0
	v_mad_co_u64_u32 v[1:2], null, s10, v14, 0
	v_lshlrev_b32_e32 v0, 5, v14
	v_mad_co_u64_u32 v[11:12], null, s26, v14, 0
	s_ashr_i32 s0, s1, 31
	v_mov_b32_e32 v3, v8
	v_add_lshl_u32 v4, v0, v15, 3
	v_mov_b32_e32 v0, 0
	s_lshr_b32 s3, s0, 27
	v_lshlrev_b32_e32 v16, 3, v14
	v_mad_co_u64_u32 v[8:9], null, s11, v14, v[2:3]
	v_lshlrev_b32_e32 v5, 3, v15
	s_add_co_i32 s1, s1, s3
	v_mov_b32_e32 v9, v12
	v_mad_co_u64_u32 v[12:13], null, s17, v14, v[3:4]
	s_ashr_i32 s3, s1, 5
	v_mov_b32_e32 v2, v8
	s_and_not1_b32 s1, s1, 31
	v_cmp_gt_i32_e32 vcc_lo, s22, v14
	v_cmp_gt_i32_e64 s0, s22, v15
	s_sub_co_i32 s1, s23, s1
	v_lshlrev_b64_e32 v[1:2], 3, v[1:2]
	s_cmp_ge_i32 ttmp9, s3
	v_mov_b32_e32 v8, v12
	s_cselect_b32 s1, s1, 32
	s_and_b32 s10, vcc_lo, s0
	v_cmp_gt_i32_e32 vcc_lo, s1, v14
	v_add_co_u32 v3, s1, s8, v1
	s_wait_alu 0xf1ff
	v_add_co_ci_u32_e64 v10, null, s9, v2, s1
	s_lshl_b32 s22, ttmp9, 5
	v_lshlrev_b64_e32 v[1:2], 3, v[7:8]
	s_wait_alu 0xfffe
	s_ashr_i32 s23, s22, 31
	v_add_co_u32 v7, s1, v3, v5
	s_wait_alu 0xfffe
	s_mul_u64 s[16:17], s[16:17], s[22:23]
	v_add_co_ci_u32_e64 v8, null, 0, v10, s1
	v_mad_co_u64_u32 v[9:10], null, s27, v14, v[9:10]
	s_wait_alu 0xfffe
	s_lshl_b64 s[16:17], s[16:17], 3
	s_and_b32 s8, s0, vcc_lo
	s_wait_alu 0xfffe
	s_add_nc_u64 s[14:15], s[14:15], s[16:17]
	s_mul_u64 s[22:23], s[26:27], s[22:23]
	v_add_co_u32 v1, vcc_lo, s14, v1
	s_delay_alu instid0(VALU_DEP_1) | instskip(SKIP_1) | instid1(VALU_DEP_3)
	v_add_co_ci_u32_e64 v2, null, s15, v2, vcc_lo
	v_mov_b32_e32 v12, v9
	v_add_co_u32 v9, s0, v1, v5
	s_wait_alu 0xf1ff
	s_delay_alu instid0(VALU_DEP_3) | instskip(NEXT) | instid1(VALU_DEP_3)
	v_add_co_ci_u32_e64 v10, null, 0, v2, s0
	v_lshlrev_b64_e32 v[1:2], 3, v[11:12]
	s_wait_alu 0xfffe
	s_lshl_b64 s[22:23], s[22:23], 3
	v_cmp_eq_u32_e32 vcc_lo, v14, v15
	s_cmp_eq_u32 s21, 0x84
	s_wait_alu 0xfffe
	s_add_nc_u64 s[16:17], s[24:25], s[22:23]
	s_cselect_b32 s0, -1, 0
	v_lshlrev_b32_e32 v3, 8, v15
	s_wait_alu 0xfffe
	s_and_b32 s9, vcc_lo, s0
	v_add_co_u32 v1, vcc_lo, s16, v1
	s_wait_alu 0xfffd
	v_add_co_ci_u32_e64 v2, null, s17, v2, vcc_lo
	v_add_nc_u32_e32 v6, 0x2000, v4
	s_delay_alu instid0(VALU_DEP_3)
	v_add_co_u32 v12, vcc_lo, v1, v5
	v_cmp_lt_u32_e64 s0, v15, v14
	v_cmp_gt_u32_e64 s1, v15, v14
	v_lshl_add_u32 v11, v14, 8, 0x2000
	s_wait_alu 0xfffd
	v_add_co_ci_u32_e64 v13, null, 0, v2, vcc_lo
	v_dual_mov_b32 v1, 0x3ff00000 :: v_dual_add_nc_u32 v14, v16, v3
	v_add_nc_u32_e32 v15, 0x800, v5
	v_add_nc_u32_e32 v16, 0x1000, v5
	;; [unrolled: 1-line block ×3, first 2 shown]
	s_cmp_lg_u32 s20, 0x7a
	s_mov_b32 s3, 0
	s_cselect_b32 s11, -1, 0
	s_branch .LBB64_4
.LBB64_2:                               ;   in Loop: Header=BB64_4 Depth=1
	s_wait_alu 0xfffe
	s_or_b32 exec_lo, exec_lo, s14
.LBB64_3:                               ;   in Loop: Header=BB64_4 Depth=1
	s_add_co_i32 s2, s2, 0x10000
	s_delay_alu instid0(SALU_CYCLE_1)
	s_cmp_lt_u32 s2, s30
	s_cbranch_scc0 .LBB64_19
.LBB64_4:                               ; =>This Inner Loop Header: Depth=1
	s_mul_u64 s[14:15], s[6:7], s[2:3]
	s_wait_alu 0xfffe
	s_lshl_b64 s[14:15], s[14:15], 3
	s_wait_alu 0xfffe
	s_add_nc_u64 s[14:15], s[4:5], s[14:15]
	global_load_b64 v[2:3], v0, s[14:15]
	s_wait_loadcnt 0x0
	v_cmp_eq_f64_e32 vcc_lo, 0, v[2:3]
	s_cbranch_vccnz .LBB64_3
; %bb.5:                                ;   in Loop: Header=BB64_4 Depth=1
	s_mov_b32 s14, s3
	s_mov_b32 s15, s3
	s_wait_alu 0xfffe
	v_dual_mov_b32 v19, s15 :: v_dual_mov_b32 v18, s14
	ds_store_b64 v4, v[18:19]
	ds_store_b64 v6, v[18:19]
	s_wait_dscnt 0x0
	s_barrier_signal -1
	s_barrier_wait -1
	global_inv scope:SCOPE_SE
	s_and_saveexec_b32 s14, s10
	s_cbranch_execnz .LBB64_11
; %bb.6:                                ;   in Loop: Header=BB64_4 Depth=1
	s_wait_alu 0xfffe
	s_or_b32 exec_lo, exec_lo, s14
	s_and_saveexec_b32 s14, s8
	s_cbranch_execnz .LBB64_12
.LBB64_7:                               ;   in Loop: Header=BB64_4 Depth=1
	s_wait_alu 0xfffe
	s_or_b32 exec_lo, exec_lo, s14
	s_and_saveexec_b32 s14, s9
.LBB64_8:                               ;   in Loop: Header=BB64_4 Depth=1
	ds_store_b64 v4, v[0:1]
.LBB64_9:                               ;   in Loop: Header=BB64_4 Depth=1
	s_wait_alu 0xfffe
	s_or_b32 exec_lo, exec_lo, s14
	s_delay_alu instid0(SALU_CYCLE_1)
	s_and_b32 vcc_lo, exec_lo, s11
	s_wait_loadcnt_dscnt 0x0
	s_barrier_signal -1
	s_barrier_wait -1
	global_inv scope:SCOPE_SE
	s_wait_alu 0xfffe
	s_cbranch_vccz .LBB64_13
; %bb.10:                               ;   in Loop: Header=BB64_4 Depth=1
	s_and_b32 s14, s0, exec_lo
	s_cbranch_execz .LBB64_14
	s_branch .LBB64_15
.LBB64_11:                              ;   in Loop: Header=BB64_4 Depth=1
	s_mul_u64 s[16:17], s[12:13], s[2:3]
	s_wait_alu 0xfffe
	s_lshl_b64 s[16:17], s[16:17], 3
	s_wait_alu 0xfffe
	v_add_co_u32 v18, vcc_lo, v7, s16
	s_wait_alu 0xfffd
	v_add_co_ci_u32_e64 v19, null, s17, v8, vcc_lo
	global_load_b64 v[18:19], v[18:19], off
	s_wait_loadcnt 0x0
	ds_store_b64 v14, v[18:19]
	s_or_b32 exec_lo, exec_lo, s14
	s_and_saveexec_b32 s14, s8
	s_cbranch_execz .LBB64_7
.LBB64_12:                              ;   in Loop: Header=BB64_4 Depth=1
	s_mul_u64 s[16:17], s[18:19], s[2:3]
	s_wait_alu 0xfffe
	s_lshl_b64 s[16:17], s[16:17], 3
	s_wait_alu 0xfffe
	v_add_co_u32 v18, vcc_lo, v9, s16
	s_wait_alu 0xfffd
	v_add_co_ci_u32_e64 v19, null, s17, v10, vcc_lo
	global_load_b64 v[18:19], v[18:19], off
	s_wait_loadcnt 0x0
	ds_store_b64 v6, v[18:19]
	s_or_b32 exec_lo, exec_lo, s14
	s_and_saveexec_b32 s14, s9
	s_cbranch_execnz .LBB64_8
	s_branch .LBB64_9
.LBB64_13:                              ;   in Loop: Header=BB64_4 Depth=1
	s_mov_b32 s14, 0
.LBB64_14:                              ;   in Loop: Header=BB64_4 Depth=1
	s_wait_alu 0xfffe
	s_and_not1_b32 s14, s14, exec_lo
	s_and_b32 s15, s1, exec_lo
	s_wait_alu 0xfffe
	s_or_b32 s14, s14, s15
.LBB64_15:                              ;   in Loop: Header=BB64_4 Depth=1
	s_wait_alu 0xfffe
	s_and_saveexec_b32 s15, s14
; %bb.16:                               ;   in Loop: Header=BB64_4 Depth=1
	v_dual_mov_b32 v18, v0 :: v_dual_mov_b32 v19, v0
	ds_store_b64 v4, v[18:19]
; %bb.17:                               ;   in Loop: Header=BB64_4 Depth=1
	s_wait_alu 0xfffe
	s_or_b32 exec_lo, exec_lo, s15
	s_wait_loadcnt_dscnt 0x0
	s_barrier_signal -1
	s_barrier_wait -1
	global_inv scope:SCOPE_SE
	s_and_saveexec_b32 s14, s8
	s_cbranch_execz .LBB64_2
; %bb.18:                               ;   in Loop: Header=BB64_4 Depth=1
	ds_load_2addr_b64 v[18:21], v5 offset1:32
	ds_load_b128 v[22:25], v11
	ds_load_b128 v[26:29], v11 offset:16
	s_mul_u64 s[16:17], s[28:29], s[2:3]
	s_wait_alu 0xfffe
	s_lshl_b64 s[16:17], s[16:17], 3
	s_wait_dscnt 0x1
	v_fma_f64 v[18:19], v[18:19], v[22:23], 0
	s_delay_alu instid0(VALU_DEP_1) | instskip(SKIP_3) | instid1(VALU_DEP_1)
	v_fma_f64 v[22:23], v[20:21], v[24:25], v[18:19]
	ds_load_2addr_b64 v[18:21], v5 offset0:64 offset1:96
	s_wait_dscnt 0x0
	v_fma_f64 v[18:19], v[18:19], v[26:27], v[22:23]
	v_fma_f64 v[30:31], v[20:21], v[28:29], v[18:19]
	ds_load_2addr_b64 v[18:21], v5 offset0:128 offset1:160
	ds_load_b128 v[22:25], v11 offset:32
	ds_load_b128 v[26:29], v11 offset:48
	s_wait_dscnt 0x1
	v_fma_f64 v[18:19], v[18:19], v[22:23], v[30:31]
	s_delay_alu instid0(VALU_DEP_1) | instskip(SKIP_3) | instid1(VALU_DEP_1)
	v_fma_f64 v[22:23], v[20:21], v[24:25], v[18:19]
	ds_load_2addr_b64 v[18:21], v5 offset0:192 offset1:224
	s_wait_dscnt 0x0
	v_fma_f64 v[18:19], v[18:19], v[26:27], v[22:23]
	v_fma_f64 v[30:31], v[20:21], v[28:29], v[18:19]
	ds_load_2addr_b64 v[18:21], v15 offset1:32
	ds_load_b128 v[22:25], v11 offset:64
	ds_load_b128 v[26:29], v11 offset:80
	s_wait_dscnt 0x1
	v_fma_f64 v[18:19], v[18:19], v[22:23], v[30:31]
	s_delay_alu instid0(VALU_DEP_1) | instskip(SKIP_3) | instid1(VALU_DEP_1)
	v_fma_f64 v[22:23], v[20:21], v[24:25], v[18:19]
	ds_load_2addr_b64 v[18:21], v15 offset0:64 offset1:96
	s_wait_dscnt 0x0
	v_fma_f64 v[18:19], v[18:19], v[26:27], v[22:23]
	v_fma_f64 v[30:31], v[20:21], v[28:29], v[18:19]
	ds_load_2addr_b64 v[18:21], v15 offset0:128 offset1:160
	ds_load_b128 v[22:25], v11 offset:96
	ds_load_b128 v[26:29], v11 offset:112
	s_wait_dscnt 0x1
	v_fma_f64 v[18:19], v[18:19], v[22:23], v[30:31]
	s_delay_alu instid0(VALU_DEP_1) | instskip(SKIP_3) | instid1(VALU_DEP_1)
	v_fma_f64 v[22:23], v[20:21], v[24:25], v[18:19]
	ds_load_2addr_b64 v[18:21], v15 offset0:192 offset1:224
	s_wait_dscnt 0x0
	v_fma_f64 v[18:19], v[18:19], v[26:27], v[22:23]
	v_fma_f64 v[30:31], v[20:21], v[28:29], v[18:19]
	ds_load_2addr_b64 v[18:21], v16 offset1:32
	ds_load_b128 v[22:25], v11 offset:128
	ds_load_b128 v[26:29], v11 offset:144
	;; [unrolled: 22-line block ×3, first 2 shown]
	s_wait_dscnt 0x1
	v_fma_f64 v[18:19], v[18:19], v[22:23], v[30:31]
	s_delay_alu instid0(VALU_DEP_1) | instskip(SKIP_3) | instid1(VALU_DEP_1)
	v_fma_f64 v[22:23], v[20:21], v[24:25], v[18:19]
	ds_load_2addr_b64 v[18:21], v17 offset0:64 offset1:96
	s_wait_dscnt 0x0
	v_fma_f64 v[18:19], v[18:19], v[26:27], v[22:23]
	v_fma_f64 v[30:31], v[20:21], v[28:29], v[18:19]
	ds_load_2addr_b64 v[18:21], v17 offset0:128 offset1:160
	ds_load_b128 v[22:25], v11 offset:224
	ds_load_b128 v[26:29], v11 offset:240
	s_wait_dscnt 0x1
	v_fma_f64 v[18:19], v[18:19], v[22:23], v[30:31]
	s_delay_alu instid0(VALU_DEP_1) | instskip(SKIP_3) | instid1(VALU_DEP_1)
	v_fma_f64 v[22:23], v[20:21], v[24:25], v[18:19]
	ds_load_2addr_b64 v[18:21], v17 offset0:192 offset1:224
	s_wait_dscnt 0x0
	v_fma_f64 v[18:19], v[18:19], v[26:27], v[22:23]
	v_fma_f64 v[18:19], v[20:21], v[28:29], v[18:19]
	s_delay_alu instid0(VALU_DEP_1)
	v_mul_f64_e32 v[2:3], v[2:3], v[18:19]
	s_wait_alu 0xfffe
	v_add_co_u32 v18, vcc_lo, v12, s16
	s_wait_alu 0xfffd
	v_add_co_ci_u32_e64 v19, null, s17, v13, vcc_lo
	global_store_b64 v[18:19], v[2:3], off
	s_branch .LBB64_2
.LBB64_19:
	s_endpgm
	.section	.rodata,"a",@progbits
	.p2align	6, 0x0
	.amdhsa_kernel _ZL23rocblas_trmm_lTx_kernelILi32ELb1EdPKdS0_dEv13rocblas_fill_17rocblas_diagonal_iiT2_lPT3_llS6_llPT4_lli
		.amdhsa_group_segment_fixed_size 16384
		.amdhsa_private_segment_fixed_size 0
		.amdhsa_kernarg_size 108
		.amdhsa_user_sgpr_count 2
		.amdhsa_user_sgpr_dispatch_ptr 0
		.amdhsa_user_sgpr_queue_ptr 0
		.amdhsa_user_sgpr_kernarg_segment_ptr 1
		.amdhsa_user_sgpr_dispatch_id 0
		.amdhsa_user_sgpr_private_segment_size 0
		.amdhsa_wavefront_size32 1
		.amdhsa_uses_dynamic_stack 0
		.amdhsa_enable_private_segment 0
		.amdhsa_system_sgpr_workgroup_id_x 1
		.amdhsa_system_sgpr_workgroup_id_y 0
		.amdhsa_system_sgpr_workgroup_id_z 1
		.amdhsa_system_sgpr_workgroup_info 0
		.amdhsa_system_vgpr_workitem_id 1
		.amdhsa_next_free_vgpr 32
		.amdhsa_next_free_sgpr 31
		.amdhsa_reserve_vcc 1
		.amdhsa_float_round_mode_32 0
		.amdhsa_float_round_mode_16_64 0
		.amdhsa_float_denorm_mode_32 3
		.amdhsa_float_denorm_mode_16_64 3
		.amdhsa_fp16_overflow 0
		.amdhsa_workgroup_processor_mode 1
		.amdhsa_memory_ordered 1
		.amdhsa_forward_progress 1
		.amdhsa_inst_pref_size 14
		.amdhsa_round_robin_scheduling 0
		.amdhsa_exception_fp_ieee_invalid_op 0
		.amdhsa_exception_fp_denorm_src 0
		.amdhsa_exception_fp_ieee_div_zero 0
		.amdhsa_exception_fp_ieee_overflow 0
		.amdhsa_exception_fp_ieee_underflow 0
		.amdhsa_exception_fp_ieee_inexact 0
		.amdhsa_exception_int_div_zero 0
	.end_amdhsa_kernel
	.section	.text._ZL23rocblas_trmm_lTx_kernelILi32ELb1EdPKdS0_dEv13rocblas_fill_17rocblas_diagonal_iiT2_lPT3_llS6_llPT4_lli,"axG",@progbits,_ZL23rocblas_trmm_lTx_kernelILi32ELb1EdPKdS0_dEv13rocblas_fill_17rocblas_diagonal_iiT2_lPT3_llS6_llPT4_lli,comdat
.Lfunc_end64:
	.size	_ZL23rocblas_trmm_lTx_kernelILi32ELb1EdPKdS0_dEv13rocblas_fill_17rocblas_diagonal_iiT2_lPT3_llS6_llPT4_lli, .Lfunc_end64-_ZL23rocblas_trmm_lTx_kernelILi32ELb1EdPKdS0_dEv13rocblas_fill_17rocblas_diagonal_iiT2_lPT3_llS6_llPT4_lli
                                        ; -- End function
	.set _ZL23rocblas_trmm_lTx_kernelILi32ELb1EdPKdS0_dEv13rocblas_fill_17rocblas_diagonal_iiT2_lPT3_llS6_llPT4_lli.num_vgpr, 32
	.set _ZL23rocblas_trmm_lTx_kernelILi32ELb1EdPKdS0_dEv13rocblas_fill_17rocblas_diagonal_iiT2_lPT3_llS6_llPT4_lli.num_agpr, 0
	.set _ZL23rocblas_trmm_lTx_kernelILi32ELb1EdPKdS0_dEv13rocblas_fill_17rocblas_diagonal_iiT2_lPT3_llS6_llPT4_lli.numbered_sgpr, 31
	.set _ZL23rocblas_trmm_lTx_kernelILi32ELb1EdPKdS0_dEv13rocblas_fill_17rocblas_diagonal_iiT2_lPT3_llS6_llPT4_lli.num_named_barrier, 0
	.set _ZL23rocblas_trmm_lTx_kernelILi32ELb1EdPKdS0_dEv13rocblas_fill_17rocblas_diagonal_iiT2_lPT3_llS6_llPT4_lli.private_seg_size, 0
	.set _ZL23rocblas_trmm_lTx_kernelILi32ELb1EdPKdS0_dEv13rocblas_fill_17rocblas_diagonal_iiT2_lPT3_llS6_llPT4_lli.uses_vcc, 1
	.set _ZL23rocblas_trmm_lTx_kernelILi32ELb1EdPKdS0_dEv13rocblas_fill_17rocblas_diagonal_iiT2_lPT3_llS6_llPT4_lli.uses_flat_scratch, 0
	.set _ZL23rocblas_trmm_lTx_kernelILi32ELb1EdPKdS0_dEv13rocblas_fill_17rocblas_diagonal_iiT2_lPT3_llS6_llPT4_lli.has_dyn_sized_stack, 0
	.set _ZL23rocblas_trmm_lTx_kernelILi32ELb1EdPKdS0_dEv13rocblas_fill_17rocblas_diagonal_iiT2_lPT3_llS6_llPT4_lli.has_recursion, 0
	.set _ZL23rocblas_trmm_lTx_kernelILi32ELb1EdPKdS0_dEv13rocblas_fill_17rocblas_diagonal_iiT2_lPT3_llS6_llPT4_lli.has_indirect_call, 0
	.section	.AMDGPU.csdata,"",@progbits
; Kernel info:
; codeLenInByte = 1692
; TotalNumSgprs: 33
; NumVgprs: 32
; ScratchSize: 0
; MemoryBound: 0
; FloatMode: 240
; IeeeMode: 1
; LDSByteSize: 16384 bytes/workgroup (compile time only)
; SGPRBlocks: 0
; VGPRBlocks: 3
; NumSGPRsForWavesPerEU: 33
; NumVGPRsForWavesPerEU: 32
; Occupancy: 16
; WaveLimiterHint : 0
; COMPUTE_PGM_RSRC2:SCRATCH_EN: 0
; COMPUTE_PGM_RSRC2:USER_SGPR: 2
; COMPUTE_PGM_RSRC2:TRAP_HANDLER: 0
; COMPUTE_PGM_RSRC2:TGID_X_EN: 1
; COMPUTE_PGM_RSRC2:TGID_Y_EN: 0
; COMPUTE_PGM_RSRC2:TGID_Z_EN: 1
; COMPUTE_PGM_RSRC2:TIDIG_COMP_CNT: 1
	.section	.text._ZL23rocblas_trmm_lTx_kernelILi32ELb1EddKddEv13rocblas_fill_17rocblas_diagonal_iiT2_lPT3_llS5_llPT4_lli,"axG",@progbits,_ZL23rocblas_trmm_lTx_kernelILi32ELb1EddKddEv13rocblas_fill_17rocblas_diagonal_iiT2_lPT3_llS5_llPT4_lli,comdat
	.globl	_ZL23rocblas_trmm_lTx_kernelILi32ELb1EddKddEv13rocblas_fill_17rocblas_diagonal_iiT2_lPT3_llS5_llPT4_lli ; -- Begin function _ZL23rocblas_trmm_lTx_kernelILi32ELb1EddKddEv13rocblas_fill_17rocblas_diagonal_iiT2_lPT3_llS5_llPT4_lli
	.p2align	8
	.type	_ZL23rocblas_trmm_lTx_kernelILi32ELb1EddKddEv13rocblas_fill_17rocblas_diagonal_iiT2_lPT3_llS5_llPT4_lli,@function
_ZL23rocblas_trmm_lTx_kernelILi32ELb1EddKddEv13rocblas_fill_17rocblas_diagonal_iiT2_lPT3_llS5_llPT4_lli: ; @_ZL23rocblas_trmm_lTx_kernelILi32ELb1EddKddEv13rocblas_fill_17rocblas_diagonal_iiT2_lPT3_llS5_llPT4_lli
; %bb.0:
	s_load_b32 s28, s[0:1], 0x68
	s_lshr_b32 s2, ttmp7, 16
	s_wait_kmcnt 0x0
	s_cmp_ge_u32 s2, s28
	s_cbranch_scc1 .LBB65_19
; %bb.1:
	s_clause 0x1
	s_load_b128 s[20:23], s[0:1], 0x0
	s_load_b512 s[4:19], s[0:1], 0x20
	v_bfe_u32 v12, v0, 10, 10
	s_clause 0x1
	s_load_b64 s[24:25], s[0:1], 0x10
	s_load_b64 s[26:27], s[0:1], 0x60
	s_delay_alu instid0(VALU_DEP_1)
	v_lshlrev_b32_e32 v14, 3, v12
	s_wait_kmcnt 0x0
	s_add_co_i32 s1, s23, -1
	v_mad_co_u64_u32 v[9:10], null, s18, v12, 0
	v_and_b32_e32 v13, 0x3ff, v0
	v_lshlrev_b32_e32 v0, 5, v12
	v_mad_co_u64_u32 v[5:6], null, s12, v12, 0
	s_ashr_i32 s0, s1, 31
	v_cmp_gt_i32_e32 vcc_lo, s22, v12
	v_add_lshl_u32 v2, v0, v13, 3
	v_mad_co_u64_u32 v[0:1], null, s6, v12, 0
	s_lshr_b32 s3, s0, 27
	s_delay_alu instid0(SALU_CYCLE_1)
	s_add_co_i32 s1, s1, s3
	v_add_nc_u32_e32 v4, 0x2000, v2
	s_ashr_i32 s3, s1, 5
	s_and_not1_b32 s1, s1, 31
	v_mad_co_u64_u32 v[7:8], null, s7, v12, v[1:2]
	v_mov_b32_e32 v8, v10
	v_cmp_gt_i32_e64 s0, s22, v13
	s_sub_co_i32 s1, s23, s1
	s_cmp_ge_i32 ttmp9, s3
	v_cmp_neq_f64_e64 s7, s[24:25], 0
	s_cselect_b32 s1, s1, 32
	v_mov_b32_e32 v1, v7
	v_mad_co_u64_u32 v[10:11], null, s13, v12, v[6:7]
	v_lshlrev_b32_e32 v3, 3, v13
	s_and_b32 s6, vcc_lo, s0
	s_delay_alu instid0(VALU_DEP_3) | instskip(SKIP_3) | instid1(VALU_DEP_4)
	v_lshlrev_b64_e32 v[0:1], 3, v[0:1]
	v_cmp_gt_i32_e32 vcc_lo, s1, v12
	s_lshl_b32 s22, ttmp9, 5
	s_mov_b32 s3, 0
	v_mov_b32_e32 v6, v10
	s_wait_alu 0xfffe
	s_ashr_i32 s23, s22, 31
	v_add_co_u32 v7, s1, s4, v0
	s_wait_alu 0xfffe
	s_mul_u64 s[12:13], s[12:13], s[22:23]
	v_add_co_ci_u32_e64 v10, null, s5, v1, s1
	v_lshlrev_b64_e32 v[0:1], 3, v[5:6]
	v_add_co_u32 v5, s1, v7, v3
	v_mad_co_u64_u32 v[7:8], null, s19, v12, v[8:9]
	s_wait_alu 0xfffe
	s_lshl_b64 s[12:13], s[12:13], 3
	s_and_b32 s4, s0, vcc_lo
	s_wait_alu 0xfffe
	s_add_nc_u64 s[10:11], s[10:11], s[12:13]
	v_lshlrev_b32_e32 v15, 8, v13
	v_add_co_u32 v0, vcc_lo, s10, v0
	v_add_co_ci_u32_e64 v6, null, 0, v10, s1
	v_add_co_ci_u32_e64 v1, null, s11, v1, vcc_lo
	v_mov_b32_e32 v10, v7
	s_delay_alu instid0(VALU_DEP_4)
	v_add_co_u32 v7, s0, v0, v3
	s_mul_u64 s[22:23], s[18:19], s[22:23]
	v_add_co_ci_u32_e64 v8, null, 0, v1, s0
	v_lshlrev_b64_e32 v[0:1], 3, v[9:10]
	s_wait_alu 0xfffe
	s_lshl_b64 s[22:23], s[22:23], 3
	v_cmp_eq_u32_e32 vcc_lo, v12, v13
	s_cmp_eq_u32 s21, 0x84
	s_wait_alu 0xfffe
	s_add_nc_u64 s[12:13], s[16:17], s[22:23]
	s_cselect_b32 s0, -1, 0
	v_cmp_gt_u32_e64 s1, v13, v12
	s_wait_alu 0xfffe
	s_and_b32 s5, vcc_lo, s0
	v_add_co_u32 v0, vcc_lo, s12, v0
	s_wait_alu 0xfffd
	v_add_co_ci_u32_e64 v1, null, s13, v1, vcc_lo
	v_cmp_lt_u32_e64 s0, v13, v12
	s_delay_alu instid0(VALU_DEP_3)
	v_add_co_u32 v10, vcc_lo, v0, v3
	v_lshl_add_u32 v9, v12, 8, 0x2000
	s_wait_alu 0xfffd
	v_add_co_ci_u32_e64 v11, null, 0, v1, vcc_lo
	v_dual_mov_b32 v0, 0 :: v_dual_add_nc_u32 v13, 0x800, v3
	v_dual_mov_b32 v1, 0x3ff00000 :: v_dual_add_nc_u32 v12, v14, v15
	v_add_nc_u32_e32 v14, 0x1000, v3
	v_add_nc_u32_e32 v15, 0x1800, v3
	s_cmp_lg_u32 s20, 0x7a
	s_cselect_b32 s10, -1, 0
	s_branch .LBB65_4
.LBB65_2:                               ;   in Loop: Header=BB65_4 Depth=1
	s_wait_alu 0xfffe
	s_or_b32 exec_lo, exec_lo, s11
.LBB65_3:                               ;   in Loop: Header=BB65_4 Depth=1
	s_add_co_i32 s2, s2, 0x10000
	s_delay_alu instid0(SALU_CYCLE_1)
	s_cmp_lt_u32 s2, s28
	s_cbranch_scc0 .LBB65_19
.LBB65_4:                               ; =>This Inner Loop Header: Depth=1
	s_and_not1_b32 vcc_lo, exec_lo, s7
	s_wait_alu 0xfffe
	s_cbranch_vccnz .LBB65_3
; %bb.5:                                ;   in Loop: Header=BB65_4 Depth=1
	s_mov_b32 s12, s3
	s_mov_b32 s13, s3
	s_wait_alu 0xfffe
	v_dual_mov_b32 v17, s13 :: v_dual_mov_b32 v16, s12
	ds_store_b64 v2, v[16:17]
	ds_store_b64 v4, v[16:17]
	s_wait_dscnt 0x0
	s_barrier_signal -1
	s_barrier_wait -1
	global_inv scope:SCOPE_SE
	s_and_saveexec_b32 s11, s6
	s_cbranch_execnz .LBB65_11
; %bb.6:                                ;   in Loop: Header=BB65_4 Depth=1
	s_wait_alu 0xfffe
	s_or_b32 exec_lo, exec_lo, s11
	s_and_saveexec_b32 s11, s4
	s_cbranch_execnz .LBB65_12
.LBB65_7:                               ;   in Loop: Header=BB65_4 Depth=1
	s_wait_alu 0xfffe
	s_or_b32 exec_lo, exec_lo, s11
	s_and_saveexec_b32 s11, s5
.LBB65_8:                               ;   in Loop: Header=BB65_4 Depth=1
	ds_store_b64 v2, v[0:1]
.LBB65_9:                               ;   in Loop: Header=BB65_4 Depth=1
	s_wait_alu 0xfffe
	s_or_b32 exec_lo, exec_lo, s11
	s_delay_alu instid0(SALU_CYCLE_1)
	s_and_b32 vcc_lo, exec_lo, s10
	s_wait_loadcnt_dscnt 0x0
	s_barrier_signal -1
	s_barrier_wait -1
	global_inv scope:SCOPE_SE
	s_wait_alu 0xfffe
	s_cbranch_vccz .LBB65_13
; %bb.10:                               ;   in Loop: Header=BB65_4 Depth=1
	s_and_b32 s11, s0, exec_lo
	s_cbranch_execz .LBB65_14
	s_branch .LBB65_15
.LBB65_11:                              ;   in Loop: Header=BB65_4 Depth=1
	s_mul_u64 s[12:13], s[8:9], s[2:3]
	s_wait_alu 0xfffe
	s_lshl_b64 s[12:13], s[12:13], 3
	s_wait_alu 0xfffe
	v_add_co_u32 v16, vcc_lo, v5, s12
	s_wait_alu 0xfffd
	v_add_co_ci_u32_e64 v17, null, s13, v6, vcc_lo
	global_load_b64 v[16:17], v[16:17], off
	s_wait_loadcnt 0x0
	ds_store_b64 v12, v[16:17]
	s_or_b32 exec_lo, exec_lo, s11
	s_and_saveexec_b32 s11, s4
	s_cbranch_execz .LBB65_7
.LBB65_12:                              ;   in Loop: Header=BB65_4 Depth=1
	s_mul_u64 s[12:13], s[14:15], s[2:3]
	s_wait_alu 0xfffe
	s_lshl_b64 s[12:13], s[12:13], 3
	s_wait_alu 0xfffe
	v_add_co_u32 v16, vcc_lo, v7, s12
	s_wait_alu 0xfffd
	v_add_co_ci_u32_e64 v17, null, s13, v8, vcc_lo
	global_load_b64 v[16:17], v[16:17], off
	s_wait_loadcnt 0x0
	ds_store_b64 v4, v[16:17]
	s_or_b32 exec_lo, exec_lo, s11
	s_and_saveexec_b32 s11, s5
	s_cbranch_execnz .LBB65_8
	s_branch .LBB65_9
.LBB65_13:                              ;   in Loop: Header=BB65_4 Depth=1
	s_mov_b32 s11, 0
.LBB65_14:                              ;   in Loop: Header=BB65_4 Depth=1
	s_wait_alu 0xfffe
	s_and_not1_b32 s11, s11, exec_lo
	s_and_b32 s12, s1, exec_lo
	s_wait_alu 0xfffe
	s_or_b32 s11, s11, s12
.LBB65_15:                              ;   in Loop: Header=BB65_4 Depth=1
	s_wait_alu 0xfffe
	s_and_saveexec_b32 s12, s11
; %bb.16:                               ;   in Loop: Header=BB65_4 Depth=1
	v_dual_mov_b32 v16, v0 :: v_dual_mov_b32 v17, v0
	ds_store_b64 v2, v[16:17]
; %bb.17:                               ;   in Loop: Header=BB65_4 Depth=1
	s_wait_alu 0xfffe
	s_or_b32 exec_lo, exec_lo, s12
	s_wait_loadcnt_dscnt 0x0
	s_barrier_signal -1
	s_barrier_wait -1
	global_inv scope:SCOPE_SE
	s_and_saveexec_b32 s11, s4
	s_cbranch_execz .LBB65_2
; %bb.18:                               ;   in Loop: Header=BB65_4 Depth=1
	ds_load_2addr_b64 v[16:19], v3 offset1:32
	ds_load_b128 v[20:23], v9
	ds_load_b128 v[24:27], v9 offset:16
	s_mul_u64 s[12:13], s[26:27], s[2:3]
	s_wait_alu 0xfffe
	s_lshl_b64 s[12:13], s[12:13], 3
	s_wait_dscnt 0x1
	v_fma_f64 v[16:17], v[16:17], v[20:21], 0
	s_delay_alu instid0(VALU_DEP_1) | instskip(SKIP_3) | instid1(VALU_DEP_1)
	v_fma_f64 v[20:21], v[18:19], v[22:23], v[16:17]
	ds_load_2addr_b64 v[16:19], v3 offset0:64 offset1:96
	s_wait_dscnt 0x0
	v_fma_f64 v[16:17], v[16:17], v[24:25], v[20:21]
	v_fma_f64 v[28:29], v[18:19], v[26:27], v[16:17]
	ds_load_2addr_b64 v[16:19], v3 offset0:128 offset1:160
	ds_load_b128 v[20:23], v9 offset:32
	ds_load_b128 v[24:27], v9 offset:48
	s_wait_dscnt 0x1
	v_fma_f64 v[16:17], v[16:17], v[20:21], v[28:29]
	s_delay_alu instid0(VALU_DEP_1) | instskip(SKIP_3) | instid1(VALU_DEP_1)
	v_fma_f64 v[20:21], v[18:19], v[22:23], v[16:17]
	ds_load_2addr_b64 v[16:19], v3 offset0:192 offset1:224
	s_wait_dscnt 0x0
	v_fma_f64 v[16:17], v[16:17], v[24:25], v[20:21]
	v_fma_f64 v[28:29], v[18:19], v[26:27], v[16:17]
	ds_load_2addr_b64 v[16:19], v13 offset1:32
	ds_load_b128 v[20:23], v9 offset:64
	ds_load_b128 v[24:27], v9 offset:80
	s_wait_dscnt 0x1
	v_fma_f64 v[16:17], v[16:17], v[20:21], v[28:29]
	s_delay_alu instid0(VALU_DEP_1) | instskip(SKIP_3) | instid1(VALU_DEP_1)
	v_fma_f64 v[20:21], v[18:19], v[22:23], v[16:17]
	ds_load_2addr_b64 v[16:19], v13 offset0:64 offset1:96
	s_wait_dscnt 0x0
	v_fma_f64 v[16:17], v[16:17], v[24:25], v[20:21]
	v_fma_f64 v[28:29], v[18:19], v[26:27], v[16:17]
	ds_load_2addr_b64 v[16:19], v13 offset0:128 offset1:160
	ds_load_b128 v[20:23], v9 offset:96
	ds_load_b128 v[24:27], v9 offset:112
	s_wait_dscnt 0x1
	v_fma_f64 v[16:17], v[16:17], v[20:21], v[28:29]
	s_delay_alu instid0(VALU_DEP_1) | instskip(SKIP_3) | instid1(VALU_DEP_1)
	v_fma_f64 v[20:21], v[18:19], v[22:23], v[16:17]
	ds_load_2addr_b64 v[16:19], v13 offset0:192 offset1:224
	s_wait_dscnt 0x0
	v_fma_f64 v[16:17], v[16:17], v[24:25], v[20:21]
	v_fma_f64 v[28:29], v[18:19], v[26:27], v[16:17]
	ds_load_2addr_b64 v[16:19], v14 offset1:32
	ds_load_b128 v[20:23], v9 offset:128
	ds_load_b128 v[24:27], v9 offset:144
	;; [unrolled: 22-line block ×3, first 2 shown]
	s_wait_dscnt 0x1
	v_fma_f64 v[16:17], v[16:17], v[20:21], v[28:29]
	s_delay_alu instid0(VALU_DEP_1) | instskip(SKIP_3) | instid1(VALU_DEP_1)
	v_fma_f64 v[20:21], v[18:19], v[22:23], v[16:17]
	ds_load_2addr_b64 v[16:19], v15 offset0:64 offset1:96
	s_wait_dscnt 0x0
	v_fma_f64 v[16:17], v[16:17], v[24:25], v[20:21]
	v_fma_f64 v[28:29], v[18:19], v[26:27], v[16:17]
	ds_load_2addr_b64 v[16:19], v15 offset0:128 offset1:160
	ds_load_b128 v[20:23], v9 offset:224
	ds_load_b128 v[24:27], v9 offset:240
	s_wait_dscnt 0x1
	v_fma_f64 v[16:17], v[16:17], v[20:21], v[28:29]
	s_delay_alu instid0(VALU_DEP_1) | instskip(SKIP_3) | instid1(VALU_DEP_1)
	v_fma_f64 v[20:21], v[18:19], v[22:23], v[16:17]
	ds_load_2addr_b64 v[16:19], v15 offset0:192 offset1:224
	s_wait_dscnt 0x0
	v_fma_f64 v[16:17], v[16:17], v[24:25], v[20:21]
	v_fma_f64 v[16:17], v[18:19], v[26:27], v[16:17]
	s_wait_alu 0xfffe
	v_add_co_u32 v18, vcc_lo, v10, s12
	s_wait_alu 0xfffd
	v_add_co_ci_u32_e64 v19, null, s13, v11, vcc_lo
	s_delay_alu instid0(VALU_DEP_3)
	v_mul_f64_e32 v[16:17], s[24:25], v[16:17]
	global_store_b64 v[18:19], v[16:17], off
	s_branch .LBB65_2
.LBB65_19:
	s_endpgm
	.section	.rodata,"a",@progbits
	.p2align	6, 0x0
	.amdhsa_kernel _ZL23rocblas_trmm_lTx_kernelILi32ELb1EddKddEv13rocblas_fill_17rocblas_diagonal_iiT2_lPT3_llS5_llPT4_lli
		.amdhsa_group_segment_fixed_size 16384
		.amdhsa_private_segment_fixed_size 0
		.amdhsa_kernarg_size 108
		.amdhsa_user_sgpr_count 2
		.amdhsa_user_sgpr_dispatch_ptr 0
		.amdhsa_user_sgpr_queue_ptr 0
		.amdhsa_user_sgpr_kernarg_segment_ptr 1
		.amdhsa_user_sgpr_dispatch_id 0
		.amdhsa_user_sgpr_private_segment_size 0
		.amdhsa_wavefront_size32 1
		.amdhsa_uses_dynamic_stack 0
		.amdhsa_enable_private_segment 0
		.amdhsa_system_sgpr_workgroup_id_x 1
		.amdhsa_system_sgpr_workgroup_id_y 0
		.amdhsa_system_sgpr_workgroup_id_z 1
		.amdhsa_system_sgpr_workgroup_info 0
		.amdhsa_system_vgpr_workitem_id 1
		.amdhsa_next_free_vgpr 30
		.amdhsa_next_free_sgpr 29
		.amdhsa_reserve_vcc 1
		.amdhsa_float_round_mode_32 0
		.amdhsa_float_round_mode_16_64 0
		.amdhsa_float_denorm_mode_32 3
		.amdhsa_float_denorm_mode_16_64 3
		.amdhsa_fp16_overflow 0
		.amdhsa_workgroup_processor_mode 1
		.amdhsa_memory_ordered 1
		.amdhsa_forward_progress 1
		.amdhsa_inst_pref_size 13
		.amdhsa_round_robin_scheduling 0
		.amdhsa_exception_fp_ieee_invalid_op 0
		.amdhsa_exception_fp_denorm_src 0
		.amdhsa_exception_fp_ieee_div_zero 0
		.amdhsa_exception_fp_ieee_overflow 0
		.amdhsa_exception_fp_ieee_underflow 0
		.amdhsa_exception_fp_ieee_inexact 0
		.amdhsa_exception_int_div_zero 0
	.end_amdhsa_kernel
	.section	.text._ZL23rocblas_trmm_lTx_kernelILi32ELb1EddKddEv13rocblas_fill_17rocblas_diagonal_iiT2_lPT3_llS5_llPT4_lli,"axG",@progbits,_ZL23rocblas_trmm_lTx_kernelILi32ELb1EddKddEv13rocblas_fill_17rocblas_diagonal_iiT2_lPT3_llS5_llPT4_lli,comdat
.Lfunc_end65:
	.size	_ZL23rocblas_trmm_lTx_kernelILi32ELb1EddKddEv13rocblas_fill_17rocblas_diagonal_iiT2_lPT3_llS5_llPT4_lli, .Lfunc_end65-_ZL23rocblas_trmm_lTx_kernelILi32ELb1EddKddEv13rocblas_fill_17rocblas_diagonal_iiT2_lPT3_llS5_llPT4_lli
                                        ; -- End function
	.set _ZL23rocblas_trmm_lTx_kernelILi32ELb1EddKddEv13rocblas_fill_17rocblas_diagonal_iiT2_lPT3_llS5_llPT4_lli.num_vgpr, 30
	.set _ZL23rocblas_trmm_lTx_kernelILi32ELb1EddKddEv13rocblas_fill_17rocblas_diagonal_iiT2_lPT3_llS5_llPT4_lli.num_agpr, 0
	.set _ZL23rocblas_trmm_lTx_kernelILi32ELb1EddKddEv13rocblas_fill_17rocblas_diagonal_iiT2_lPT3_llS5_llPT4_lli.numbered_sgpr, 29
	.set _ZL23rocblas_trmm_lTx_kernelILi32ELb1EddKddEv13rocblas_fill_17rocblas_diagonal_iiT2_lPT3_llS5_llPT4_lli.num_named_barrier, 0
	.set _ZL23rocblas_trmm_lTx_kernelILi32ELb1EddKddEv13rocblas_fill_17rocblas_diagonal_iiT2_lPT3_llS5_llPT4_lli.private_seg_size, 0
	.set _ZL23rocblas_trmm_lTx_kernelILi32ELb1EddKddEv13rocblas_fill_17rocblas_diagonal_iiT2_lPT3_llS5_llPT4_lli.uses_vcc, 1
	.set _ZL23rocblas_trmm_lTx_kernelILi32ELb1EddKddEv13rocblas_fill_17rocblas_diagonal_iiT2_lPT3_llS5_llPT4_lli.uses_flat_scratch, 0
	.set _ZL23rocblas_trmm_lTx_kernelILi32ELb1EddKddEv13rocblas_fill_17rocblas_diagonal_iiT2_lPT3_llS5_llPT4_lli.has_dyn_sized_stack, 0
	.set _ZL23rocblas_trmm_lTx_kernelILi32ELb1EddKddEv13rocblas_fill_17rocblas_diagonal_iiT2_lPT3_llS5_llPT4_lli.has_recursion, 0
	.set _ZL23rocblas_trmm_lTx_kernelILi32ELb1EddKddEv13rocblas_fill_17rocblas_diagonal_iiT2_lPT3_llS5_llPT4_lli.has_indirect_call, 0
	.section	.AMDGPU.csdata,"",@progbits
; Kernel info:
; codeLenInByte = 1664
; TotalNumSgprs: 31
; NumVgprs: 30
; ScratchSize: 0
; MemoryBound: 0
; FloatMode: 240
; IeeeMode: 1
; LDSByteSize: 16384 bytes/workgroup (compile time only)
; SGPRBlocks: 0
; VGPRBlocks: 3
; NumSGPRsForWavesPerEU: 31
; NumVGPRsForWavesPerEU: 30
; Occupancy: 16
; WaveLimiterHint : 0
; COMPUTE_PGM_RSRC2:SCRATCH_EN: 0
; COMPUTE_PGM_RSRC2:USER_SGPR: 2
; COMPUTE_PGM_RSRC2:TRAP_HANDLER: 0
; COMPUTE_PGM_RSRC2:TGID_X_EN: 1
; COMPUTE_PGM_RSRC2:TGID_Y_EN: 0
; COMPUTE_PGM_RSRC2:TGID_Z_EN: 1
; COMPUTE_PGM_RSRC2:TIDIG_COMP_CNT: 1
	.section	.text._ZL23rocblas_trmm_rNx_kernelILi32EdPKdS0_dEv13rocblas_fill_17rocblas_diagonal_iiT1_lPT2_llS6_llPT3_lli,"axG",@progbits,_ZL23rocblas_trmm_rNx_kernelILi32EdPKdS0_dEv13rocblas_fill_17rocblas_diagonal_iiT1_lPT2_llS6_llPT3_lli,comdat
	.globl	_ZL23rocblas_trmm_rNx_kernelILi32EdPKdS0_dEv13rocblas_fill_17rocblas_diagonal_iiT1_lPT2_llS6_llPT3_lli ; -- Begin function _ZL23rocblas_trmm_rNx_kernelILi32EdPKdS0_dEv13rocblas_fill_17rocblas_diagonal_iiT1_lPT2_llS6_llPT3_lli
	.p2align	8
	.type	_ZL23rocblas_trmm_rNx_kernelILi32EdPKdS0_dEv13rocblas_fill_17rocblas_diagonal_iiT1_lPT2_llS6_llPT3_lli,@function
_ZL23rocblas_trmm_rNx_kernelILi32EdPKdS0_dEv13rocblas_fill_17rocblas_diagonal_iiT1_lPT2_llS6_llPT3_lli: ; @_ZL23rocblas_trmm_rNx_kernelILi32EdPKdS0_dEv13rocblas_fill_17rocblas_diagonal_iiT1_lPT2_llS6_llPT3_lli
; %bb.0:
	s_load_b32 s30, s[0:1], 0x68
	s_lshr_b32 s2, ttmp7, 16
	s_wait_kmcnt 0x0
	s_cmp_ge_u32 s2, s30
	s_cbranch_scc1 .LBB66_19
; %bb.1:
	s_clause 0x3
	s_load_b128 s[20:23], s[0:1], 0x0
	s_load_b512 s[4:19], s[0:1], 0x10
	s_load_b128 s[24:27], s[0:1], 0x50
	s_load_b64 s[28:29], s[0:1], 0x60
	v_bfe_u32 v15, v0, 10, 10
	v_dual_mov_b32 v0, 0 :: v_dual_and_b32 v1, 0x3ff, v0
	s_delay_alu instid0(VALU_DEP_1) | instskip(NEXT) | instid1(VALU_DEP_1)
	v_dual_mov_b32 v2, v0 :: v_dual_lshlrev_b32 v3, 5, v15
	v_add_lshl_u32 v4, v3, v1, 3
	s_delay_alu instid0(VALU_DEP_2) | instskip(NEXT) | instid1(VALU_DEP_2)
	v_lshlrev_b64_e32 v[2:3], 3, v[1:2]
	v_add_nc_u32_e32 v5, 0x2000, v4
	s_wait_kmcnt 0x0
	s_add_co_i32 s1, s22, -1
	v_mad_co_u64_u32 v[6:7], null, s10, v15, 0
	v_mad_co_u64_u32 v[8:9], null, s16, v15, 0
	v_mad_co_u64_u32 v[10:11], null, s26, v15, 0
	s_ashr_i32 s0, s1, 31
	v_cmp_gt_i32_e32 vcc_lo, s23, v15
	s_lshr_b32 s3, s0, 27
	v_cmp_gt_i32_e64 s0, s23, v1
	v_mad_co_u64_u32 v[12:13], null, s11, v15, v[7:8]
	s_add_co_i32 s1, s1, s3
	v_mad_co_u64_u32 v[13:14], null, s17, v15, v[9:10]
	s_ashr_i32 s3, s1, 5
	s_and_not1_b32 s1, s1, 31
	v_mov_b32_e32 v7, v12
	v_mad_co_u64_u32 v[11:12], null, s27, v15, v[11:12]
	s_sub_co_i32 s1, s22, s1
	s_cmp_ge_i32 ttmp9, s3
	s_mov_b32 s3, 0
	s_cselect_b32 s1, s1, 32
	s_and_b32 s10, vcc_lo, s0
	v_cmp_gt_i32_e64 s0, s1, v1
	v_lshlrev_b64_e32 v[11:12], 3, v[10:11]
	v_lshl_add_u32 v10, v1, 3, 0x2000
	v_mov_b32_e32 v9, v13
	s_lshl_b32 s16, ttmp9, 5
	s_and_b32 s11, vcc_lo, s0
	s_wait_alu 0xfffe
	s_ashr_i32 s17, s16, 31
	v_add_nc_u32_e32 v14, 0x800, v10
	v_lshlrev_b64_e32 v[6:7], 3, v[6:7]
	v_add_nc_u32_e32 v16, 0x1800, v10
	v_lshlrev_b64_e32 v[8:9], 3, v[8:9]
	s_wait_alu 0xfffe
	s_lshl_b64 s[16:17], s[16:17], 3
	s_cmp_eq_u32 s21, 0x84
	s_wait_alu 0xfffe
	s_add_nc_u64 s[14:15], s[14:15], s[16:17]
	v_add_co_u32 v6, vcc_lo, s8, v6
	s_delay_alu instid0(VALU_DEP_1)
	v_add_co_ci_u32_e64 v7, null, s9, v7, vcc_lo
	s_add_nc_u64 s[16:17], s[24:25], s[16:17]
	v_add_co_u32 v6, vcc_lo, v6, v2
	s_wait_alu 0xfffd
	v_add_co_ci_u32_e64 v7, null, v7, v3, vcc_lo
	v_add_co_u32 v8, vcc_lo, s14, v8
	s_wait_alu 0xfffd
	v_add_co_ci_u32_e64 v9, null, s15, v9, vcc_lo
	v_cmp_eq_u32_e32 vcc_lo, v15, v1
	s_cselect_b32 s1, -1, 0
	v_add_co_u32 v8, s0, v8, v2
	s_wait_alu 0xf1ff
	v_add_co_ci_u32_e64 v9, null, v9, v3, s0
	s_wait_alu 0xfffe
	s_and_b32 s8, vcc_lo, s1
	v_cmp_lt_u32_e64 s0, v1, v15
	v_cmp_gt_u32_e64 s1, v1, v15
	v_add_co_u32 v1, vcc_lo, s16, v11
	s_wait_alu 0xfffd
	v_add_co_ci_u32_e64 v13, null, s17, v12, vcc_lo
	v_lshlrev_b32_e32 v11, 8, v15
	s_delay_alu instid0(VALU_DEP_3) | instskip(SKIP_1) | instid1(VALU_DEP_3)
	v_add_co_u32 v12, vcc_lo, v1, v2
	s_wait_alu 0xfffd
	v_add_co_ci_u32_e64 v13, null, v13, v3, vcc_lo
	v_mov_b32_e32 v1, 0x3ff00000
	v_add_nc_u32_e32 v15, 0x1000, v10
	s_cmp_lg_u32 s20, 0x79
	s_cselect_b32 s9, -1, 0
	s_branch .LBB66_4
.LBB66_2:                               ;   in Loop: Header=BB66_4 Depth=1
	s_wait_alu 0xfffe
	s_or_b32 exec_lo, exec_lo, s14
.LBB66_3:                               ;   in Loop: Header=BB66_4 Depth=1
	s_add_co_i32 s2, s2, 0x10000
	s_delay_alu instid0(SALU_CYCLE_1)
	s_cmp_lt_u32 s2, s30
	s_cbranch_scc0 .LBB66_19
.LBB66_4:                               ; =>This Inner Loop Header: Depth=1
	s_mul_u64 s[14:15], s[6:7], s[2:3]
	s_wait_alu 0xfffe
	s_lshl_b64 s[14:15], s[14:15], 3
	s_wait_alu 0xfffe
	s_add_nc_u64 s[14:15], s[4:5], s[14:15]
	global_load_b64 v[2:3], v0, s[14:15]
	s_wait_loadcnt 0x0
	v_cmp_eq_f64_e32 vcc_lo, 0, v[2:3]
	s_cbranch_vccnz .LBB66_3
; %bb.5:                                ;   in Loop: Header=BB66_4 Depth=1
	s_mov_b32 s14, s3
	s_mov_b32 s15, s3
	s_wait_alu 0xfffe
	v_dual_mov_b32 v18, s15 :: v_dual_mov_b32 v17, s14
	ds_store_b64 v4, v[17:18]
	ds_store_b64 v5, v[17:18]
	s_and_saveexec_b32 s14, s10
	s_cbranch_execnz .LBB66_10
; %bb.6:                                ;   in Loop: Header=BB66_4 Depth=1
	s_wait_alu 0xfffe
	s_or_b32 exec_lo, exec_lo, s14
	s_and_saveexec_b32 s14, s11
	s_cbranch_execnz .LBB66_11
.LBB66_7:                               ;   in Loop: Header=BB66_4 Depth=1
	s_wait_alu 0xfffe
	s_or_b32 exec_lo, exec_lo, s14
	s_and_saveexec_b32 s14, s8
	s_cbranch_execnz .LBB66_12
.LBB66_8:                               ;   in Loop: Header=BB66_4 Depth=1
	s_wait_alu 0xfffe
	s_or_b32 exec_lo, exec_lo, s14
	s_delay_alu instid0(SALU_CYCLE_1)
	s_and_b32 vcc_lo, exec_lo, s9
	s_wait_alu 0xfffe
	s_cbranch_vccz .LBB66_13
.LBB66_9:                               ;   in Loop: Header=BB66_4 Depth=1
	s_and_b32 s14, s0, exec_lo
	s_cbranch_execz .LBB66_14
	s_branch .LBB66_15
.LBB66_10:                              ;   in Loop: Header=BB66_4 Depth=1
	s_mul_u64 s[16:17], s[12:13], s[2:3]
	s_wait_alu 0xfffe
	s_lshl_b64 s[16:17], s[16:17], 3
	s_wait_alu 0xfffe
	v_add_co_u32 v17, vcc_lo, v6, s16
	s_wait_alu 0xfffd
	v_add_co_ci_u32_e64 v18, null, s17, v7, vcc_lo
	global_load_b64 v[17:18], v[17:18], off
	s_wait_loadcnt 0x0
	ds_store_b64 v4, v[17:18]
	s_or_b32 exec_lo, exec_lo, s14
	s_and_saveexec_b32 s14, s11
	s_cbranch_execz .LBB66_7
.LBB66_11:                              ;   in Loop: Header=BB66_4 Depth=1
	s_mul_u64 s[16:17], s[18:19], s[2:3]
	s_wait_alu 0xfffe
	s_lshl_b64 s[16:17], s[16:17], 3
	s_wait_alu 0xfffe
	v_add_co_u32 v17, vcc_lo, v8, s16
	s_wait_alu 0xfffd
	v_add_co_ci_u32_e64 v18, null, s17, v9, vcc_lo
	global_load_b64 v[17:18], v[17:18], off
	s_wait_loadcnt 0x0
	ds_store_b64 v5, v[17:18]
	s_or_b32 exec_lo, exec_lo, s14
	s_and_saveexec_b32 s14, s8
	s_cbranch_execz .LBB66_8
.LBB66_12:                              ;   in Loop: Header=BB66_4 Depth=1
	ds_store_b64 v4, v[0:1]
	s_wait_alu 0xfffe
	s_or_b32 exec_lo, exec_lo, s14
	s_delay_alu instid0(SALU_CYCLE_1)
	s_and_b32 vcc_lo, exec_lo, s9
	s_wait_alu 0xfffe
	s_cbranch_vccnz .LBB66_9
.LBB66_13:                              ;   in Loop: Header=BB66_4 Depth=1
	s_mov_b32 s14, 0
.LBB66_14:                              ;   in Loop: Header=BB66_4 Depth=1
	s_wait_alu 0xfffe
	s_and_not1_b32 s14, s14, exec_lo
	s_and_b32 s15, s1, exec_lo
	s_wait_alu 0xfffe
	s_or_b32 s14, s14, s15
.LBB66_15:                              ;   in Loop: Header=BB66_4 Depth=1
	s_wait_alu 0xfffe
	s_and_saveexec_b32 s15, s14
; %bb.16:                               ;   in Loop: Header=BB66_4 Depth=1
	v_dual_mov_b32 v17, v0 :: v_dual_mov_b32 v18, v0
	ds_store_b64 v4, v[17:18]
; %bb.17:                               ;   in Loop: Header=BB66_4 Depth=1
	s_wait_alu 0xfffe
	s_or_b32 exec_lo, exec_lo, s15
	s_wait_dscnt 0x0
	s_barrier_signal -1
	s_barrier_wait -1
	global_inv scope:SCOPE_SE
	s_and_saveexec_b32 s14, s11
	s_cbranch_execz .LBB66_2
; %bb.18:                               ;   in Loop: Header=BB66_4 Depth=1
	ds_load_2addr_b64 v[17:20], v10 offset1:32
	ds_load_b128 v[21:24], v11
	ds_load_b128 v[25:28], v11 offset:16
	s_mul_u64 s[16:17], s[28:29], s[2:3]
	s_wait_alu 0xfffe
	s_lshl_b64 s[16:17], s[16:17], 3
	s_wait_dscnt 0x1
	v_fma_f64 v[17:18], v[17:18], v[21:22], 0
	s_delay_alu instid0(VALU_DEP_1) | instskip(SKIP_3) | instid1(VALU_DEP_1)
	v_fma_f64 v[21:22], v[19:20], v[23:24], v[17:18]
	ds_load_2addr_b64 v[17:20], v10 offset0:64 offset1:96
	s_wait_dscnt 0x0
	v_fma_f64 v[17:18], v[17:18], v[25:26], v[21:22]
	v_fma_f64 v[29:30], v[19:20], v[27:28], v[17:18]
	ds_load_2addr_b64 v[17:20], v10 offset0:128 offset1:160
	ds_load_b128 v[21:24], v11 offset:32
	ds_load_b128 v[25:28], v11 offset:48
	s_wait_dscnt 0x1
	v_fma_f64 v[17:18], v[17:18], v[21:22], v[29:30]
	s_delay_alu instid0(VALU_DEP_1) | instskip(SKIP_3) | instid1(VALU_DEP_1)
	v_fma_f64 v[21:22], v[19:20], v[23:24], v[17:18]
	ds_load_2addr_b64 v[17:20], v10 offset0:192 offset1:224
	s_wait_dscnt 0x0
	v_fma_f64 v[17:18], v[17:18], v[25:26], v[21:22]
	v_fma_f64 v[29:30], v[19:20], v[27:28], v[17:18]
	ds_load_2addr_b64 v[17:20], v14 offset1:32
	ds_load_b128 v[21:24], v11 offset:64
	ds_load_b128 v[25:28], v11 offset:80
	s_wait_dscnt 0x1
	v_fma_f64 v[17:18], v[17:18], v[21:22], v[29:30]
	s_delay_alu instid0(VALU_DEP_1) | instskip(SKIP_3) | instid1(VALU_DEP_1)
	v_fma_f64 v[21:22], v[19:20], v[23:24], v[17:18]
	ds_load_2addr_b64 v[17:20], v14 offset0:64 offset1:96
	s_wait_dscnt 0x0
	v_fma_f64 v[17:18], v[17:18], v[25:26], v[21:22]
	v_fma_f64 v[29:30], v[19:20], v[27:28], v[17:18]
	ds_load_2addr_b64 v[17:20], v14 offset0:128 offset1:160
	ds_load_b128 v[21:24], v11 offset:96
	ds_load_b128 v[25:28], v11 offset:112
	s_wait_dscnt 0x1
	v_fma_f64 v[17:18], v[17:18], v[21:22], v[29:30]
	s_delay_alu instid0(VALU_DEP_1) | instskip(SKIP_3) | instid1(VALU_DEP_1)
	v_fma_f64 v[21:22], v[19:20], v[23:24], v[17:18]
	ds_load_2addr_b64 v[17:20], v14 offset0:192 offset1:224
	s_wait_dscnt 0x0
	v_fma_f64 v[17:18], v[17:18], v[25:26], v[21:22]
	v_fma_f64 v[29:30], v[19:20], v[27:28], v[17:18]
	ds_load_2addr_b64 v[17:20], v15 offset1:32
	ds_load_b128 v[21:24], v11 offset:128
	ds_load_b128 v[25:28], v11 offset:144
	;; [unrolled: 22-line block ×3, first 2 shown]
	s_wait_dscnt 0x1
	v_fma_f64 v[17:18], v[17:18], v[21:22], v[29:30]
	s_delay_alu instid0(VALU_DEP_1) | instskip(SKIP_3) | instid1(VALU_DEP_1)
	v_fma_f64 v[21:22], v[19:20], v[23:24], v[17:18]
	ds_load_2addr_b64 v[17:20], v16 offset0:64 offset1:96
	s_wait_dscnt 0x0
	v_fma_f64 v[17:18], v[17:18], v[25:26], v[21:22]
	v_fma_f64 v[29:30], v[19:20], v[27:28], v[17:18]
	ds_load_2addr_b64 v[17:20], v16 offset0:128 offset1:160
	ds_load_b128 v[21:24], v11 offset:224
	ds_load_b128 v[25:28], v11 offset:240
	s_wait_dscnt 0x1
	v_fma_f64 v[17:18], v[17:18], v[21:22], v[29:30]
	s_delay_alu instid0(VALU_DEP_1) | instskip(SKIP_3) | instid1(VALU_DEP_1)
	v_fma_f64 v[21:22], v[19:20], v[23:24], v[17:18]
	ds_load_2addr_b64 v[17:20], v16 offset0:192 offset1:224
	s_wait_dscnt 0x0
	v_fma_f64 v[17:18], v[17:18], v[25:26], v[21:22]
	v_fma_f64 v[17:18], v[19:20], v[27:28], v[17:18]
	s_delay_alu instid0(VALU_DEP_1)
	v_mul_f64_e32 v[2:3], v[2:3], v[17:18]
	s_wait_alu 0xfffe
	v_add_co_u32 v17, vcc_lo, v12, s16
	s_wait_alu 0xfffd
	v_add_co_ci_u32_e64 v18, null, s17, v13, vcc_lo
	global_store_b64 v[17:18], v[2:3], off
	s_branch .LBB66_2
.LBB66_19:
	s_endpgm
	.section	.rodata,"a",@progbits
	.p2align	6, 0x0
	.amdhsa_kernel _ZL23rocblas_trmm_rNx_kernelILi32EdPKdS0_dEv13rocblas_fill_17rocblas_diagonal_iiT1_lPT2_llS6_llPT3_lli
		.amdhsa_group_segment_fixed_size 16384
		.amdhsa_private_segment_fixed_size 0
		.amdhsa_kernarg_size 108
		.amdhsa_user_sgpr_count 2
		.amdhsa_user_sgpr_dispatch_ptr 0
		.amdhsa_user_sgpr_queue_ptr 0
		.amdhsa_user_sgpr_kernarg_segment_ptr 1
		.amdhsa_user_sgpr_dispatch_id 0
		.amdhsa_user_sgpr_private_segment_size 0
		.amdhsa_wavefront_size32 1
		.amdhsa_uses_dynamic_stack 0
		.amdhsa_enable_private_segment 0
		.amdhsa_system_sgpr_workgroup_id_x 1
		.amdhsa_system_sgpr_workgroup_id_y 0
		.amdhsa_system_sgpr_workgroup_id_z 1
		.amdhsa_system_sgpr_workgroup_info 0
		.amdhsa_system_vgpr_workitem_id 1
		.amdhsa_next_free_vgpr 31
		.amdhsa_next_free_sgpr 31
		.amdhsa_reserve_vcc 1
		.amdhsa_float_round_mode_32 0
		.amdhsa_float_round_mode_16_64 0
		.amdhsa_float_denorm_mode_32 3
		.amdhsa_float_denorm_mode_16_64 3
		.amdhsa_fp16_overflow 0
		.amdhsa_workgroup_processor_mode 1
		.amdhsa_memory_ordered 1
		.amdhsa_forward_progress 1
		.amdhsa_inst_pref_size 13
		.amdhsa_round_robin_scheduling 0
		.amdhsa_exception_fp_ieee_invalid_op 0
		.amdhsa_exception_fp_denorm_src 0
		.amdhsa_exception_fp_ieee_div_zero 0
		.amdhsa_exception_fp_ieee_overflow 0
		.amdhsa_exception_fp_ieee_underflow 0
		.amdhsa_exception_fp_ieee_inexact 0
		.amdhsa_exception_int_div_zero 0
	.end_amdhsa_kernel
	.section	.text._ZL23rocblas_trmm_rNx_kernelILi32EdPKdS0_dEv13rocblas_fill_17rocblas_diagonal_iiT1_lPT2_llS6_llPT3_lli,"axG",@progbits,_ZL23rocblas_trmm_rNx_kernelILi32EdPKdS0_dEv13rocblas_fill_17rocblas_diagonal_iiT1_lPT2_llS6_llPT3_lli,comdat
.Lfunc_end66:
	.size	_ZL23rocblas_trmm_rNx_kernelILi32EdPKdS0_dEv13rocblas_fill_17rocblas_diagonal_iiT1_lPT2_llS6_llPT3_lli, .Lfunc_end66-_ZL23rocblas_trmm_rNx_kernelILi32EdPKdS0_dEv13rocblas_fill_17rocblas_diagonal_iiT1_lPT2_llS6_llPT3_lli
                                        ; -- End function
	.set _ZL23rocblas_trmm_rNx_kernelILi32EdPKdS0_dEv13rocblas_fill_17rocblas_diagonal_iiT1_lPT2_llS6_llPT3_lli.num_vgpr, 31
	.set _ZL23rocblas_trmm_rNx_kernelILi32EdPKdS0_dEv13rocblas_fill_17rocblas_diagonal_iiT1_lPT2_llS6_llPT3_lli.num_agpr, 0
	.set _ZL23rocblas_trmm_rNx_kernelILi32EdPKdS0_dEv13rocblas_fill_17rocblas_diagonal_iiT1_lPT2_llS6_llPT3_lli.numbered_sgpr, 31
	.set _ZL23rocblas_trmm_rNx_kernelILi32EdPKdS0_dEv13rocblas_fill_17rocblas_diagonal_iiT1_lPT2_llS6_llPT3_lli.num_named_barrier, 0
	.set _ZL23rocblas_trmm_rNx_kernelILi32EdPKdS0_dEv13rocblas_fill_17rocblas_diagonal_iiT1_lPT2_llS6_llPT3_lli.private_seg_size, 0
	.set _ZL23rocblas_trmm_rNx_kernelILi32EdPKdS0_dEv13rocblas_fill_17rocblas_diagonal_iiT1_lPT2_llS6_llPT3_lli.uses_vcc, 1
	.set _ZL23rocblas_trmm_rNx_kernelILi32EdPKdS0_dEv13rocblas_fill_17rocblas_diagonal_iiT1_lPT2_llS6_llPT3_lli.uses_flat_scratch, 0
	.set _ZL23rocblas_trmm_rNx_kernelILi32EdPKdS0_dEv13rocblas_fill_17rocblas_diagonal_iiT1_lPT2_llS6_llPT3_lli.has_dyn_sized_stack, 0
	.set _ZL23rocblas_trmm_rNx_kernelILi32EdPKdS0_dEv13rocblas_fill_17rocblas_diagonal_iiT1_lPT2_llS6_llPT3_lli.has_recursion, 0
	.set _ZL23rocblas_trmm_rNx_kernelILi32EdPKdS0_dEv13rocblas_fill_17rocblas_diagonal_iiT1_lPT2_llS6_llPT3_lli.has_indirect_call, 0
	.section	.AMDGPU.csdata,"",@progbits
; Kernel info:
; codeLenInByte = 1636
; TotalNumSgprs: 33
; NumVgprs: 31
; ScratchSize: 0
; MemoryBound: 0
; FloatMode: 240
; IeeeMode: 1
; LDSByteSize: 16384 bytes/workgroup (compile time only)
; SGPRBlocks: 0
; VGPRBlocks: 3
; NumSGPRsForWavesPerEU: 33
; NumVGPRsForWavesPerEU: 31
; Occupancy: 16
; WaveLimiterHint : 0
; COMPUTE_PGM_RSRC2:SCRATCH_EN: 0
; COMPUTE_PGM_RSRC2:USER_SGPR: 2
; COMPUTE_PGM_RSRC2:TRAP_HANDLER: 0
; COMPUTE_PGM_RSRC2:TGID_X_EN: 1
; COMPUTE_PGM_RSRC2:TGID_Y_EN: 0
; COMPUTE_PGM_RSRC2:TGID_Z_EN: 1
; COMPUTE_PGM_RSRC2:TIDIG_COMP_CNT: 1
	.section	.text._ZL23rocblas_trmm_rNx_kernelILi32EddKddEv13rocblas_fill_17rocblas_diagonal_iiT1_lPT2_llS5_llPT3_lli,"axG",@progbits,_ZL23rocblas_trmm_rNx_kernelILi32EddKddEv13rocblas_fill_17rocblas_diagonal_iiT1_lPT2_llS5_llPT3_lli,comdat
	.globl	_ZL23rocblas_trmm_rNx_kernelILi32EddKddEv13rocblas_fill_17rocblas_diagonal_iiT1_lPT2_llS5_llPT3_lli ; -- Begin function _ZL23rocblas_trmm_rNx_kernelILi32EddKddEv13rocblas_fill_17rocblas_diagonal_iiT1_lPT2_llS5_llPT3_lli
	.p2align	8
	.type	_ZL23rocblas_trmm_rNx_kernelILi32EddKddEv13rocblas_fill_17rocblas_diagonal_iiT1_lPT2_llS5_llPT3_lli,@function
_ZL23rocblas_trmm_rNx_kernelILi32EddKddEv13rocblas_fill_17rocblas_diagonal_iiT1_lPT2_llS5_llPT3_lli: ; @_ZL23rocblas_trmm_rNx_kernelILi32EddKddEv13rocblas_fill_17rocblas_diagonal_iiT1_lPT2_llS5_llPT3_lli
; %bb.0:
	s_load_b32 s28, s[0:1], 0x68
	s_lshr_b32 s2, ttmp7, 16
	s_wait_kmcnt 0x0
	s_cmp_ge_u32 s2, s28
	s_cbranch_scc1 .LBB67_19
; %bb.1:
	s_clause 0x1
	s_load_b128 s[20:23], s[0:1], 0x0
	s_load_b512 s[4:19], s[0:1], 0x20
	v_bfe_u32 v17, v0, 10, 10
	v_and_b32_e32 v8, 0x3ff, v0
	v_mov_b32_e32 v0, 0
	s_clause 0x1
	s_load_b64 s[24:25], s[0:1], 0x10
	s_load_b64 s[26:27], s[0:1], 0x60
	v_lshlrev_b32_e32 v1, 5, v17
	v_mov_b32_e32 v9, v0
	s_delay_alu instid0(VALU_DEP_2) | instskip(NEXT) | instid1(VALU_DEP_2)
	v_add_lshl_u32 v2, v1, v8, 3
	v_lshlrev_b64_e32 v[10:11], 3, v[8:9]
	v_lshlrev_b32_e32 v9, 8, v17
	s_delay_alu instid0(VALU_DEP_3)
	v_add_nc_u32_e32 v3, 0x2000, v2
	s_wait_kmcnt 0x0
	s_add_co_i32 s1, s22, -1
	v_mad_co_u64_u32 v[4:5], null, s6, v17, 0
	v_mad_co_u64_u32 v[6:7], null, s12, v17, 0
	s_ashr_i32 s0, s1, 31
	v_mad_co_u64_u32 v[12:13], null, s18, v17, 0
	s_lshr_b32 s3, s0, 27
	v_mov_b32_e32 v1, v5
	s_add_co_i32 s1, s1, s3
	v_mov_b32_e32 v5, v7
	s_ashr_i32 s3, s1, 5
	s_and_not1_b32 s1, s1, 31
	v_mad_co_u64_u32 v[14:15], null, s7, v17, v[1:2]
	s_delay_alu instid0(VALU_DEP_2)
	v_mad_co_u64_u32 v[15:16], null, s13, v17, v[5:6]
	v_cmp_gt_i32_e32 vcc_lo, s23, v17
	v_cmp_gt_i32_e64 s0, s23, v8
	s_sub_co_i32 s1, s22, s1
	s_cmp_ge_i32 ttmp9, s3
	v_mov_b32_e32 v5, v14
	s_cselect_b32 s1, s1, 32
	v_mov_b32_e32 v1, v13
	s_and_b32 s6, vcc_lo, s0
	v_cmp_gt_i32_e64 s0, s1, v8
	v_lshlrev_b64_e32 v[4:5], 3, v[4:5]
	v_mov_b32_e32 v7, v15
	v_mad_co_u64_u32 v[13:14], null, s19, v17, v[1:2]
	s_and_b32 s7, vcc_lo, s0
	s_lshl_b32 s12, ttmp9, 5
	v_add_co_u32 v1, vcc_lo, s4, v4
	s_delay_alu instid0(VALU_DEP_1)
	v_add_co_ci_u32_e64 v5, null, s5, v5, vcc_lo
	v_cmp_neq_f64_e64 s5, s[24:25], 0
	s_wait_alu 0xfffe
	s_ashr_i32 s13, s12, 31
	v_lshlrev_b64_e32 v[6:7], 3, v[6:7]
	s_wait_alu 0xfffe
	s_lshl_b64 s[12:13], s[12:13], 3
	v_add_co_u32 v4, vcc_lo, v1, v10
	s_wait_alu 0xfffe
	s_add_nc_u64 s[10:11], s[10:11], s[12:13]
	s_wait_alu 0xfffd
	v_add_co_ci_u32_e64 v5, null, v5, v11, vcc_lo
	v_add_co_u32 v1, vcc_lo, s10, v6
	v_lshlrev_b64_e32 v[12:13], 3, v[12:13]
	s_wait_alu 0xfffd
	v_add_co_ci_u32_e64 v7, null, s11, v7, vcc_lo
	v_cmp_eq_u32_e32 vcc_lo, v17, v8
	s_cmp_eq_u32 s21, 0x84
	s_add_nc_u64 s[12:13], s[16:17], s[12:13]
	s_cselect_b32 s1, -1, 0
	v_add_co_u32 v6, s0, v1, v10
	s_wait_alu 0xfffe
	s_and_b32 s4, vcc_lo, s1
	v_add_co_u32 v1, vcc_lo, s12, v12
	v_add_co_ci_u32_e64 v7, null, v7, v11, s0
	v_cmp_lt_u32_e64 s0, v8, v17
	v_cmp_gt_u32_e64 s1, v8, v17
	v_lshl_add_u32 v8, v8, 3, 0x2000
	s_wait_alu 0xfffd
	v_add_co_ci_u32_e64 v12, null, s13, v13, vcc_lo
	v_add_co_u32 v10, vcc_lo, v1, v10
	v_mov_b32_e32 v1, 0x3ff00000
	s_wait_alu 0xfffd
	s_delay_alu instid0(VALU_DEP_3)
	v_add_co_ci_u32_e64 v11, null, v12, v11, vcc_lo
	v_add_nc_u32_e32 v12, 0x800, v8
	v_add_nc_u32_e32 v13, 0x1000, v8
	;; [unrolled: 1-line block ×3, first 2 shown]
	s_cmp_lg_u32 s20, 0x79
	s_mov_b32 s3, 0
	s_cselect_b32 s10, -1, 0
	s_branch .LBB67_4
.LBB67_2:                               ;   in Loop: Header=BB67_4 Depth=1
	s_wait_alu 0xfffe
	s_or_b32 exec_lo, exec_lo, s11
.LBB67_3:                               ;   in Loop: Header=BB67_4 Depth=1
	s_add_co_i32 s2, s2, 0x10000
	s_delay_alu instid0(SALU_CYCLE_1)
	s_cmp_lt_u32 s2, s28
	s_cbranch_scc0 .LBB67_19
.LBB67_4:                               ; =>This Inner Loop Header: Depth=1
	s_and_not1_b32 vcc_lo, exec_lo, s5
	s_wait_alu 0xfffe
	s_cbranch_vccnz .LBB67_3
; %bb.5:                                ;   in Loop: Header=BB67_4 Depth=1
	s_mov_b32 s12, s3
	s_mov_b32 s13, s3
	s_wait_alu 0xfffe
	v_dual_mov_b32 v16, s13 :: v_dual_mov_b32 v15, s12
	ds_store_b64 v2, v[15:16]
	ds_store_b64 v3, v[15:16]
	s_and_saveexec_b32 s11, s6
	s_cbranch_execnz .LBB67_10
; %bb.6:                                ;   in Loop: Header=BB67_4 Depth=1
	s_wait_alu 0xfffe
	s_or_b32 exec_lo, exec_lo, s11
	s_and_saveexec_b32 s11, s7
	s_cbranch_execnz .LBB67_11
.LBB67_7:                               ;   in Loop: Header=BB67_4 Depth=1
	s_wait_alu 0xfffe
	s_or_b32 exec_lo, exec_lo, s11
	s_and_saveexec_b32 s11, s4
	s_cbranch_execnz .LBB67_12
.LBB67_8:                               ;   in Loop: Header=BB67_4 Depth=1
	s_wait_alu 0xfffe
	s_or_b32 exec_lo, exec_lo, s11
	s_delay_alu instid0(SALU_CYCLE_1)
	s_and_b32 vcc_lo, exec_lo, s10
	s_wait_alu 0xfffe
	s_cbranch_vccz .LBB67_13
.LBB67_9:                               ;   in Loop: Header=BB67_4 Depth=1
	s_and_b32 s11, s0, exec_lo
	s_cbranch_execz .LBB67_14
	s_branch .LBB67_15
.LBB67_10:                              ;   in Loop: Header=BB67_4 Depth=1
	s_mul_u64 s[12:13], s[8:9], s[2:3]
	s_wait_alu 0xfffe
	s_lshl_b64 s[12:13], s[12:13], 3
	s_wait_alu 0xfffe
	v_add_co_u32 v15, vcc_lo, v4, s12
	s_wait_alu 0xfffd
	v_add_co_ci_u32_e64 v16, null, s13, v5, vcc_lo
	global_load_b64 v[15:16], v[15:16], off
	s_wait_loadcnt 0x0
	ds_store_b64 v2, v[15:16]
	s_or_b32 exec_lo, exec_lo, s11
	s_and_saveexec_b32 s11, s7
	s_cbranch_execz .LBB67_7
.LBB67_11:                              ;   in Loop: Header=BB67_4 Depth=1
	s_mul_u64 s[12:13], s[14:15], s[2:3]
	s_wait_alu 0xfffe
	s_lshl_b64 s[12:13], s[12:13], 3
	s_wait_alu 0xfffe
	v_add_co_u32 v15, vcc_lo, v6, s12
	s_wait_alu 0xfffd
	v_add_co_ci_u32_e64 v16, null, s13, v7, vcc_lo
	global_load_b64 v[15:16], v[15:16], off
	s_wait_loadcnt 0x0
	ds_store_b64 v3, v[15:16]
	s_or_b32 exec_lo, exec_lo, s11
	s_and_saveexec_b32 s11, s4
	s_cbranch_execz .LBB67_8
.LBB67_12:                              ;   in Loop: Header=BB67_4 Depth=1
	ds_store_b64 v2, v[0:1]
	s_wait_alu 0xfffe
	s_or_b32 exec_lo, exec_lo, s11
	s_delay_alu instid0(SALU_CYCLE_1)
	s_and_b32 vcc_lo, exec_lo, s10
	s_wait_alu 0xfffe
	s_cbranch_vccnz .LBB67_9
.LBB67_13:                              ;   in Loop: Header=BB67_4 Depth=1
	s_mov_b32 s11, 0
.LBB67_14:                              ;   in Loop: Header=BB67_4 Depth=1
	s_wait_alu 0xfffe
	s_and_not1_b32 s11, s11, exec_lo
	s_and_b32 s12, s1, exec_lo
	s_wait_alu 0xfffe
	s_or_b32 s11, s11, s12
.LBB67_15:                              ;   in Loop: Header=BB67_4 Depth=1
	s_wait_alu 0xfffe
	s_and_saveexec_b32 s12, s11
; %bb.16:                               ;   in Loop: Header=BB67_4 Depth=1
	v_dual_mov_b32 v15, v0 :: v_dual_mov_b32 v16, v0
	ds_store_b64 v2, v[15:16]
; %bb.17:                               ;   in Loop: Header=BB67_4 Depth=1
	s_wait_alu 0xfffe
	s_or_b32 exec_lo, exec_lo, s12
	s_wait_dscnt 0x0
	s_barrier_signal -1
	s_barrier_wait -1
	global_inv scope:SCOPE_SE
	s_and_saveexec_b32 s11, s7
	s_cbranch_execz .LBB67_2
; %bb.18:                               ;   in Loop: Header=BB67_4 Depth=1
	ds_load_2addr_b64 v[15:18], v8 offset1:32
	ds_load_b128 v[19:22], v9
	ds_load_b128 v[23:26], v9 offset:16
	s_mul_u64 s[12:13], s[26:27], s[2:3]
	s_wait_alu 0xfffe
	s_lshl_b64 s[12:13], s[12:13], 3
	s_wait_dscnt 0x1
	v_fma_f64 v[15:16], v[15:16], v[19:20], 0
	s_delay_alu instid0(VALU_DEP_1) | instskip(SKIP_3) | instid1(VALU_DEP_1)
	v_fma_f64 v[19:20], v[17:18], v[21:22], v[15:16]
	ds_load_2addr_b64 v[15:18], v8 offset0:64 offset1:96
	s_wait_dscnt 0x0
	v_fma_f64 v[15:16], v[15:16], v[23:24], v[19:20]
	v_fma_f64 v[27:28], v[17:18], v[25:26], v[15:16]
	ds_load_2addr_b64 v[15:18], v8 offset0:128 offset1:160
	ds_load_b128 v[19:22], v9 offset:32
	ds_load_b128 v[23:26], v9 offset:48
	s_wait_dscnt 0x1
	v_fma_f64 v[15:16], v[15:16], v[19:20], v[27:28]
	s_delay_alu instid0(VALU_DEP_1) | instskip(SKIP_3) | instid1(VALU_DEP_1)
	v_fma_f64 v[19:20], v[17:18], v[21:22], v[15:16]
	ds_load_2addr_b64 v[15:18], v8 offset0:192 offset1:224
	s_wait_dscnt 0x0
	v_fma_f64 v[15:16], v[15:16], v[23:24], v[19:20]
	v_fma_f64 v[27:28], v[17:18], v[25:26], v[15:16]
	ds_load_2addr_b64 v[15:18], v12 offset1:32
	ds_load_b128 v[19:22], v9 offset:64
	ds_load_b128 v[23:26], v9 offset:80
	s_wait_dscnt 0x1
	v_fma_f64 v[15:16], v[15:16], v[19:20], v[27:28]
	s_delay_alu instid0(VALU_DEP_1) | instskip(SKIP_3) | instid1(VALU_DEP_1)
	v_fma_f64 v[19:20], v[17:18], v[21:22], v[15:16]
	ds_load_2addr_b64 v[15:18], v12 offset0:64 offset1:96
	s_wait_dscnt 0x0
	v_fma_f64 v[15:16], v[15:16], v[23:24], v[19:20]
	v_fma_f64 v[27:28], v[17:18], v[25:26], v[15:16]
	ds_load_2addr_b64 v[15:18], v12 offset0:128 offset1:160
	ds_load_b128 v[19:22], v9 offset:96
	ds_load_b128 v[23:26], v9 offset:112
	s_wait_dscnt 0x1
	v_fma_f64 v[15:16], v[15:16], v[19:20], v[27:28]
	s_delay_alu instid0(VALU_DEP_1) | instskip(SKIP_3) | instid1(VALU_DEP_1)
	v_fma_f64 v[19:20], v[17:18], v[21:22], v[15:16]
	ds_load_2addr_b64 v[15:18], v12 offset0:192 offset1:224
	s_wait_dscnt 0x0
	v_fma_f64 v[15:16], v[15:16], v[23:24], v[19:20]
	v_fma_f64 v[27:28], v[17:18], v[25:26], v[15:16]
	ds_load_2addr_b64 v[15:18], v13 offset1:32
	ds_load_b128 v[19:22], v9 offset:128
	ds_load_b128 v[23:26], v9 offset:144
	;; [unrolled: 22-line block ×3, first 2 shown]
	s_wait_dscnt 0x1
	v_fma_f64 v[15:16], v[15:16], v[19:20], v[27:28]
	s_delay_alu instid0(VALU_DEP_1) | instskip(SKIP_3) | instid1(VALU_DEP_1)
	v_fma_f64 v[19:20], v[17:18], v[21:22], v[15:16]
	ds_load_2addr_b64 v[15:18], v14 offset0:64 offset1:96
	s_wait_dscnt 0x0
	v_fma_f64 v[15:16], v[15:16], v[23:24], v[19:20]
	v_fma_f64 v[27:28], v[17:18], v[25:26], v[15:16]
	ds_load_2addr_b64 v[15:18], v14 offset0:128 offset1:160
	ds_load_b128 v[19:22], v9 offset:224
	ds_load_b128 v[23:26], v9 offset:240
	s_wait_dscnt 0x1
	v_fma_f64 v[15:16], v[15:16], v[19:20], v[27:28]
	s_delay_alu instid0(VALU_DEP_1) | instskip(SKIP_3) | instid1(VALU_DEP_1)
	v_fma_f64 v[19:20], v[17:18], v[21:22], v[15:16]
	ds_load_2addr_b64 v[15:18], v14 offset0:192 offset1:224
	s_wait_dscnt 0x0
	v_fma_f64 v[15:16], v[15:16], v[23:24], v[19:20]
	v_fma_f64 v[15:16], v[17:18], v[25:26], v[15:16]
	s_wait_alu 0xfffe
	v_add_co_u32 v17, vcc_lo, v10, s12
	s_wait_alu 0xfffd
	v_add_co_ci_u32_e64 v18, null, s13, v11, vcc_lo
	s_delay_alu instid0(VALU_DEP_3)
	v_mul_f64_e32 v[15:16], s[24:25], v[15:16]
	global_store_b64 v[17:18], v[15:16], off
	s_branch .LBB67_2
.LBB67_19:
	s_endpgm
	.section	.rodata,"a",@progbits
	.p2align	6, 0x0
	.amdhsa_kernel _ZL23rocblas_trmm_rNx_kernelILi32EddKddEv13rocblas_fill_17rocblas_diagonal_iiT1_lPT2_llS5_llPT3_lli
		.amdhsa_group_segment_fixed_size 16384
		.amdhsa_private_segment_fixed_size 0
		.amdhsa_kernarg_size 108
		.amdhsa_user_sgpr_count 2
		.amdhsa_user_sgpr_dispatch_ptr 0
		.amdhsa_user_sgpr_queue_ptr 0
		.amdhsa_user_sgpr_kernarg_segment_ptr 1
		.amdhsa_user_sgpr_dispatch_id 0
		.amdhsa_user_sgpr_private_segment_size 0
		.amdhsa_wavefront_size32 1
		.amdhsa_uses_dynamic_stack 0
		.amdhsa_enable_private_segment 0
		.amdhsa_system_sgpr_workgroup_id_x 1
		.amdhsa_system_sgpr_workgroup_id_y 0
		.amdhsa_system_sgpr_workgroup_id_z 1
		.amdhsa_system_sgpr_workgroup_info 0
		.amdhsa_system_vgpr_workitem_id 1
		.amdhsa_next_free_vgpr 29
		.amdhsa_next_free_sgpr 29
		.amdhsa_reserve_vcc 1
		.amdhsa_float_round_mode_32 0
		.amdhsa_float_round_mode_16_64 0
		.amdhsa_float_denorm_mode_32 3
		.amdhsa_float_denorm_mode_16_64 3
		.amdhsa_fp16_overflow 0
		.amdhsa_workgroup_processor_mode 1
		.amdhsa_memory_ordered 1
		.amdhsa_forward_progress 1
		.amdhsa_inst_pref_size 13
		.amdhsa_round_robin_scheduling 0
		.amdhsa_exception_fp_ieee_invalid_op 0
		.amdhsa_exception_fp_denorm_src 0
		.amdhsa_exception_fp_ieee_div_zero 0
		.amdhsa_exception_fp_ieee_overflow 0
		.amdhsa_exception_fp_ieee_underflow 0
		.amdhsa_exception_fp_ieee_inexact 0
		.amdhsa_exception_int_div_zero 0
	.end_amdhsa_kernel
	.section	.text._ZL23rocblas_trmm_rNx_kernelILi32EddKddEv13rocblas_fill_17rocblas_diagonal_iiT1_lPT2_llS5_llPT3_lli,"axG",@progbits,_ZL23rocblas_trmm_rNx_kernelILi32EddKddEv13rocblas_fill_17rocblas_diagonal_iiT1_lPT2_llS5_llPT3_lli,comdat
.Lfunc_end67:
	.size	_ZL23rocblas_trmm_rNx_kernelILi32EddKddEv13rocblas_fill_17rocblas_diagonal_iiT1_lPT2_llS5_llPT3_lli, .Lfunc_end67-_ZL23rocblas_trmm_rNx_kernelILi32EddKddEv13rocblas_fill_17rocblas_diagonal_iiT1_lPT2_llS5_llPT3_lli
                                        ; -- End function
	.set _ZL23rocblas_trmm_rNx_kernelILi32EddKddEv13rocblas_fill_17rocblas_diagonal_iiT1_lPT2_llS5_llPT3_lli.num_vgpr, 29
	.set _ZL23rocblas_trmm_rNx_kernelILi32EddKddEv13rocblas_fill_17rocblas_diagonal_iiT1_lPT2_llS5_llPT3_lli.num_agpr, 0
	.set _ZL23rocblas_trmm_rNx_kernelILi32EddKddEv13rocblas_fill_17rocblas_diagonal_iiT1_lPT2_llS5_llPT3_lli.numbered_sgpr, 29
	.set _ZL23rocblas_trmm_rNx_kernelILi32EddKddEv13rocblas_fill_17rocblas_diagonal_iiT1_lPT2_llS5_llPT3_lli.num_named_barrier, 0
	.set _ZL23rocblas_trmm_rNx_kernelILi32EddKddEv13rocblas_fill_17rocblas_diagonal_iiT1_lPT2_llS5_llPT3_lli.private_seg_size, 0
	.set _ZL23rocblas_trmm_rNx_kernelILi32EddKddEv13rocblas_fill_17rocblas_diagonal_iiT1_lPT2_llS5_llPT3_lli.uses_vcc, 1
	.set _ZL23rocblas_trmm_rNx_kernelILi32EddKddEv13rocblas_fill_17rocblas_diagonal_iiT1_lPT2_llS5_llPT3_lli.uses_flat_scratch, 0
	.set _ZL23rocblas_trmm_rNx_kernelILi32EddKddEv13rocblas_fill_17rocblas_diagonal_iiT1_lPT2_llS5_llPT3_lli.has_dyn_sized_stack, 0
	.set _ZL23rocblas_trmm_rNx_kernelILi32EddKddEv13rocblas_fill_17rocblas_diagonal_iiT1_lPT2_llS5_llPT3_lli.has_recursion, 0
	.set _ZL23rocblas_trmm_rNx_kernelILi32EddKddEv13rocblas_fill_17rocblas_diagonal_iiT1_lPT2_llS5_llPT3_lli.has_indirect_call, 0
	.section	.AMDGPU.csdata,"",@progbits
; Kernel info:
; codeLenInByte = 1628
; TotalNumSgprs: 31
; NumVgprs: 29
; ScratchSize: 0
; MemoryBound: 0
; FloatMode: 240
; IeeeMode: 1
; LDSByteSize: 16384 bytes/workgroup (compile time only)
; SGPRBlocks: 0
; VGPRBlocks: 3
; NumSGPRsForWavesPerEU: 31
; NumVGPRsForWavesPerEU: 29
; Occupancy: 16
; WaveLimiterHint : 0
; COMPUTE_PGM_RSRC2:SCRATCH_EN: 0
; COMPUTE_PGM_RSRC2:USER_SGPR: 2
; COMPUTE_PGM_RSRC2:TRAP_HANDLER: 0
; COMPUTE_PGM_RSRC2:TGID_X_EN: 1
; COMPUTE_PGM_RSRC2:TGID_Y_EN: 0
; COMPUTE_PGM_RSRC2:TGID_Z_EN: 1
; COMPUTE_PGM_RSRC2:TIDIG_COMP_CNT: 1
	.section	.text._ZL23rocblas_trmm_rTx_kernelILi32ELb0EdPKdS0_dEv13rocblas_fill_17rocblas_diagonal_iiT2_lPT3_llS6_llPT4_lli,"axG",@progbits,_ZL23rocblas_trmm_rTx_kernelILi32ELb0EdPKdS0_dEv13rocblas_fill_17rocblas_diagonal_iiT2_lPT3_llS6_llPT4_lli,comdat
	.globl	_ZL23rocblas_trmm_rTx_kernelILi32ELb0EdPKdS0_dEv13rocblas_fill_17rocblas_diagonal_iiT2_lPT3_llS6_llPT4_lli ; -- Begin function _ZL23rocblas_trmm_rTx_kernelILi32ELb0EdPKdS0_dEv13rocblas_fill_17rocblas_diagonal_iiT2_lPT3_llS6_llPT4_lli
	.p2align	8
	.type	_ZL23rocblas_trmm_rTx_kernelILi32ELb0EdPKdS0_dEv13rocblas_fill_17rocblas_diagonal_iiT2_lPT3_llS6_llPT4_lli,@function
_ZL23rocblas_trmm_rTx_kernelILi32ELb0EdPKdS0_dEv13rocblas_fill_17rocblas_diagonal_iiT2_lPT3_llS6_llPT4_lli: ; @_ZL23rocblas_trmm_rTx_kernelILi32ELb0EdPKdS0_dEv13rocblas_fill_17rocblas_diagonal_iiT2_lPT3_llS6_llPT4_lli
; %bb.0:
	s_load_b32 s30, s[0:1], 0x68
	s_lshr_b32 s2, ttmp7, 16
	s_wait_kmcnt 0x0
	s_cmp_ge_u32 s2, s30
	s_cbranch_scc1 .LBB68_19
; %bb.1:
	s_clause 0x3
	s_load_b128 s[20:23], s[0:1], 0x0
	s_load_b512 s[4:19], s[0:1], 0x10
	s_load_b128 s[24:27], s[0:1], 0x50
	s_load_b64 s[28:29], s[0:1], 0x60
	v_bfe_u32 v15, v0, 10, 10
	v_dual_mov_b32 v0, 0 :: v_dual_and_b32 v1, 0x3ff, v0
	s_delay_alu instid0(VALU_DEP_1) | instskip(NEXT) | instid1(VALU_DEP_1)
	v_dual_mov_b32 v2, v0 :: v_dual_lshlrev_b32 v3, 5, v15
	v_add_lshl_u32 v4, v3, v1, 3
	s_delay_alu instid0(VALU_DEP_2) | instskip(NEXT) | instid1(VALU_DEP_2)
	v_lshlrev_b64_e32 v[2:3], 3, v[1:2]
	v_add_nc_u32_e32 v5, 0x2000, v4
	s_wait_kmcnt 0x0
	s_add_co_i32 s1, s22, -1
	v_mad_co_u64_u32 v[6:7], null, s10, v15, 0
	v_mad_co_u64_u32 v[8:9], null, s16, v15, 0
	;; [unrolled: 1-line block ×3, first 2 shown]
	s_ashr_i32 s0, s1, 31
	v_cmp_gt_i32_e32 vcc_lo, s23, v15
	s_lshr_b32 s3, s0, 27
	v_cmp_gt_i32_e64 s0, s23, v1
	v_mad_co_u64_u32 v[12:13], null, s11, v15, v[7:8]
	s_add_co_i32 s1, s1, s3
	v_mad_co_u64_u32 v[13:14], null, s17, v15, v[9:10]
	s_ashr_i32 s3, s1, 5
	s_and_not1_b32 s1, s1, 31
	v_mov_b32_e32 v7, v12
	v_mad_co_u64_u32 v[11:12], null, s27, v15, v[11:12]
	s_sub_co_i32 s1, s22, s1
	s_cmp_ge_i32 ttmp9, s3
	s_mov_b32 s3, 0
	s_cselect_b32 s1, s1, 32
	s_and_b32 s10, vcc_lo, s0
	v_cmp_gt_i32_e64 s0, s1, v1
	v_lshlrev_b64_e32 v[11:12], 3, v[10:11]
	v_lshl_add_u32 v10, v1, 3, 0x2000
	v_mov_b32_e32 v9, v13
	s_lshl_b32 s16, ttmp9, 5
	s_and_b32 s11, vcc_lo, s0
	s_wait_alu 0xfffe
	s_ashr_i32 s17, s16, 31
	v_add_nc_u32_e32 v14, 0x800, v10
	v_lshlrev_b64_e32 v[6:7], 3, v[6:7]
	v_add_nc_u32_e32 v16, 0x1000, v10
	v_lshlrev_b64_e32 v[8:9], 3, v[8:9]
	s_wait_alu 0xfffe
	s_lshl_b64 s[16:17], s[16:17], 3
	s_cmp_eq_u32 s21, 0x84
	s_wait_alu 0xfffe
	s_add_nc_u64 s[14:15], s[14:15], s[16:17]
	v_add_co_u32 v6, vcc_lo, s8, v6
	s_delay_alu instid0(VALU_DEP_1)
	v_add_co_ci_u32_e64 v7, null, s9, v7, vcc_lo
	s_add_nc_u64 s[16:17], s[24:25], s[16:17]
	v_add_co_u32 v6, vcc_lo, v6, v2
	s_wait_alu 0xfffd
	v_add_co_ci_u32_e64 v7, null, v7, v3, vcc_lo
	v_add_co_u32 v8, vcc_lo, s14, v8
	s_wait_alu 0xfffd
	v_add_co_ci_u32_e64 v9, null, s15, v9, vcc_lo
	v_cmp_eq_u32_e32 vcc_lo, v15, v1
	s_cselect_b32 s1, -1, 0
	v_add_co_u32 v8, s0, v8, v2
	s_wait_alu 0xf1ff
	v_add_co_ci_u32_e64 v9, null, v9, v3, s0
	s_wait_alu 0xfffe
	s_and_b32 s8, vcc_lo, s1
	v_cmp_lt_u32_e64 s0, v1, v15
	v_cmp_gt_u32_e64 s1, v1, v15
	v_add_co_u32 v1, vcc_lo, s16, v11
	s_wait_alu 0xfffd
	v_add_co_ci_u32_e64 v13, null, s17, v12, vcc_lo
	v_lshlrev_b32_e32 v11, 3, v15
	s_delay_alu instid0(VALU_DEP_3) | instskip(SKIP_1) | instid1(VALU_DEP_3)
	v_add_co_u32 v12, vcc_lo, v1, v2
	s_wait_alu 0xfffd
	v_add_co_ci_u32_e64 v13, null, v13, v3, vcc_lo
	v_mov_b32_e32 v1, 0x3ff00000
	v_add_nc_u32_e32 v15, 0x800, v11
	v_add_nc_u32_e32 v17, 0x1000, v11
	;; [unrolled: 1-line block ×4, first 2 shown]
	s_cmp_lg_u32 s20, 0x79
	s_cselect_b32 s9, -1, 0
	s_branch .LBB68_4
.LBB68_2:                               ;   in Loop: Header=BB68_4 Depth=1
	s_wait_alu 0xfffe
	s_or_b32 exec_lo, exec_lo, s14
.LBB68_3:                               ;   in Loop: Header=BB68_4 Depth=1
	s_add_co_i32 s2, s2, 0x10000
	s_delay_alu instid0(SALU_CYCLE_1)
	s_cmp_lt_u32 s2, s30
	s_cbranch_scc0 .LBB68_19
.LBB68_4:                               ; =>This Inner Loop Header: Depth=1
	s_mul_u64 s[14:15], s[6:7], s[2:3]
	s_wait_alu 0xfffe
	s_lshl_b64 s[14:15], s[14:15], 3
	s_wait_alu 0xfffe
	s_add_nc_u64 s[14:15], s[4:5], s[14:15]
	global_load_b64 v[2:3], v0, s[14:15]
	s_wait_loadcnt 0x0
	v_cmp_eq_f64_e32 vcc_lo, 0, v[2:3]
	s_cbranch_vccnz .LBB68_3
; %bb.5:                                ;   in Loop: Header=BB68_4 Depth=1
	s_mov_b32 s14, s3
	s_mov_b32 s15, s3
	s_wait_alu 0xfffe
	v_dual_mov_b32 v21, s15 :: v_dual_mov_b32 v20, s14
	ds_store_b64 v4, v[20:21]
	ds_store_b64 v5, v[20:21]
	s_and_saveexec_b32 s14, s10
	s_cbranch_execnz .LBB68_10
; %bb.6:                                ;   in Loop: Header=BB68_4 Depth=1
	s_wait_alu 0xfffe
	s_or_b32 exec_lo, exec_lo, s14
	s_and_saveexec_b32 s14, s11
	s_cbranch_execnz .LBB68_11
.LBB68_7:                               ;   in Loop: Header=BB68_4 Depth=1
	s_wait_alu 0xfffe
	s_or_b32 exec_lo, exec_lo, s14
	s_and_saveexec_b32 s14, s8
	s_cbranch_execnz .LBB68_12
.LBB68_8:                               ;   in Loop: Header=BB68_4 Depth=1
	s_wait_alu 0xfffe
	s_or_b32 exec_lo, exec_lo, s14
	s_delay_alu instid0(SALU_CYCLE_1)
	s_and_b32 vcc_lo, exec_lo, s9
	s_wait_alu 0xfffe
	s_cbranch_vccz .LBB68_13
.LBB68_9:                               ;   in Loop: Header=BB68_4 Depth=1
	s_and_b32 s14, s0, exec_lo
	s_cbranch_execz .LBB68_14
	s_branch .LBB68_15
.LBB68_10:                              ;   in Loop: Header=BB68_4 Depth=1
	s_mul_u64 s[16:17], s[12:13], s[2:3]
	s_wait_alu 0xfffe
	s_lshl_b64 s[16:17], s[16:17], 3
	s_wait_alu 0xfffe
	v_add_co_u32 v20, vcc_lo, v6, s16
	s_wait_alu 0xfffd
	v_add_co_ci_u32_e64 v21, null, s17, v7, vcc_lo
	global_load_b64 v[20:21], v[20:21], off
	s_wait_loadcnt 0x0
	ds_store_b64 v4, v[20:21]
	s_or_b32 exec_lo, exec_lo, s14
	s_and_saveexec_b32 s14, s11
	s_cbranch_execz .LBB68_7
.LBB68_11:                              ;   in Loop: Header=BB68_4 Depth=1
	s_mul_u64 s[16:17], s[18:19], s[2:3]
	s_wait_alu 0xfffe
	s_lshl_b64 s[16:17], s[16:17], 3
	s_wait_alu 0xfffe
	v_add_co_u32 v20, vcc_lo, v8, s16
	s_wait_alu 0xfffd
	v_add_co_ci_u32_e64 v21, null, s17, v9, vcc_lo
	global_load_b64 v[20:21], v[20:21], off
	s_wait_loadcnt 0x0
	ds_store_b64 v5, v[20:21]
	s_or_b32 exec_lo, exec_lo, s14
	s_and_saveexec_b32 s14, s8
	s_cbranch_execz .LBB68_8
.LBB68_12:                              ;   in Loop: Header=BB68_4 Depth=1
	ds_store_b64 v4, v[0:1]
	s_wait_alu 0xfffe
	s_or_b32 exec_lo, exec_lo, s14
	s_delay_alu instid0(SALU_CYCLE_1)
	s_and_b32 vcc_lo, exec_lo, s9
	s_wait_alu 0xfffe
	s_cbranch_vccnz .LBB68_9
.LBB68_13:                              ;   in Loop: Header=BB68_4 Depth=1
	s_mov_b32 s14, 0
.LBB68_14:                              ;   in Loop: Header=BB68_4 Depth=1
	s_wait_alu 0xfffe
	s_and_not1_b32 s14, s14, exec_lo
	s_and_b32 s15, s1, exec_lo
	s_wait_alu 0xfffe
	s_or_b32 s14, s14, s15
.LBB68_15:                              ;   in Loop: Header=BB68_4 Depth=1
	s_wait_alu 0xfffe
	s_and_saveexec_b32 s15, s14
; %bb.16:                               ;   in Loop: Header=BB68_4 Depth=1
	v_dual_mov_b32 v20, v0 :: v_dual_mov_b32 v21, v0
	ds_store_b64 v4, v[20:21]
; %bb.17:                               ;   in Loop: Header=BB68_4 Depth=1
	s_wait_alu 0xfffe
	s_or_b32 exec_lo, exec_lo, s15
	s_wait_dscnt 0x0
	s_barrier_signal -1
	s_barrier_wait -1
	global_inv scope:SCOPE_SE
	s_and_saveexec_b32 s14, s11
	s_cbranch_execz .LBB68_2
; %bb.18:                               ;   in Loop: Header=BB68_4 Depth=1
	ds_load_2addr_b64 v[20:23], v10 offset1:32
	ds_load_2addr_b64 v[24:27], v11 offset1:32
	s_mul_u64 s[16:17], s[28:29], s[2:3]
	s_wait_alu 0xfffe
	s_lshl_b64 s[16:17], s[16:17], 3
	s_wait_dscnt 0x0
	v_fma_f64 v[20:21], v[20:21], v[24:25], 0
	s_delay_alu instid0(VALU_DEP_1) | instskip(SKIP_4) | instid1(VALU_DEP_1)
	v_fma_f64 v[28:29], v[22:23], v[26:27], v[20:21]
	ds_load_2addr_b64 v[20:23], v10 offset0:64 offset1:96
	ds_load_2addr_b64 v[24:27], v11 offset0:64 offset1:96
	s_wait_dscnt 0x0
	v_fma_f64 v[20:21], v[20:21], v[24:25], v[28:29]
	v_fma_f64 v[28:29], v[22:23], v[26:27], v[20:21]
	ds_load_2addr_b64 v[20:23], v10 offset0:128 offset1:160
	ds_load_2addr_b64 v[24:27], v11 offset0:128 offset1:160
	s_wait_dscnt 0x0
	v_fma_f64 v[20:21], v[20:21], v[24:25], v[28:29]
	s_delay_alu instid0(VALU_DEP_1) | instskip(SKIP_4) | instid1(VALU_DEP_1)
	v_fma_f64 v[28:29], v[22:23], v[26:27], v[20:21]
	ds_load_2addr_b64 v[20:23], v10 offset0:192 offset1:224
	ds_load_2addr_b64 v[24:27], v11 offset0:192 offset1:224
	s_wait_dscnt 0x0
	v_fma_f64 v[20:21], v[20:21], v[24:25], v[28:29]
	v_fma_f64 v[28:29], v[22:23], v[26:27], v[20:21]
	ds_load_2addr_b64 v[20:23], v14 offset1:32
	ds_load_2addr_b64 v[24:27], v15 offset1:32
	s_wait_dscnt 0x0
	v_fma_f64 v[20:21], v[20:21], v[24:25], v[28:29]
	s_delay_alu instid0(VALU_DEP_1) | instskip(SKIP_4) | instid1(VALU_DEP_1)
	v_fma_f64 v[28:29], v[22:23], v[26:27], v[20:21]
	ds_load_2addr_b64 v[20:23], v14 offset0:64 offset1:96
	ds_load_2addr_b64 v[24:27], v15 offset0:64 offset1:96
	s_wait_dscnt 0x0
	v_fma_f64 v[20:21], v[20:21], v[24:25], v[28:29]
	v_fma_f64 v[28:29], v[22:23], v[26:27], v[20:21]
	ds_load_2addr_b64 v[20:23], v14 offset0:128 offset1:160
	ds_load_2addr_b64 v[24:27], v15 offset0:128 offset1:160
	s_wait_dscnt 0x0
	v_fma_f64 v[20:21], v[20:21], v[24:25], v[28:29]
	s_delay_alu instid0(VALU_DEP_1) | instskip(SKIP_4) | instid1(VALU_DEP_1)
	v_fma_f64 v[28:29], v[22:23], v[26:27], v[20:21]
	ds_load_2addr_b64 v[20:23], v14 offset0:192 offset1:224
	ds_load_2addr_b64 v[24:27], v15 offset0:192 offset1:224
	s_wait_dscnt 0x0
	v_fma_f64 v[20:21], v[20:21], v[24:25], v[28:29]
	v_fma_f64 v[28:29], v[22:23], v[26:27], v[20:21]
	ds_load_2addr_b64 v[20:23], v16 offset1:32
	ds_load_2addr_b64 v[24:27], v17 offset1:32
	;; [unrolled: 22-line block ×3, first 2 shown]
	s_wait_dscnt 0x0
	v_fma_f64 v[20:21], v[20:21], v[24:25], v[28:29]
	s_delay_alu instid0(VALU_DEP_1) | instskip(SKIP_4) | instid1(VALU_DEP_1)
	v_fma_f64 v[28:29], v[22:23], v[26:27], v[20:21]
	ds_load_2addr_b64 v[20:23], v18 offset0:64 offset1:96
	ds_load_2addr_b64 v[24:27], v19 offset0:64 offset1:96
	s_wait_dscnt 0x0
	v_fma_f64 v[20:21], v[20:21], v[24:25], v[28:29]
	v_fma_f64 v[28:29], v[22:23], v[26:27], v[20:21]
	ds_load_2addr_b64 v[20:23], v18 offset0:128 offset1:160
	ds_load_2addr_b64 v[24:27], v19 offset0:128 offset1:160
	s_wait_dscnt 0x0
	v_fma_f64 v[20:21], v[20:21], v[24:25], v[28:29]
	s_delay_alu instid0(VALU_DEP_1) | instskip(SKIP_4) | instid1(VALU_DEP_1)
	v_fma_f64 v[28:29], v[22:23], v[26:27], v[20:21]
	ds_load_2addr_b64 v[20:23], v18 offset0:192 offset1:224
	ds_load_2addr_b64 v[24:27], v19 offset0:192 offset1:224
	s_wait_dscnt 0x0
	v_fma_f64 v[20:21], v[20:21], v[24:25], v[28:29]
	v_fma_f64 v[20:21], v[22:23], v[26:27], v[20:21]
	s_delay_alu instid0(VALU_DEP_1)
	v_mul_f64_e32 v[2:3], v[2:3], v[20:21]
	s_wait_alu 0xfffe
	v_add_co_u32 v20, vcc_lo, v12, s16
	s_wait_alu 0xfffd
	v_add_co_ci_u32_e64 v21, null, s17, v13, vcc_lo
	global_store_b64 v[20:21], v[2:3], off
	s_branch .LBB68_2
.LBB68_19:
	s_endpgm
	.section	.rodata,"a",@progbits
	.p2align	6, 0x0
	.amdhsa_kernel _ZL23rocblas_trmm_rTx_kernelILi32ELb0EdPKdS0_dEv13rocblas_fill_17rocblas_diagonal_iiT2_lPT3_llS6_llPT4_lli
		.amdhsa_group_segment_fixed_size 16384
		.amdhsa_private_segment_fixed_size 0
		.amdhsa_kernarg_size 108
		.amdhsa_user_sgpr_count 2
		.amdhsa_user_sgpr_dispatch_ptr 0
		.amdhsa_user_sgpr_queue_ptr 0
		.amdhsa_user_sgpr_kernarg_segment_ptr 1
		.amdhsa_user_sgpr_dispatch_id 0
		.amdhsa_user_sgpr_private_segment_size 0
		.amdhsa_wavefront_size32 1
		.amdhsa_uses_dynamic_stack 0
		.amdhsa_enable_private_segment 0
		.amdhsa_system_sgpr_workgroup_id_x 1
		.amdhsa_system_sgpr_workgroup_id_y 0
		.amdhsa_system_sgpr_workgroup_id_z 1
		.amdhsa_system_sgpr_workgroup_info 0
		.amdhsa_system_vgpr_workitem_id 1
		.amdhsa_next_free_vgpr 30
		.amdhsa_next_free_sgpr 31
		.amdhsa_reserve_vcc 1
		.amdhsa_float_round_mode_32 0
		.amdhsa_float_round_mode_16_64 0
		.amdhsa_float_denorm_mode_32 3
		.amdhsa_float_denorm_mode_16_64 3
		.amdhsa_fp16_overflow 0
		.amdhsa_workgroup_processor_mode 1
		.amdhsa_memory_ordered 1
		.amdhsa_forward_progress 1
		.amdhsa_inst_pref_size 13
		.amdhsa_round_robin_scheduling 0
		.amdhsa_exception_fp_ieee_invalid_op 0
		.amdhsa_exception_fp_denorm_src 0
		.amdhsa_exception_fp_ieee_div_zero 0
		.amdhsa_exception_fp_ieee_overflow 0
		.amdhsa_exception_fp_ieee_underflow 0
		.amdhsa_exception_fp_ieee_inexact 0
		.amdhsa_exception_int_div_zero 0
	.end_amdhsa_kernel
	.section	.text._ZL23rocblas_trmm_rTx_kernelILi32ELb0EdPKdS0_dEv13rocblas_fill_17rocblas_diagonal_iiT2_lPT3_llS6_llPT4_lli,"axG",@progbits,_ZL23rocblas_trmm_rTx_kernelILi32ELb0EdPKdS0_dEv13rocblas_fill_17rocblas_diagonal_iiT2_lPT3_llS6_llPT4_lli,comdat
.Lfunc_end68:
	.size	_ZL23rocblas_trmm_rTx_kernelILi32ELb0EdPKdS0_dEv13rocblas_fill_17rocblas_diagonal_iiT2_lPT3_llS6_llPT4_lli, .Lfunc_end68-_ZL23rocblas_trmm_rTx_kernelILi32ELb0EdPKdS0_dEv13rocblas_fill_17rocblas_diagonal_iiT2_lPT3_llS6_llPT4_lli
                                        ; -- End function
	.set _ZL23rocblas_trmm_rTx_kernelILi32ELb0EdPKdS0_dEv13rocblas_fill_17rocblas_diagonal_iiT2_lPT3_llS6_llPT4_lli.num_vgpr, 30
	.set _ZL23rocblas_trmm_rTx_kernelILi32ELb0EdPKdS0_dEv13rocblas_fill_17rocblas_diagonal_iiT2_lPT3_llS6_llPT4_lli.num_agpr, 0
	.set _ZL23rocblas_trmm_rTx_kernelILi32ELb0EdPKdS0_dEv13rocblas_fill_17rocblas_diagonal_iiT2_lPT3_llS6_llPT4_lli.numbered_sgpr, 31
	.set _ZL23rocblas_trmm_rTx_kernelILi32ELb0EdPKdS0_dEv13rocblas_fill_17rocblas_diagonal_iiT2_lPT3_llS6_llPT4_lli.num_named_barrier, 0
	.set _ZL23rocblas_trmm_rTx_kernelILi32ELb0EdPKdS0_dEv13rocblas_fill_17rocblas_diagonal_iiT2_lPT3_llS6_llPT4_lli.private_seg_size, 0
	.set _ZL23rocblas_trmm_rTx_kernelILi32ELb0EdPKdS0_dEv13rocblas_fill_17rocblas_diagonal_iiT2_lPT3_llS6_llPT4_lli.uses_vcc, 1
	.set _ZL23rocblas_trmm_rTx_kernelILi32ELb0EdPKdS0_dEv13rocblas_fill_17rocblas_diagonal_iiT2_lPT3_llS6_llPT4_lli.uses_flat_scratch, 0
	.set _ZL23rocblas_trmm_rTx_kernelILi32ELb0EdPKdS0_dEv13rocblas_fill_17rocblas_diagonal_iiT2_lPT3_llS6_llPT4_lli.has_dyn_sized_stack, 0
	.set _ZL23rocblas_trmm_rTx_kernelILi32ELb0EdPKdS0_dEv13rocblas_fill_17rocblas_diagonal_iiT2_lPT3_llS6_llPT4_lli.has_recursion, 0
	.set _ZL23rocblas_trmm_rTx_kernelILi32ELb0EdPKdS0_dEv13rocblas_fill_17rocblas_diagonal_iiT2_lPT3_llS6_llPT4_lli.has_indirect_call, 0
	.section	.AMDGPU.csdata,"",@progbits
; Kernel info:
; codeLenInByte = 1660
; TotalNumSgprs: 33
; NumVgprs: 30
; ScratchSize: 0
; MemoryBound: 0
; FloatMode: 240
; IeeeMode: 1
; LDSByteSize: 16384 bytes/workgroup (compile time only)
; SGPRBlocks: 0
; VGPRBlocks: 3
; NumSGPRsForWavesPerEU: 33
; NumVGPRsForWavesPerEU: 30
; Occupancy: 16
; WaveLimiterHint : 0
; COMPUTE_PGM_RSRC2:SCRATCH_EN: 0
; COMPUTE_PGM_RSRC2:USER_SGPR: 2
; COMPUTE_PGM_RSRC2:TRAP_HANDLER: 0
; COMPUTE_PGM_RSRC2:TGID_X_EN: 1
; COMPUTE_PGM_RSRC2:TGID_Y_EN: 0
; COMPUTE_PGM_RSRC2:TGID_Z_EN: 1
; COMPUTE_PGM_RSRC2:TIDIG_COMP_CNT: 1
	.section	.text._ZL23rocblas_trmm_rTx_kernelILi32ELb0EddKddEv13rocblas_fill_17rocblas_diagonal_iiT2_lPT3_llS5_llPT4_lli,"axG",@progbits,_ZL23rocblas_trmm_rTx_kernelILi32ELb0EddKddEv13rocblas_fill_17rocblas_diagonal_iiT2_lPT3_llS5_llPT4_lli,comdat
	.globl	_ZL23rocblas_trmm_rTx_kernelILi32ELb0EddKddEv13rocblas_fill_17rocblas_diagonal_iiT2_lPT3_llS5_llPT4_lli ; -- Begin function _ZL23rocblas_trmm_rTx_kernelILi32ELb0EddKddEv13rocblas_fill_17rocblas_diagonal_iiT2_lPT3_llS5_llPT4_lli
	.p2align	8
	.type	_ZL23rocblas_trmm_rTx_kernelILi32ELb0EddKddEv13rocblas_fill_17rocblas_diagonal_iiT2_lPT3_llS5_llPT4_lli,@function
_ZL23rocblas_trmm_rTx_kernelILi32ELb0EddKddEv13rocblas_fill_17rocblas_diagonal_iiT2_lPT3_llS5_llPT4_lli: ; @_ZL23rocblas_trmm_rTx_kernelILi32ELb0EddKddEv13rocblas_fill_17rocblas_diagonal_iiT2_lPT3_llS5_llPT4_lli
; %bb.0:
	s_load_b32 s28, s[0:1], 0x68
	s_lshr_b32 s2, ttmp7, 16
	s_wait_kmcnt 0x0
	s_cmp_ge_u32 s2, s28
	s_cbranch_scc1 .LBB69_19
; %bb.1:
	s_clause 0x1
	s_load_b128 s[20:23], s[0:1], 0x0
	s_load_b512 s[4:19], s[0:1], 0x20
	v_bfe_u32 v17, v0, 10, 10
	v_and_b32_e32 v8, 0x3ff, v0
	v_mov_b32_e32 v0, 0
	s_clause 0x1
	s_load_b64 s[24:25], s[0:1], 0x10
	s_load_b64 s[26:27], s[0:1], 0x60
	v_lshlrev_b32_e32 v1, 5, v17
	v_mov_b32_e32 v9, v0
	s_delay_alu instid0(VALU_DEP_2) | instskip(NEXT) | instid1(VALU_DEP_2)
	v_add_lshl_u32 v2, v1, v8, 3
	v_lshlrev_b64_e32 v[10:11], 3, v[8:9]
	v_lshlrev_b32_e32 v9, 3, v17
	s_delay_alu instid0(VALU_DEP_3)
	v_add_nc_u32_e32 v3, 0x2000, v2
	s_wait_kmcnt 0x0
	s_add_co_i32 s1, s22, -1
	v_mad_co_u64_u32 v[4:5], null, s6, v17, 0
	v_mad_co_u64_u32 v[6:7], null, s12, v17, 0
	s_ashr_i32 s0, s1, 31
	v_mad_co_u64_u32 v[12:13], null, s18, v17, 0
	s_lshr_b32 s3, s0, 27
	v_mov_b32_e32 v1, v5
	s_add_co_i32 s1, s1, s3
	v_mov_b32_e32 v5, v7
	s_ashr_i32 s3, s1, 5
	s_and_not1_b32 s1, s1, 31
	v_mad_co_u64_u32 v[14:15], null, s7, v17, v[1:2]
	s_delay_alu instid0(VALU_DEP_2)
	v_mad_co_u64_u32 v[15:16], null, s13, v17, v[5:6]
	v_cmp_gt_i32_e32 vcc_lo, s23, v17
	v_cmp_gt_i32_e64 s0, s23, v8
	s_sub_co_i32 s1, s22, s1
	s_cmp_ge_i32 ttmp9, s3
	v_mov_b32_e32 v5, v14
	s_cselect_b32 s1, s1, 32
	v_mov_b32_e32 v1, v13
	s_and_b32 s6, vcc_lo, s0
	v_cmp_gt_i32_e64 s0, s1, v8
	v_lshlrev_b64_e32 v[4:5], 3, v[4:5]
	v_mov_b32_e32 v7, v15
	v_mad_co_u64_u32 v[13:14], null, s19, v17, v[1:2]
	s_and_b32 s7, vcc_lo, s0
	s_lshl_b32 s12, ttmp9, 5
	v_add_co_u32 v1, vcc_lo, s4, v4
	s_delay_alu instid0(VALU_DEP_1)
	v_add_co_ci_u32_e64 v5, null, s5, v5, vcc_lo
	v_cmp_neq_f64_e64 s5, s[24:25], 0
	s_wait_alu 0xfffe
	s_ashr_i32 s13, s12, 31
	v_lshlrev_b64_e32 v[6:7], 3, v[6:7]
	s_wait_alu 0xfffe
	s_lshl_b64 s[12:13], s[12:13], 3
	v_add_co_u32 v4, vcc_lo, v1, v10
	s_wait_alu 0xfffe
	s_add_nc_u64 s[10:11], s[10:11], s[12:13]
	s_wait_alu 0xfffd
	v_add_co_ci_u32_e64 v5, null, v5, v11, vcc_lo
	v_add_co_u32 v1, vcc_lo, s10, v6
	v_lshlrev_b64_e32 v[12:13], 3, v[12:13]
	s_wait_alu 0xfffd
	v_add_co_ci_u32_e64 v7, null, s11, v7, vcc_lo
	v_cmp_eq_u32_e32 vcc_lo, v17, v8
	s_cmp_eq_u32 s21, 0x84
	s_add_nc_u64 s[12:13], s[16:17], s[12:13]
	s_cselect_b32 s1, -1, 0
	v_add_co_u32 v6, s0, v1, v10
	s_wait_alu 0xfffe
	s_and_b32 s4, vcc_lo, s1
	v_add_co_u32 v1, vcc_lo, s12, v12
	v_add_co_ci_u32_e64 v7, null, v7, v11, s0
	v_cmp_lt_u32_e64 s0, v8, v17
	v_cmp_gt_u32_e64 s1, v8, v17
	v_lshl_add_u32 v8, v8, 3, 0x2000
	s_wait_alu 0xfffd
	v_add_co_ci_u32_e64 v12, null, s13, v13, vcc_lo
	v_add_co_u32 v10, vcc_lo, v1, v10
	v_mov_b32_e32 v1, 0x3ff00000
	s_wait_alu 0xfffd
	s_delay_alu instid0(VALU_DEP_3)
	v_add_co_ci_u32_e64 v11, null, v12, v11, vcc_lo
	v_add_nc_u32_e32 v12, 0x800, v8
	v_add_nc_u32_e32 v13, 0x800, v9
	;; [unrolled: 1-line block ×6, first 2 shown]
	s_cmp_lg_u32 s20, 0x79
	s_mov_b32 s3, 0
	s_cselect_b32 s10, -1, 0
	s_branch .LBB69_4
.LBB69_2:                               ;   in Loop: Header=BB69_4 Depth=1
	s_wait_alu 0xfffe
	s_or_b32 exec_lo, exec_lo, s11
.LBB69_3:                               ;   in Loop: Header=BB69_4 Depth=1
	s_add_co_i32 s2, s2, 0x10000
	s_delay_alu instid0(SALU_CYCLE_1)
	s_cmp_lt_u32 s2, s28
	s_cbranch_scc0 .LBB69_19
.LBB69_4:                               ; =>This Inner Loop Header: Depth=1
	s_and_not1_b32 vcc_lo, exec_lo, s5
	s_wait_alu 0xfffe
	s_cbranch_vccnz .LBB69_3
; %bb.5:                                ;   in Loop: Header=BB69_4 Depth=1
	s_mov_b32 s12, s3
	s_mov_b32 s13, s3
	s_wait_alu 0xfffe
	v_dual_mov_b32 v19, s13 :: v_dual_mov_b32 v18, s12
	ds_store_b64 v2, v[18:19]
	ds_store_b64 v3, v[18:19]
	s_and_saveexec_b32 s11, s6
	s_cbranch_execnz .LBB69_10
; %bb.6:                                ;   in Loop: Header=BB69_4 Depth=1
	s_wait_alu 0xfffe
	s_or_b32 exec_lo, exec_lo, s11
	s_and_saveexec_b32 s11, s7
	s_cbranch_execnz .LBB69_11
.LBB69_7:                               ;   in Loop: Header=BB69_4 Depth=1
	s_wait_alu 0xfffe
	s_or_b32 exec_lo, exec_lo, s11
	s_and_saveexec_b32 s11, s4
	s_cbranch_execnz .LBB69_12
.LBB69_8:                               ;   in Loop: Header=BB69_4 Depth=1
	s_wait_alu 0xfffe
	s_or_b32 exec_lo, exec_lo, s11
	s_delay_alu instid0(SALU_CYCLE_1)
	s_and_b32 vcc_lo, exec_lo, s10
	s_wait_alu 0xfffe
	s_cbranch_vccz .LBB69_13
.LBB69_9:                               ;   in Loop: Header=BB69_4 Depth=1
	s_and_b32 s11, s0, exec_lo
	s_cbranch_execz .LBB69_14
	s_branch .LBB69_15
.LBB69_10:                              ;   in Loop: Header=BB69_4 Depth=1
	s_mul_u64 s[12:13], s[8:9], s[2:3]
	s_wait_alu 0xfffe
	s_lshl_b64 s[12:13], s[12:13], 3
	s_wait_alu 0xfffe
	v_add_co_u32 v18, vcc_lo, v4, s12
	s_wait_alu 0xfffd
	v_add_co_ci_u32_e64 v19, null, s13, v5, vcc_lo
	global_load_b64 v[18:19], v[18:19], off
	s_wait_loadcnt 0x0
	ds_store_b64 v2, v[18:19]
	s_or_b32 exec_lo, exec_lo, s11
	s_and_saveexec_b32 s11, s7
	s_cbranch_execz .LBB69_7
.LBB69_11:                              ;   in Loop: Header=BB69_4 Depth=1
	s_mul_u64 s[12:13], s[14:15], s[2:3]
	s_wait_alu 0xfffe
	s_lshl_b64 s[12:13], s[12:13], 3
	s_wait_alu 0xfffe
	v_add_co_u32 v18, vcc_lo, v6, s12
	s_wait_alu 0xfffd
	v_add_co_ci_u32_e64 v19, null, s13, v7, vcc_lo
	global_load_b64 v[18:19], v[18:19], off
	s_wait_loadcnt 0x0
	ds_store_b64 v3, v[18:19]
	s_or_b32 exec_lo, exec_lo, s11
	s_and_saveexec_b32 s11, s4
	s_cbranch_execz .LBB69_8
.LBB69_12:                              ;   in Loop: Header=BB69_4 Depth=1
	ds_store_b64 v2, v[0:1]
	s_wait_alu 0xfffe
	s_or_b32 exec_lo, exec_lo, s11
	s_delay_alu instid0(SALU_CYCLE_1)
	s_and_b32 vcc_lo, exec_lo, s10
	s_wait_alu 0xfffe
	s_cbranch_vccnz .LBB69_9
.LBB69_13:                              ;   in Loop: Header=BB69_4 Depth=1
	s_mov_b32 s11, 0
.LBB69_14:                              ;   in Loop: Header=BB69_4 Depth=1
	s_wait_alu 0xfffe
	s_and_not1_b32 s11, s11, exec_lo
	s_and_b32 s12, s1, exec_lo
	s_wait_alu 0xfffe
	s_or_b32 s11, s11, s12
.LBB69_15:                              ;   in Loop: Header=BB69_4 Depth=1
	s_wait_alu 0xfffe
	s_and_saveexec_b32 s12, s11
; %bb.16:                               ;   in Loop: Header=BB69_4 Depth=1
	v_dual_mov_b32 v18, v0 :: v_dual_mov_b32 v19, v0
	ds_store_b64 v2, v[18:19]
; %bb.17:                               ;   in Loop: Header=BB69_4 Depth=1
	s_wait_alu 0xfffe
	s_or_b32 exec_lo, exec_lo, s12
	s_wait_dscnt 0x0
	s_barrier_signal -1
	s_barrier_wait -1
	global_inv scope:SCOPE_SE
	s_and_saveexec_b32 s11, s7
	s_cbranch_execz .LBB69_2
; %bb.18:                               ;   in Loop: Header=BB69_4 Depth=1
	ds_load_2addr_b64 v[18:21], v8 offset1:32
	ds_load_2addr_b64 v[22:25], v9 offset1:32
	s_mul_u64 s[12:13], s[26:27], s[2:3]
	s_wait_alu 0xfffe
	s_lshl_b64 s[12:13], s[12:13], 3
	s_wait_dscnt 0x0
	v_fma_f64 v[18:19], v[18:19], v[22:23], 0
	s_delay_alu instid0(VALU_DEP_1) | instskip(SKIP_4) | instid1(VALU_DEP_1)
	v_fma_f64 v[26:27], v[20:21], v[24:25], v[18:19]
	ds_load_2addr_b64 v[18:21], v8 offset0:64 offset1:96
	ds_load_2addr_b64 v[22:25], v9 offset0:64 offset1:96
	s_wait_dscnt 0x0
	v_fma_f64 v[18:19], v[18:19], v[22:23], v[26:27]
	v_fma_f64 v[26:27], v[20:21], v[24:25], v[18:19]
	ds_load_2addr_b64 v[18:21], v8 offset0:128 offset1:160
	ds_load_2addr_b64 v[22:25], v9 offset0:128 offset1:160
	s_wait_dscnt 0x0
	v_fma_f64 v[18:19], v[18:19], v[22:23], v[26:27]
	s_delay_alu instid0(VALU_DEP_1) | instskip(SKIP_4) | instid1(VALU_DEP_1)
	v_fma_f64 v[26:27], v[20:21], v[24:25], v[18:19]
	ds_load_2addr_b64 v[18:21], v8 offset0:192 offset1:224
	ds_load_2addr_b64 v[22:25], v9 offset0:192 offset1:224
	s_wait_dscnt 0x0
	v_fma_f64 v[18:19], v[18:19], v[22:23], v[26:27]
	v_fma_f64 v[26:27], v[20:21], v[24:25], v[18:19]
	ds_load_2addr_b64 v[18:21], v12 offset1:32
	ds_load_2addr_b64 v[22:25], v13 offset1:32
	s_wait_dscnt 0x0
	v_fma_f64 v[18:19], v[18:19], v[22:23], v[26:27]
	s_delay_alu instid0(VALU_DEP_1) | instskip(SKIP_4) | instid1(VALU_DEP_1)
	v_fma_f64 v[26:27], v[20:21], v[24:25], v[18:19]
	ds_load_2addr_b64 v[18:21], v12 offset0:64 offset1:96
	ds_load_2addr_b64 v[22:25], v13 offset0:64 offset1:96
	s_wait_dscnt 0x0
	v_fma_f64 v[18:19], v[18:19], v[22:23], v[26:27]
	v_fma_f64 v[26:27], v[20:21], v[24:25], v[18:19]
	ds_load_2addr_b64 v[18:21], v12 offset0:128 offset1:160
	ds_load_2addr_b64 v[22:25], v13 offset0:128 offset1:160
	s_wait_dscnt 0x0
	v_fma_f64 v[18:19], v[18:19], v[22:23], v[26:27]
	s_delay_alu instid0(VALU_DEP_1) | instskip(SKIP_4) | instid1(VALU_DEP_1)
	v_fma_f64 v[26:27], v[20:21], v[24:25], v[18:19]
	ds_load_2addr_b64 v[18:21], v12 offset0:192 offset1:224
	ds_load_2addr_b64 v[22:25], v13 offset0:192 offset1:224
	s_wait_dscnt 0x0
	v_fma_f64 v[18:19], v[18:19], v[22:23], v[26:27]
	v_fma_f64 v[26:27], v[20:21], v[24:25], v[18:19]
	ds_load_2addr_b64 v[18:21], v14 offset1:32
	ds_load_2addr_b64 v[22:25], v15 offset1:32
	;; [unrolled: 22-line block ×3, first 2 shown]
	s_wait_dscnt 0x0
	v_fma_f64 v[18:19], v[18:19], v[22:23], v[26:27]
	s_delay_alu instid0(VALU_DEP_1) | instskip(SKIP_4) | instid1(VALU_DEP_1)
	v_fma_f64 v[26:27], v[20:21], v[24:25], v[18:19]
	ds_load_2addr_b64 v[18:21], v16 offset0:64 offset1:96
	ds_load_2addr_b64 v[22:25], v17 offset0:64 offset1:96
	s_wait_dscnt 0x0
	v_fma_f64 v[18:19], v[18:19], v[22:23], v[26:27]
	v_fma_f64 v[26:27], v[20:21], v[24:25], v[18:19]
	ds_load_2addr_b64 v[18:21], v16 offset0:128 offset1:160
	ds_load_2addr_b64 v[22:25], v17 offset0:128 offset1:160
	s_wait_dscnt 0x0
	v_fma_f64 v[18:19], v[18:19], v[22:23], v[26:27]
	s_delay_alu instid0(VALU_DEP_1) | instskip(SKIP_4) | instid1(VALU_DEP_1)
	v_fma_f64 v[26:27], v[20:21], v[24:25], v[18:19]
	ds_load_2addr_b64 v[18:21], v16 offset0:192 offset1:224
	ds_load_2addr_b64 v[22:25], v17 offset0:192 offset1:224
	s_wait_dscnt 0x0
	v_fma_f64 v[18:19], v[18:19], v[22:23], v[26:27]
	v_fma_f64 v[18:19], v[20:21], v[24:25], v[18:19]
	s_wait_alu 0xfffe
	v_add_co_u32 v20, vcc_lo, v10, s12
	s_wait_alu 0xfffd
	v_add_co_ci_u32_e64 v21, null, s13, v11, vcc_lo
	s_delay_alu instid0(VALU_DEP_3)
	v_mul_f64_e32 v[18:19], s[24:25], v[18:19]
	global_store_b64 v[20:21], v[18:19], off
	s_branch .LBB69_2
.LBB69_19:
	s_endpgm
	.section	.rodata,"a",@progbits
	.p2align	6, 0x0
	.amdhsa_kernel _ZL23rocblas_trmm_rTx_kernelILi32ELb0EddKddEv13rocblas_fill_17rocblas_diagonal_iiT2_lPT3_llS5_llPT4_lli
		.amdhsa_group_segment_fixed_size 16384
		.amdhsa_private_segment_fixed_size 0
		.amdhsa_kernarg_size 108
		.amdhsa_user_sgpr_count 2
		.amdhsa_user_sgpr_dispatch_ptr 0
		.amdhsa_user_sgpr_queue_ptr 0
		.amdhsa_user_sgpr_kernarg_segment_ptr 1
		.amdhsa_user_sgpr_dispatch_id 0
		.amdhsa_user_sgpr_private_segment_size 0
		.amdhsa_wavefront_size32 1
		.amdhsa_uses_dynamic_stack 0
		.amdhsa_enable_private_segment 0
		.amdhsa_system_sgpr_workgroup_id_x 1
		.amdhsa_system_sgpr_workgroup_id_y 0
		.amdhsa_system_sgpr_workgroup_id_z 1
		.amdhsa_system_sgpr_workgroup_info 0
		.amdhsa_system_vgpr_workitem_id 1
		.amdhsa_next_free_vgpr 28
		.amdhsa_next_free_sgpr 29
		.amdhsa_reserve_vcc 1
		.amdhsa_float_round_mode_32 0
		.amdhsa_float_round_mode_16_64 0
		.amdhsa_float_denorm_mode_32 3
		.amdhsa_float_denorm_mode_16_64 3
		.amdhsa_fp16_overflow 0
		.amdhsa_workgroup_processor_mode 1
		.amdhsa_memory_ordered 1
		.amdhsa_forward_progress 1
		.amdhsa_inst_pref_size 13
		.amdhsa_round_robin_scheduling 0
		.amdhsa_exception_fp_ieee_invalid_op 0
		.amdhsa_exception_fp_denorm_src 0
		.amdhsa_exception_fp_ieee_div_zero 0
		.amdhsa_exception_fp_ieee_overflow 0
		.amdhsa_exception_fp_ieee_underflow 0
		.amdhsa_exception_fp_ieee_inexact 0
		.amdhsa_exception_int_div_zero 0
	.end_amdhsa_kernel
	.section	.text._ZL23rocblas_trmm_rTx_kernelILi32ELb0EddKddEv13rocblas_fill_17rocblas_diagonal_iiT2_lPT3_llS5_llPT4_lli,"axG",@progbits,_ZL23rocblas_trmm_rTx_kernelILi32ELb0EddKddEv13rocblas_fill_17rocblas_diagonal_iiT2_lPT3_llS5_llPT4_lli,comdat
.Lfunc_end69:
	.size	_ZL23rocblas_trmm_rTx_kernelILi32ELb0EddKddEv13rocblas_fill_17rocblas_diagonal_iiT2_lPT3_llS5_llPT4_lli, .Lfunc_end69-_ZL23rocblas_trmm_rTx_kernelILi32ELb0EddKddEv13rocblas_fill_17rocblas_diagonal_iiT2_lPT3_llS5_llPT4_lli
                                        ; -- End function
	.set _ZL23rocblas_trmm_rTx_kernelILi32ELb0EddKddEv13rocblas_fill_17rocblas_diagonal_iiT2_lPT3_llS5_llPT4_lli.num_vgpr, 28
	.set _ZL23rocblas_trmm_rTx_kernelILi32ELb0EddKddEv13rocblas_fill_17rocblas_diagonal_iiT2_lPT3_llS5_llPT4_lli.num_agpr, 0
	.set _ZL23rocblas_trmm_rTx_kernelILi32ELb0EddKddEv13rocblas_fill_17rocblas_diagonal_iiT2_lPT3_llS5_llPT4_lli.numbered_sgpr, 29
	.set _ZL23rocblas_trmm_rTx_kernelILi32ELb0EddKddEv13rocblas_fill_17rocblas_diagonal_iiT2_lPT3_llS5_llPT4_lli.num_named_barrier, 0
	.set _ZL23rocblas_trmm_rTx_kernelILi32ELb0EddKddEv13rocblas_fill_17rocblas_diagonal_iiT2_lPT3_llS5_llPT4_lli.private_seg_size, 0
	.set _ZL23rocblas_trmm_rTx_kernelILi32ELb0EddKddEv13rocblas_fill_17rocblas_diagonal_iiT2_lPT3_llS5_llPT4_lli.uses_vcc, 1
	.set _ZL23rocblas_trmm_rTx_kernelILi32ELb0EddKddEv13rocblas_fill_17rocblas_diagonal_iiT2_lPT3_llS5_llPT4_lli.uses_flat_scratch, 0
	.set _ZL23rocblas_trmm_rTx_kernelILi32ELb0EddKddEv13rocblas_fill_17rocblas_diagonal_iiT2_lPT3_llS5_llPT4_lli.has_dyn_sized_stack, 0
	.set _ZL23rocblas_trmm_rTx_kernelILi32ELb0EddKddEv13rocblas_fill_17rocblas_diagonal_iiT2_lPT3_llS5_llPT4_lli.has_recursion, 0
	.set _ZL23rocblas_trmm_rTx_kernelILi32ELb0EddKddEv13rocblas_fill_17rocblas_diagonal_iiT2_lPT3_llS5_llPT4_lli.has_indirect_call, 0
	.section	.AMDGPU.csdata,"",@progbits
; Kernel info:
; codeLenInByte = 1652
; TotalNumSgprs: 31
; NumVgprs: 28
; ScratchSize: 0
; MemoryBound: 0
; FloatMode: 240
; IeeeMode: 1
; LDSByteSize: 16384 bytes/workgroup (compile time only)
; SGPRBlocks: 0
; VGPRBlocks: 3
; NumSGPRsForWavesPerEU: 31
; NumVGPRsForWavesPerEU: 28
; Occupancy: 16
; WaveLimiterHint : 0
; COMPUTE_PGM_RSRC2:SCRATCH_EN: 0
; COMPUTE_PGM_RSRC2:USER_SGPR: 2
; COMPUTE_PGM_RSRC2:TRAP_HANDLER: 0
; COMPUTE_PGM_RSRC2:TGID_X_EN: 1
; COMPUTE_PGM_RSRC2:TGID_Y_EN: 0
; COMPUTE_PGM_RSRC2:TGID_Z_EN: 1
; COMPUTE_PGM_RSRC2:TIDIG_COMP_CNT: 1
	.section	.text._ZL23rocblas_trmm_rTx_kernelILi32ELb1EdPKdS0_dEv13rocblas_fill_17rocblas_diagonal_iiT2_lPT3_llS6_llPT4_lli,"axG",@progbits,_ZL23rocblas_trmm_rTx_kernelILi32ELb1EdPKdS0_dEv13rocblas_fill_17rocblas_diagonal_iiT2_lPT3_llS6_llPT4_lli,comdat
	.globl	_ZL23rocblas_trmm_rTx_kernelILi32ELb1EdPKdS0_dEv13rocblas_fill_17rocblas_diagonal_iiT2_lPT3_llS6_llPT4_lli ; -- Begin function _ZL23rocblas_trmm_rTx_kernelILi32ELb1EdPKdS0_dEv13rocblas_fill_17rocblas_diagonal_iiT2_lPT3_llS6_llPT4_lli
	.p2align	8
	.type	_ZL23rocblas_trmm_rTx_kernelILi32ELb1EdPKdS0_dEv13rocblas_fill_17rocblas_diagonal_iiT2_lPT3_llS6_llPT4_lli,@function
_ZL23rocblas_trmm_rTx_kernelILi32ELb1EdPKdS0_dEv13rocblas_fill_17rocblas_diagonal_iiT2_lPT3_llS6_llPT4_lli: ; @_ZL23rocblas_trmm_rTx_kernelILi32ELb1EdPKdS0_dEv13rocblas_fill_17rocblas_diagonal_iiT2_lPT3_llS6_llPT4_lli
; %bb.0:
	s_load_b32 s30, s[0:1], 0x68
	s_lshr_b32 s2, ttmp7, 16
	s_wait_kmcnt 0x0
	s_cmp_ge_u32 s2, s30
	s_cbranch_scc1 .LBB70_19
; %bb.1:
	s_clause 0x3
	s_load_b128 s[20:23], s[0:1], 0x0
	s_load_b512 s[4:19], s[0:1], 0x10
	s_load_b128 s[24:27], s[0:1], 0x50
	s_load_b64 s[28:29], s[0:1], 0x60
	v_bfe_u32 v15, v0, 10, 10
	v_dual_mov_b32 v0, 0 :: v_dual_and_b32 v1, 0x3ff, v0
	s_delay_alu instid0(VALU_DEP_1) | instskip(NEXT) | instid1(VALU_DEP_1)
	v_dual_mov_b32 v2, v0 :: v_dual_lshlrev_b32 v3, 5, v15
	v_add_lshl_u32 v4, v3, v1, 3
	s_delay_alu instid0(VALU_DEP_2) | instskip(NEXT) | instid1(VALU_DEP_2)
	v_lshlrev_b64_e32 v[2:3], 3, v[1:2]
	v_add_nc_u32_e32 v5, 0x2000, v4
	s_wait_kmcnt 0x0
	s_add_co_i32 s1, s22, -1
	v_mad_co_u64_u32 v[6:7], null, s10, v15, 0
	v_mad_co_u64_u32 v[8:9], null, s16, v15, 0
	;; [unrolled: 1-line block ×3, first 2 shown]
	s_ashr_i32 s0, s1, 31
	v_cmp_gt_i32_e32 vcc_lo, s23, v15
	s_lshr_b32 s3, s0, 27
	v_cmp_gt_i32_e64 s0, s23, v1
	v_mad_co_u64_u32 v[12:13], null, s11, v15, v[7:8]
	s_add_co_i32 s1, s1, s3
	v_mad_co_u64_u32 v[13:14], null, s17, v15, v[9:10]
	s_ashr_i32 s3, s1, 5
	s_and_not1_b32 s1, s1, 31
	v_mov_b32_e32 v7, v12
	v_mad_co_u64_u32 v[11:12], null, s27, v15, v[11:12]
	s_sub_co_i32 s1, s22, s1
	s_cmp_ge_i32 ttmp9, s3
	s_mov_b32 s3, 0
	s_cselect_b32 s1, s1, 32
	s_and_b32 s10, vcc_lo, s0
	v_cmp_gt_i32_e64 s0, s1, v1
	v_lshlrev_b64_e32 v[11:12], 3, v[10:11]
	v_lshl_add_u32 v10, v1, 3, 0x2000
	v_mov_b32_e32 v9, v13
	s_lshl_b32 s16, ttmp9, 5
	s_and_b32 s11, vcc_lo, s0
	s_wait_alu 0xfffe
	s_ashr_i32 s17, s16, 31
	v_add_nc_u32_e32 v14, 0x800, v10
	v_lshlrev_b64_e32 v[6:7], 3, v[6:7]
	v_add_nc_u32_e32 v16, 0x1000, v10
	v_lshlrev_b64_e32 v[8:9], 3, v[8:9]
	s_wait_alu 0xfffe
	s_lshl_b64 s[16:17], s[16:17], 3
	s_cmp_eq_u32 s21, 0x84
	s_wait_alu 0xfffe
	s_add_nc_u64 s[14:15], s[14:15], s[16:17]
	v_add_co_u32 v6, vcc_lo, s8, v6
	s_delay_alu instid0(VALU_DEP_1)
	v_add_co_ci_u32_e64 v7, null, s9, v7, vcc_lo
	s_add_nc_u64 s[16:17], s[24:25], s[16:17]
	v_add_co_u32 v6, vcc_lo, v6, v2
	s_wait_alu 0xfffd
	v_add_co_ci_u32_e64 v7, null, v7, v3, vcc_lo
	v_add_co_u32 v8, vcc_lo, s14, v8
	s_wait_alu 0xfffd
	v_add_co_ci_u32_e64 v9, null, s15, v9, vcc_lo
	v_cmp_eq_u32_e32 vcc_lo, v15, v1
	s_cselect_b32 s1, -1, 0
	v_add_co_u32 v8, s0, v8, v2
	s_wait_alu 0xf1ff
	v_add_co_ci_u32_e64 v9, null, v9, v3, s0
	s_wait_alu 0xfffe
	s_and_b32 s8, vcc_lo, s1
	v_cmp_lt_u32_e64 s0, v1, v15
	v_cmp_gt_u32_e64 s1, v1, v15
	v_add_co_u32 v1, vcc_lo, s16, v11
	s_wait_alu 0xfffd
	v_add_co_ci_u32_e64 v13, null, s17, v12, vcc_lo
	v_lshlrev_b32_e32 v11, 3, v15
	s_delay_alu instid0(VALU_DEP_3) | instskip(SKIP_1) | instid1(VALU_DEP_3)
	v_add_co_u32 v12, vcc_lo, v1, v2
	s_wait_alu 0xfffd
	v_add_co_ci_u32_e64 v13, null, v13, v3, vcc_lo
	v_mov_b32_e32 v1, 0x3ff00000
	v_add_nc_u32_e32 v15, 0x800, v11
	v_add_nc_u32_e32 v17, 0x1000, v11
	;; [unrolled: 1-line block ×4, first 2 shown]
	s_cmp_lg_u32 s20, 0x79
	s_cselect_b32 s9, -1, 0
	s_branch .LBB70_4
.LBB70_2:                               ;   in Loop: Header=BB70_4 Depth=1
	s_wait_alu 0xfffe
	s_or_b32 exec_lo, exec_lo, s14
.LBB70_3:                               ;   in Loop: Header=BB70_4 Depth=1
	s_add_co_i32 s2, s2, 0x10000
	s_delay_alu instid0(SALU_CYCLE_1)
	s_cmp_lt_u32 s2, s30
	s_cbranch_scc0 .LBB70_19
.LBB70_4:                               ; =>This Inner Loop Header: Depth=1
	s_mul_u64 s[14:15], s[6:7], s[2:3]
	s_wait_alu 0xfffe
	s_lshl_b64 s[14:15], s[14:15], 3
	s_wait_alu 0xfffe
	s_add_nc_u64 s[14:15], s[4:5], s[14:15]
	global_load_b64 v[2:3], v0, s[14:15]
	s_wait_loadcnt 0x0
	v_cmp_eq_f64_e32 vcc_lo, 0, v[2:3]
	s_cbranch_vccnz .LBB70_3
; %bb.5:                                ;   in Loop: Header=BB70_4 Depth=1
	s_mov_b32 s14, s3
	s_mov_b32 s15, s3
	s_wait_alu 0xfffe
	v_dual_mov_b32 v21, s15 :: v_dual_mov_b32 v20, s14
	ds_store_b64 v4, v[20:21]
	ds_store_b64 v5, v[20:21]
	s_and_saveexec_b32 s14, s10
	s_cbranch_execnz .LBB70_10
; %bb.6:                                ;   in Loop: Header=BB70_4 Depth=1
	s_wait_alu 0xfffe
	s_or_b32 exec_lo, exec_lo, s14
	s_and_saveexec_b32 s14, s11
	s_cbranch_execnz .LBB70_11
.LBB70_7:                               ;   in Loop: Header=BB70_4 Depth=1
	s_wait_alu 0xfffe
	s_or_b32 exec_lo, exec_lo, s14
	s_and_saveexec_b32 s14, s8
	s_cbranch_execnz .LBB70_12
.LBB70_8:                               ;   in Loop: Header=BB70_4 Depth=1
	s_wait_alu 0xfffe
	s_or_b32 exec_lo, exec_lo, s14
	s_delay_alu instid0(SALU_CYCLE_1)
	s_and_b32 vcc_lo, exec_lo, s9
	s_wait_alu 0xfffe
	s_cbranch_vccz .LBB70_13
.LBB70_9:                               ;   in Loop: Header=BB70_4 Depth=1
	s_and_b32 s14, s0, exec_lo
	s_cbranch_execz .LBB70_14
	s_branch .LBB70_15
.LBB70_10:                              ;   in Loop: Header=BB70_4 Depth=1
	s_mul_u64 s[16:17], s[12:13], s[2:3]
	s_wait_alu 0xfffe
	s_lshl_b64 s[16:17], s[16:17], 3
	s_wait_alu 0xfffe
	v_add_co_u32 v20, vcc_lo, v6, s16
	s_wait_alu 0xfffd
	v_add_co_ci_u32_e64 v21, null, s17, v7, vcc_lo
	global_load_b64 v[20:21], v[20:21], off
	s_wait_loadcnt 0x0
	ds_store_b64 v4, v[20:21]
	s_or_b32 exec_lo, exec_lo, s14
	s_and_saveexec_b32 s14, s11
	s_cbranch_execz .LBB70_7
.LBB70_11:                              ;   in Loop: Header=BB70_4 Depth=1
	s_mul_u64 s[16:17], s[18:19], s[2:3]
	s_wait_alu 0xfffe
	s_lshl_b64 s[16:17], s[16:17], 3
	s_wait_alu 0xfffe
	v_add_co_u32 v20, vcc_lo, v8, s16
	s_wait_alu 0xfffd
	v_add_co_ci_u32_e64 v21, null, s17, v9, vcc_lo
	global_load_b64 v[20:21], v[20:21], off
	s_wait_loadcnt 0x0
	ds_store_b64 v5, v[20:21]
	s_or_b32 exec_lo, exec_lo, s14
	s_and_saveexec_b32 s14, s8
	s_cbranch_execz .LBB70_8
.LBB70_12:                              ;   in Loop: Header=BB70_4 Depth=1
	ds_store_b64 v4, v[0:1]
	s_wait_alu 0xfffe
	s_or_b32 exec_lo, exec_lo, s14
	s_delay_alu instid0(SALU_CYCLE_1)
	s_and_b32 vcc_lo, exec_lo, s9
	s_wait_alu 0xfffe
	s_cbranch_vccnz .LBB70_9
.LBB70_13:                              ;   in Loop: Header=BB70_4 Depth=1
	s_mov_b32 s14, 0
.LBB70_14:                              ;   in Loop: Header=BB70_4 Depth=1
	s_wait_alu 0xfffe
	s_and_not1_b32 s14, s14, exec_lo
	s_and_b32 s15, s1, exec_lo
	s_wait_alu 0xfffe
	s_or_b32 s14, s14, s15
.LBB70_15:                              ;   in Loop: Header=BB70_4 Depth=1
	s_wait_alu 0xfffe
	s_and_saveexec_b32 s15, s14
; %bb.16:                               ;   in Loop: Header=BB70_4 Depth=1
	v_dual_mov_b32 v20, v0 :: v_dual_mov_b32 v21, v0
	ds_store_b64 v4, v[20:21]
; %bb.17:                               ;   in Loop: Header=BB70_4 Depth=1
	s_wait_alu 0xfffe
	s_or_b32 exec_lo, exec_lo, s15
	s_wait_dscnt 0x0
	s_barrier_signal -1
	s_barrier_wait -1
	global_inv scope:SCOPE_SE
	s_and_saveexec_b32 s14, s11
	s_cbranch_execz .LBB70_2
; %bb.18:                               ;   in Loop: Header=BB70_4 Depth=1
	ds_load_2addr_b64 v[20:23], v10 offset1:32
	ds_load_2addr_b64 v[24:27], v11 offset1:32
	s_mul_u64 s[16:17], s[28:29], s[2:3]
	s_wait_alu 0xfffe
	s_lshl_b64 s[16:17], s[16:17], 3
	s_wait_dscnt 0x0
	v_fma_f64 v[20:21], v[20:21], v[24:25], 0
	s_delay_alu instid0(VALU_DEP_1) | instskip(SKIP_4) | instid1(VALU_DEP_1)
	v_fma_f64 v[28:29], v[22:23], v[26:27], v[20:21]
	ds_load_2addr_b64 v[20:23], v10 offset0:64 offset1:96
	ds_load_2addr_b64 v[24:27], v11 offset0:64 offset1:96
	s_wait_dscnt 0x0
	v_fma_f64 v[20:21], v[20:21], v[24:25], v[28:29]
	v_fma_f64 v[28:29], v[22:23], v[26:27], v[20:21]
	ds_load_2addr_b64 v[20:23], v10 offset0:128 offset1:160
	ds_load_2addr_b64 v[24:27], v11 offset0:128 offset1:160
	s_wait_dscnt 0x0
	v_fma_f64 v[20:21], v[20:21], v[24:25], v[28:29]
	s_delay_alu instid0(VALU_DEP_1) | instskip(SKIP_4) | instid1(VALU_DEP_1)
	v_fma_f64 v[28:29], v[22:23], v[26:27], v[20:21]
	ds_load_2addr_b64 v[20:23], v10 offset0:192 offset1:224
	ds_load_2addr_b64 v[24:27], v11 offset0:192 offset1:224
	s_wait_dscnt 0x0
	v_fma_f64 v[20:21], v[20:21], v[24:25], v[28:29]
	v_fma_f64 v[28:29], v[22:23], v[26:27], v[20:21]
	ds_load_2addr_b64 v[20:23], v14 offset1:32
	ds_load_2addr_b64 v[24:27], v15 offset1:32
	s_wait_dscnt 0x0
	v_fma_f64 v[20:21], v[20:21], v[24:25], v[28:29]
	s_delay_alu instid0(VALU_DEP_1) | instskip(SKIP_4) | instid1(VALU_DEP_1)
	v_fma_f64 v[28:29], v[22:23], v[26:27], v[20:21]
	ds_load_2addr_b64 v[20:23], v14 offset0:64 offset1:96
	ds_load_2addr_b64 v[24:27], v15 offset0:64 offset1:96
	s_wait_dscnt 0x0
	v_fma_f64 v[20:21], v[20:21], v[24:25], v[28:29]
	v_fma_f64 v[28:29], v[22:23], v[26:27], v[20:21]
	ds_load_2addr_b64 v[20:23], v14 offset0:128 offset1:160
	ds_load_2addr_b64 v[24:27], v15 offset0:128 offset1:160
	s_wait_dscnt 0x0
	v_fma_f64 v[20:21], v[20:21], v[24:25], v[28:29]
	s_delay_alu instid0(VALU_DEP_1) | instskip(SKIP_4) | instid1(VALU_DEP_1)
	v_fma_f64 v[28:29], v[22:23], v[26:27], v[20:21]
	ds_load_2addr_b64 v[20:23], v14 offset0:192 offset1:224
	ds_load_2addr_b64 v[24:27], v15 offset0:192 offset1:224
	s_wait_dscnt 0x0
	v_fma_f64 v[20:21], v[20:21], v[24:25], v[28:29]
	v_fma_f64 v[28:29], v[22:23], v[26:27], v[20:21]
	ds_load_2addr_b64 v[20:23], v16 offset1:32
	ds_load_2addr_b64 v[24:27], v17 offset1:32
	s_wait_dscnt 0x0
	v_fma_f64 v[20:21], v[20:21], v[24:25], v[28:29]
	s_delay_alu instid0(VALU_DEP_1) | instskip(SKIP_4) | instid1(VALU_DEP_1)
	v_fma_f64 v[28:29], v[22:23], v[26:27], v[20:21]
	ds_load_2addr_b64 v[20:23], v16 offset0:64 offset1:96
	ds_load_2addr_b64 v[24:27], v17 offset0:64 offset1:96
	s_wait_dscnt 0x0
	v_fma_f64 v[20:21], v[20:21], v[24:25], v[28:29]
	v_fma_f64 v[28:29], v[22:23], v[26:27], v[20:21]
	ds_load_2addr_b64 v[20:23], v16 offset0:128 offset1:160
	ds_load_2addr_b64 v[24:27], v17 offset0:128 offset1:160
	s_wait_dscnt 0x0
	v_fma_f64 v[20:21], v[20:21], v[24:25], v[28:29]
	s_delay_alu instid0(VALU_DEP_1) | instskip(SKIP_4) | instid1(VALU_DEP_1)
	v_fma_f64 v[28:29], v[22:23], v[26:27], v[20:21]
	ds_load_2addr_b64 v[20:23], v16 offset0:192 offset1:224
	ds_load_2addr_b64 v[24:27], v17 offset0:192 offset1:224
	s_wait_dscnt 0x0
	v_fma_f64 v[20:21], v[20:21], v[24:25], v[28:29]
	v_fma_f64 v[28:29], v[22:23], v[26:27], v[20:21]
	ds_load_2addr_b64 v[20:23], v18 offset1:32
	ds_load_2addr_b64 v[24:27], v19 offset1:32
	s_wait_dscnt 0x0
	v_fma_f64 v[20:21], v[20:21], v[24:25], v[28:29]
	s_delay_alu instid0(VALU_DEP_1) | instskip(SKIP_4) | instid1(VALU_DEP_1)
	v_fma_f64 v[28:29], v[22:23], v[26:27], v[20:21]
	ds_load_2addr_b64 v[20:23], v18 offset0:64 offset1:96
	ds_load_2addr_b64 v[24:27], v19 offset0:64 offset1:96
	s_wait_dscnt 0x0
	v_fma_f64 v[20:21], v[20:21], v[24:25], v[28:29]
	v_fma_f64 v[28:29], v[22:23], v[26:27], v[20:21]
	ds_load_2addr_b64 v[20:23], v18 offset0:128 offset1:160
	ds_load_2addr_b64 v[24:27], v19 offset0:128 offset1:160
	s_wait_dscnt 0x0
	v_fma_f64 v[20:21], v[20:21], v[24:25], v[28:29]
	s_delay_alu instid0(VALU_DEP_1) | instskip(SKIP_4) | instid1(VALU_DEP_1)
	v_fma_f64 v[28:29], v[22:23], v[26:27], v[20:21]
	ds_load_2addr_b64 v[20:23], v18 offset0:192 offset1:224
	ds_load_2addr_b64 v[24:27], v19 offset0:192 offset1:224
	s_wait_dscnt 0x0
	v_fma_f64 v[20:21], v[20:21], v[24:25], v[28:29]
	v_fma_f64 v[20:21], v[22:23], v[26:27], v[20:21]
	s_delay_alu instid0(VALU_DEP_1)
	v_mul_f64_e32 v[2:3], v[2:3], v[20:21]
	s_wait_alu 0xfffe
	v_add_co_u32 v20, vcc_lo, v12, s16
	s_wait_alu 0xfffd
	v_add_co_ci_u32_e64 v21, null, s17, v13, vcc_lo
	global_store_b64 v[20:21], v[2:3], off
	s_branch .LBB70_2
.LBB70_19:
	s_endpgm
	.section	.rodata,"a",@progbits
	.p2align	6, 0x0
	.amdhsa_kernel _ZL23rocblas_trmm_rTx_kernelILi32ELb1EdPKdS0_dEv13rocblas_fill_17rocblas_diagonal_iiT2_lPT3_llS6_llPT4_lli
		.amdhsa_group_segment_fixed_size 16384
		.amdhsa_private_segment_fixed_size 0
		.amdhsa_kernarg_size 108
		.amdhsa_user_sgpr_count 2
		.amdhsa_user_sgpr_dispatch_ptr 0
		.amdhsa_user_sgpr_queue_ptr 0
		.amdhsa_user_sgpr_kernarg_segment_ptr 1
		.amdhsa_user_sgpr_dispatch_id 0
		.amdhsa_user_sgpr_private_segment_size 0
		.amdhsa_wavefront_size32 1
		.amdhsa_uses_dynamic_stack 0
		.amdhsa_enable_private_segment 0
		.amdhsa_system_sgpr_workgroup_id_x 1
		.amdhsa_system_sgpr_workgroup_id_y 0
		.amdhsa_system_sgpr_workgroup_id_z 1
		.amdhsa_system_sgpr_workgroup_info 0
		.amdhsa_system_vgpr_workitem_id 1
		.amdhsa_next_free_vgpr 30
		.amdhsa_next_free_sgpr 31
		.amdhsa_reserve_vcc 1
		.amdhsa_float_round_mode_32 0
		.amdhsa_float_round_mode_16_64 0
		.amdhsa_float_denorm_mode_32 3
		.amdhsa_float_denorm_mode_16_64 3
		.amdhsa_fp16_overflow 0
		.amdhsa_workgroup_processor_mode 1
		.amdhsa_memory_ordered 1
		.amdhsa_forward_progress 1
		.amdhsa_inst_pref_size 13
		.amdhsa_round_robin_scheduling 0
		.amdhsa_exception_fp_ieee_invalid_op 0
		.amdhsa_exception_fp_denorm_src 0
		.amdhsa_exception_fp_ieee_div_zero 0
		.amdhsa_exception_fp_ieee_overflow 0
		.amdhsa_exception_fp_ieee_underflow 0
		.amdhsa_exception_fp_ieee_inexact 0
		.amdhsa_exception_int_div_zero 0
	.end_amdhsa_kernel
	.section	.text._ZL23rocblas_trmm_rTx_kernelILi32ELb1EdPKdS0_dEv13rocblas_fill_17rocblas_diagonal_iiT2_lPT3_llS6_llPT4_lli,"axG",@progbits,_ZL23rocblas_trmm_rTx_kernelILi32ELb1EdPKdS0_dEv13rocblas_fill_17rocblas_diagonal_iiT2_lPT3_llS6_llPT4_lli,comdat
.Lfunc_end70:
	.size	_ZL23rocblas_trmm_rTx_kernelILi32ELb1EdPKdS0_dEv13rocblas_fill_17rocblas_diagonal_iiT2_lPT3_llS6_llPT4_lli, .Lfunc_end70-_ZL23rocblas_trmm_rTx_kernelILi32ELb1EdPKdS0_dEv13rocblas_fill_17rocblas_diagonal_iiT2_lPT3_llS6_llPT4_lli
                                        ; -- End function
	.set _ZL23rocblas_trmm_rTx_kernelILi32ELb1EdPKdS0_dEv13rocblas_fill_17rocblas_diagonal_iiT2_lPT3_llS6_llPT4_lli.num_vgpr, 30
	.set _ZL23rocblas_trmm_rTx_kernelILi32ELb1EdPKdS0_dEv13rocblas_fill_17rocblas_diagonal_iiT2_lPT3_llS6_llPT4_lli.num_agpr, 0
	.set _ZL23rocblas_trmm_rTx_kernelILi32ELb1EdPKdS0_dEv13rocblas_fill_17rocblas_diagonal_iiT2_lPT3_llS6_llPT4_lli.numbered_sgpr, 31
	.set _ZL23rocblas_trmm_rTx_kernelILi32ELb1EdPKdS0_dEv13rocblas_fill_17rocblas_diagonal_iiT2_lPT3_llS6_llPT4_lli.num_named_barrier, 0
	.set _ZL23rocblas_trmm_rTx_kernelILi32ELb1EdPKdS0_dEv13rocblas_fill_17rocblas_diagonal_iiT2_lPT3_llS6_llPT4_lli.private_seg_size, 0
	.set _ZL23rocblas_trmm_rTx_kernelILi32ELb1EdPKdS0_dEv13rocblas_fill_17rocblas_diagonal_iiT2_lPT3_llS6_llPT4_lli.uses_vcc, 1
	.set _ZL23rocblas_trmm_rTx_kernelILi32ELb1EdPKdS0_dEv13rocblas_fill_17rocblas_diagonal_iiT2_lPT3_llS6_llPT4_lli.uses_flat_scratch, 0
	.set _ZL23rocblas_trmm_rTx_kernelILi32ELb1EdPKdS0_dEv13rocblas_fill_17rocblas_diagonal_iiT2_lPT3_llS6_llPT4_lli.has_dyn_sized_stack, 0
	.set _ZL23rocblas_trmm_rTx_kernelILi32ELb1EdPKdS0_dEv13rocblas_fill_17rocblas_diagonal_iiT2_lPT3_llS6_llPT4_lli.has_recursion, 0
	.set _ZL23rocblas_trmm_rTx_kernelILi32ELb1EdPKdS0_dEv13rocblas_fill_17rocblas_diagonal_iiT2_lPT3_llS6_llPT4_lli.has_indirect_call, 0
	.section	.AMDGPU.csdata,"",@progbits
; Kernel info:
; codeLenInByte = 1660
; TotalNumSgprs: 33
; NumVgprs: 30
; ScratchSize: 0
; MemoryBound: 0
; FloatMode: 240
; IeeeMode: 1
; LDSByteSize: 16384 bytes/workgroup (compile time only)
; SGPRBlocks: 0
; VGPRBlocks: 3
; NumSGPRsForWavesPerEU: 33
; NumVGPRsForWavesPerEU: 30
; Occupancy: 16
; WaveLimiterHint : 0
; COMPUTE_PGM_RSRC2:SCRATCH_EN: 0
; COMPUTE_PGM_RSRC2:USER_SGPR: 2
; COMPUTE_PGM_RSRC2:TRAP_HANDLER: 0
; COMPUTE_PGM_RSRC2:TGID_X_EN: 1
; COMPUTE_PGM_RSRC2:TGID_Y_EN: 0
; COMPUTE_PGM_RSRC2:TGID_Z_EN: 1
; COMPUTE_PGM_RSRC2:TIDIG_COMP_CNT: 1
	.section	.text._ZL23rocblas_trmm_rTx_kernelILi32ELb1EddKddEv13rocblas_fill_17rocblas_diagonal_iiT2_lPT3_llS5_llPT4_lli,"axG",@progbits,_ZL23rocblas_trmm_rTx_kernelILi32ELb1EddKddEv13rocblas_fill_17rocblas_diagonal_iiT2_lPT3_llS5_llPT4_lli,comdat
	.globl	_ZL23rocblas_trmm_rTx_kernelILi32ELb1EddKddEv13rocblas_fill_17rocblas_diagonal_iiT2_lPT3_llS5_llPT4_lli ; -- Begin function _ZL23rocblas_trmm_rTx_kernelILi32ELb1EddKddEv13rocblas_fill_17rocblas_diagonal_iiT2_lPT3_llS5_llPT4_lli
	.p2align	8
	.type	_ZL23rocblas_trmm_rTx_kernelILi32ELb1EddKddEv13rocblas_fill_17rocblas_diagonal_iiT2_lPT3_llS5_llPT4_lli,@function
_ZL23rocblas_trmm_rTx_kernelILi32ELb1EddKddEv13rocblas_fill_17rocblas_diagonal_iiT2_lPT3_llS5_llPT4_lli: ; @_ZL23rocblas_trmm_rTx_kernelILi32ELb1EddKddEv13rocblas_fill_17rocblas_diagonal_iiT2_lPT3_llS5_llPT4_lli
; %bb.0:
	s_load_b32 s28, s[0:1], 0x68
	s_lshr_b32 s2, ttmp7, 16
	s_wait_kmcnt 0x0
	s_cmp_ge_u32 s2, s28
	s_cbranch_scc1 .LBB71_19
; %bb.1:
	s_clause 0x1
	s_load_b128 s[20:23], s[0:1], 0x0
	s_load_b512 s[4:19], s[0:1], 0x20
	v_bfe_u32 v17, v0, 10, 10
	v_and_b32_e32 v8, 0x3ff, v0
	v_mov_b32_e32 v0, 0
	s_clause 0x1
	s_load_b64 s[24:25], s[0:1], 0x10
	s_load_b64 s[26:27], s[0:1], 0x60
	v_lshlrev_b32_e32 v1, 5, v17
	v_mov_b32_e32 v9, v0
	s_delay_alu instid0(VALU_DEP_2) | instskip(NEXT) | instid1(VALU_DEP_2)
	v_add_lshl_u32 v2, v1, v8, 3
	v_lshlrev_b64_e32 v[10:11], 3, v[8:9]
	v_lshlrev_b32_e32 v9, 3, v17
	s_delay_alu instid0(VALU_DEP_3)
	v_add_nc_u32_e32 v3, 0x2000, v2
	s_wait_kmcnt 0x0
	s_add_co_i32 s1, s22, -1
	v_mad_co_u64_u32 v[4:5], null, s6, v17, 0
	v_mad_co_u64_u32 v[6:7], null, s12, v17, 0
	s_ashr_i32 s0, s1, 31
	v_mad_co_u64_u32 v[12:13], null, s18, v17, 0
	s_lshr_b32 s3, s0, 27
	v_mov_b32_e32 v1, v5
	s_add_co_i32 s1, s1, s3
	v_mov_b32_e32 v5, v7
	s_ashr_i32 s3, s1, 5
	s_and_not1_b32 s1, s1, 31
	v_mad_co_u64_u32 v[14:15], null, s7, v17, v[1:2]
	s_delay_alu instid0(VALU_DEP_2)
	v_mad_co_u64_u32 v[15:16], null, s13, v17, v[5:6]
	v_cmp_gt_i32_e32 vcc_lo, s23, v17
	v_cmp_gt_i32_e64 s0, s23, v8
	s_sub_co_i32 s1, s22, s1
	s_cmp_ge_i32 ttmp9, s3
	v_mov_b32_e32 v5, v14
	s_cselect_b32 s1, s1, 32
	v_mov_b32_e32 v1, v13
	s_and_b32 s6, vcc_lo, s0
	v_cmp_gt_i32_e64 s0, s1, v8
	v_lshlrev_b64_e32 v[4:5], 3, v[4:5]
	v_mov_b32_e32 v7, v15
	v_mad_co_u64_u32 v[13:14], null, s19, v17, v[1:2]
	s_and_b32 s7, vcc_lo, s0
	s_lshl_b32 s12, ttmp9, 5
	v_add_co_u32 v1, vcc_lo, s4, v4
	s_delay_alu instid0(VALU_DEP_1)
	v_add_co_ci_u32_e64 v5, null, s5, v5, vcc_lo
	v_cmp_neq_f64_e64 s5, s[24:25], 0
	s_wait_alu 0xfffe
	s_ashr_i32 s13, s12, 31
	v_lshlrev_b64_e32 v[6:7], 3, v[6:7]
	s_wait_alu 0xfffe
	s_lshl_b64 s[12:13], s[12:13], 3
	v_add_co_u32 v4, vcc_lo, v1, v10
	s_wait_alu 0xfffe
	s_add_nc_u64 s[10:11], s[10:11], s[12:13]
	s_wait_alu 0xfffd
	v_add_co_ci_u32_e64 v5, null, v5, v11, vcc_lo
	v_add_co_u32 v1, vcc_lo, s10, v6
	v_lshlrev_b64_e32 v[12:13], 3, v[12:13]
	s_wait_alu 0xfffd
	v_add_co_ci_u32_e64 v7, null, s11, v7, vcc_lo
	v_cmp_eq_u32_e32 vcc_lo, v17, v8
	s_cmp_eq_u32 s21, 0x84
	s_add_nc_u64 s[12:13], s[16:17], s[12:13]
	s_cselect_b32 s1, -1, 0
	v_add_co_u32 v6, s0, v1, v10
	s_wait_alu 0xfffe
	s_and_b32 s4, vcc_lo, s1
	v_add_co_u32 v1, vcc_lo, s12, v12
	v_add_co_ci_u32_e64 v7, null, v7, v11, s0
	v_cmp_lt_u32_e64 s0, v8, v17
	v_cmp_gt_u32_e64 s1, v8, v17
	v_lshl_add_u32 v8, v8, 3, 0x2000
	s_wait_alu 0xfffd
	v_add_co_ci_u32_e64 v12, null, s13, v13, vcc_lo
	v_add_co_u32 v10, vcc_lo, v1, v10
	v_mov_b32_e32 v1, 0x3ff00000
	s_wait_alu 0xfffd
	s_delay_alu instid0(VALU_DEP_3)
	v_add_co_ci_u32_e64 v11, null, v12, v11, vcc_lo
	v_add_nc_u32_e32 v12, 0x800, v8
	v_add_nc_u32_e32 v13, 0x800, v9
	;; [unrolled: 1-line block ×6, first 2 shown]
	s_cmp_lg_u32 s20, 0x79
	s_mov_b32 s3, 0
	s_cselect_b32 s10, -1, 0
	s_branch .LBB71_4
.LBB71_2:                               ;   in Loop: Header=BB71_4 Depth=1
	s_wait_alu 0xfffe
	s_or_b32 exec_lo, exec_lo, s11
.LBB71_3:                               ;   in Loop: Header=BB71_4 Depth=1
	s_add_co_i32 s2, s2, 0x10000
	s_delay_alu instid0(SALU_CYCLE_1)
	s_cmp_lt_u32 s2, s28
	s_cbranch_scc0 .LBB71_19
.LBB71_4:                               ; =>This Inner Loop Header: Depth=1
	s_and_not1_b32 vcc_lo, exec_lo, s5
	s_wait_alu 0xfffe
	s_cbranch_vccnz .LBB71_3
; %bb.5:                                ;   in Loop: Header=BB71_4 Depth=1
	s_mov_b32 s12, s3
	s_mov_b32 s13, s3
	s_wait_alu 0xfffe
	v_dual_mov_b32 v19, s13 :: v_dual_mov_b32 v18, s12
	ds_store_b64 v2, v[18:19]
	ds_store_b64 v3, v[18:19]
	s_and_saveexec_b32 s11, s6
	s_cbranch_execnz .LBB71_10
; %bb.6:                                ;   in Loop: Header=BB71_4 Depth=1
	s_wait_alu 0xfffe
	s_or_b32 exec_lo, exec_lo, s11
	s_and_saveexec_b32 s11, s7
	s_cbranch_execnz .LBB71_11
.LBB71_7:                               ;   in Loop: Header=BB71_4 Depth=1
	s_wait_alu 0xfffe
	s_or_b32 exec_lo, exec_lo, s11
	s_and_saveexec_b32 s11, s4
	s_cbranch_execnz .LBB71_12
.LBB71_8:                               ;   in Loop: Header=BB71_4 Depth=1
	s_wait_alu 0xfffe
	s_or_b32 exec_lo, exec_lo, s11
	s_delay_alu instid0(SALU_CYCLE_1)
	s_and_b32 vcc_lo, exec_lo, s10
	s_wait_alu 0xfffe
	s_cbranch_vccz .LBB71_13
.LBB71_9:                               ;   in Loop: Header=BB71_4 Depth=1
	s_and_b32 s11, s0, exec_lo
	s_cbranch_execz .LBB71_14
	s_branch .LBB71_15
.LBB71_10:                              ;   in Loop: Header=BB71_4 Depth=1
	s_mul_u64 s[12:13], s[8:9], s[2:3]
	s_wait_alu 0xfffe
	s_lshl_b64 s[12:13], s[12:13], 3
	s_wait_alu 0xfffe
	v_add_co_u32 v18, vcc_lo, v4, s12
	s_wait_alu 0xfffd
	v_add_co_ci_u32_e64 v19, null, s13, v5, vcc_lo
	global_load_b64 v[18:19], v[18:19], off
	s_wait_loadcnt 0x0
	ds_store_b64 v2, v[18:19]
	s_or_b32 exec_lo, exec_lo, s11
	s_and_saveexec_b32 s11, s7
	s_cbranch_execz .LBB71_7
.LBB71_11:                              ;   in Loop: Header=BB71_4 Depth=1
	s_mul_u64 s[12:13], s[14:15], s[2:3]
	s_wait_alu 0xfffe
	s_lshl_b64 s[12:13], s[12:13], 3
	s_wait_alu 0xfffe
	v_add_co_u32 v18, vcc_lo, v6, s12
	s_wait_alu 0xfffd
	v_add_co_ci_u32_e64 v19, null, s13, v7, vcc_lo
	global_load_b64 v[18:19], v[18:19], off
	s_wait_loadcnt 0x0
	ds_store_b64 v3, v[18:19]
	s_or_b32 exec_lo, exec_lo, s11
	s_and_saveexec_b32 s11, s4
	s_cbranch_execz .LBB71_8
.LBB71_12:                              ;   in Loop: Header=BB71_4 Depth=1
	ds_store_b64 v2, v[0:1]
	s_wait_alu 0xfffe
	s_or_b32 exec_lo, exec_lo, s11
	s_delay_alu instid0(SALU_CYCLE_1)
	s_and_b32 vcc_lo, exec_lo, s10
	s_wait_alu 0xfffe
	s_cbranch_vccnz .LBB71_9
.LBB71_13:                              ;   in Loop: Header=BB71_4 Depth=1
	s_mov_b32 s11, 0
.LBB71_14:                              ;   in Loop: Header=BB71_4 Depth=1
	s_wait_alu 0xfffe
	s_and_not1_b32 s11, s11, exec_lo
	s_and_b32 s12, s1, exec_lo
	s_wait_alu 0xfffe
	s_or_b32 s11, s11, s12
.LBB71_15:                              ;   in Loop: Header=BB71_4 Depth=1
	s_wait_alu 0xfffe
	s_and_saveexec_b32 s12, s11
; %bb.16:                               ;   in Loop: Header=BB71_4 Depth=1
	v_dual_mov_b32 v18, v0 :: v_dual_mov_b32 v19, v0
	ds_store_b64 v2, v[18:19]
; %bb.17:                               ;   in Loop: Header=BB71_4 Depth=1
	s_wait_alu 0xfffe
	s_or_b32 exec_lo, exec_lo, s12
	s_wait_dscnt 0x0
	s_barrier_signal -1
	s_barrier_wait -1
	global_inv scope:SCOPE_SE
	s_and_saveexec_b32 s11, s7
	s_cbranch_execz .LBB71_2
; %bb.18:                               ;   in Loop: Header=BB71_4 Depth=1
	ds_load_2addr_b64 v[18:21], v8 offset1:32
	ds_load_2addr_b64 v[22:25], v9 offset1:32
	s_mul_u64 s[12:13], s[26:27], s[2:3]
	s_wait_alu 0xfffe
	s_lshl_b64 s[12:13], s[12:13], 3
	s_wait_dscnt 0x0
	v_fma_f64 v[18:19], v[18:19], v[22:23], 0
	s_delay_alu instid0(VALU_DEP_1) | instskip(SKIP_4) | instid1(VALU_DEP_1)
	v_fma_f64 v[26:27], v[20:21], v[24:25], v[18:19]
	ds_load_2addr_b64 v[18:21], v8 offset0:64 offset1:96
	ds_load_2addr_b64 v[22:25], v9 offset0:64 offset1:96
	s_wait_dscnt 0x0
	v_fma_f64 v[18:19], v[18:19], v[22:23], v[26:27]
	v_fma_f64 v[26:27], v[20:21], v[24:25], v[18:19]
	ds_load_2addr_b64 v[18:21], v8 offset0:128 offset1:160
	ds_load_2addr_b64 v[22:25], v9 offset0:128 offset1:160
	s_wait_dscnt 0x0
	v_fma_f64 v[18:19], v[18:19], v[22:23], v[26:27]
	s_delay_alu instid0(VALU_DEP_1) | instskip(SKIP_4) | instid1(VALU_DEP_1)
	v_fma_f64 v[26:27], v[20:21], v[24:25], v[18:19]
	ds_load_2addr_b64 v[18:21], v8 offset0:192 offset1:224
	ds_load_2addr_b64 v[22:25], v9 offset0:192 offset1:224
	s_wait_dscnt 0x0
	v_fma_f64 v[18:19], v[18:19], v[22:23], v[26:27]
	v_fma_f64 v[26:27], v[20:21], v[24:25], v[18:19]
	ds_load_2addr_b64 v[18:21], v12 offset1:32
	ds_load_2addr_b64 v[22:25], v13 offset1:32
	s_wait_dscnt 0x0
	v_fma_f64 v[18:19], v[18:19], v[22:23], v[26:27]
	s_delay_alu instid0(VALU_DEP_1) | instskip(SKIP_4) | instid1(VALU_DEP_1)
	v_fma_f64 v[26:27], v[20:21], v[24:25], v[18:19]
	ds_load_2addr_b64 v[18:21], v12 offset0:64 offset1:96
	ds_load_2addr_b64 v[22:25], v13 offset0:64 offset1:96
	s_wait_dscnt 0x0
	v_fma_f64 v[18:19], v[18:19], v[22:23], v[26:27]
	v_fma_f64 v[26:27], v[20:21], v[24:25], v[18:19]
	ds_load_2addr_b64 v[18:21], v12 offset0:128 offset1:160
	ds_load_2addr_b64 v[22:25], v13 offset0:128 offset1:160
	s_wait_dscnt 0x0
	v_fma_f64 v[18:19], v[18:19], v[22:23], v[26:27]
	s_delay_alu instid0(VALU_DEP_1) | instskip(SKIP_4) | instid1(VALU_DEP_1)
	v_fma_f64 v[26:27], v[20:21], v[24:25], v[18:19]
	ds_load_2addr_b64 v[18:21], v12 offset0:192 offset1:224
	ds_load_2addr_b64 v[22:25], v13 offset0:192 offset1:224
	s_wait_dscnt 0x0
	v_fma_f64 v[18:19], v[18:19], v[22:23], v[26:27]
	v_fma_f64 v[26:27], v[20:21], v[24:25], v[18:19]
	ds_load_2addr_b64 v[18:21], v14 offset1:32
	ds_load_2addr_b64 v[22:25], v15 offset1:32
	;; [unrolled: 22-line block ×3, first 2 shown]
	s_wait_dscnt 0x0
	v_fma_f64 v[18:19], v[18:19], v[22:23], v[26:27]
	s_delay_alu instid0(VALU_DEP_1) | instskip(SKIP_4) | instid1(VALU_DEP_1)
	v_fma_f64 v[26:27], v[20:21], v[24:25], v[18:19]
	ds_load_2addr_b64 v[18:21], v16 offset0:64 offset1:96
	ds_load_2addr_b64 v[22:25], v17 offset0:64 offset1:96
	s_wait_dscnt 0x0
	v_fma_f64 v[18:19], v[18:19], v[22:23], v[26:27]
	v_fma_f64 v[26:27], v[20:21], v[24:25], v[18:19]
	ds_load_2addr_b64 v[18:21], v16 offset0:128 offset1:160
	ds_load_2addr_b64 v[22:25], v17 offset0:128 offset1:160
	s_wait_dscnt 0x0
	v_fma_f64 v[18:19], v[18:19], v[22:23], v[26:27]
	s_delay_alu instid0(VALU_DEP_1) | instskip(SKIP_4) | instid1(VALU_DEP_1)
	v_fma_f64 v[26:27], v[20:21], v[24:25], v[18:19]
	ds_load_2addr_b64 v[18:21], v16 offset0:192 offset1:224
	ds_load_2addr_b64 v[22:25], v17 offset0:192 offset1:224
	s_wait_dscnt 0x0
	v_fma_f64 v[18:19], v[18:19], v[22:23], v[26:27]
	v_fma_f64 v[18:19], v[20:21], v[24:25], v[18:19]
	s_wait_alu 0xfffe
	v_add_co_u32 v20, vcc_lo, v10, s12
	s_wait_alu 0xfffd
	v_add_co_ci_u32_e64 v21, null, s13, v11, vcc_lo
	s_delay_alu instid0(VALU_DEP_3)
	v_mul_f64_e32 v[18:19], s[24:25], v[18:19]
	global_store_b64 v[20:21], v[18:19], off
	s_branch .LBB71_2
.LBB71_19:
	s_endpgm
	.section	.rodata,"a",@progbits
	.p2align	6, 0x0
	.amdhsa_kernel _ZL23rocblas_trmm_rTx_kernelILi32ELb1EddKddEv13rocblas_fill_17rocblas_diagonal_iiT2_lPT3_llS5_llPT4_lli
		.amdhsa_group_segment_fixed_size 16384
		.amdhsa_private_segment_fixed_size 0
		.amdhsa_kernarg_size 108
		.amdhsa_user_sgpr_count 2
		.amdhsa_user_sgpr_dispatch_ptr 0
		.amdhsa_user_sgpr_queue_ptr 0
		.amdhsa_user_sgpr_kernarg_segment_ptr 1
		.amdhsa_user_sgpr_dispatch_id 0
		.amdhsa_user_sgpr_private_segment_size 0
		.amdhsa_wavefront_size32 1
		.amdhsa_uses_dynamic_stack 0
		.amdhsa_enable_private_segment 0
		.amdhsa_system_sgpr_workgroup_id_x 1
		.amdhsa_system_sgpr_workgroup_id_y 0
		.amdhsa_system_sgpr_workgroup_id_z 1
		.amdhsa_system_sgpr_workgroup_info 0
		.amdhsa_system_vgpr_workitem_id 1
		.amdhsa_next_free_vgpr 28
		.amdhsa_next_free_sgpr 29
		.amdhsa_reserve_vcc 1
		.amdhsa_float_round_mode_32 0
		.amdhsa_float_round_mode_16_64 0
		.amdhsa_float_denorm_mode_32 3
		.amdhsa_float_denorm_mode_16_64 3
		.amdhsa_fp16_overflow 0
		.amdhsa_workgroup_processor_mode 1
		.amdhsa_memory_ordered 1
		.amdhsa_forward_progress 1
		.amdhsa_inst_pref_size 13
		.amdhsa_round_robin_scheduling 0
		.amdhsa_exception_fp_ieee_invalid_op 0
		.amdhsa_exception_fp_denorm_src 0
		.amdhsa_exception_fp_ieee_div_zero 0
		.amdhsa_exception_fp_ieee_overflow 0
		.amdhsa_exception_fp_ieee_underflow 0
		.amdhsa_exception_fp_ieee_inexact 0
		.amdhsa_exception_int_div_zero 0
	.end_amdhsa_kernel
	.section	.text._ZL23rocblas_trmm_rTx_kernelILi32ELb1EddKddEv13rocblas_fill_17rocblas_diagonal_iiT2_lPT3_llS5_llPT4_lli,"axG",@progbits,_ZL23rocblas_trmm_rTx_kernelILi32ELb1EddKddEv13rocblas_fill_17rocblas_diagonal_iiT2_lPT3_llS5_llPT4_lli,comdat
.Lfunc_end71:
	.size	_ZL23rocblas_trmm_rTx_kernelILi32ELb1EddKddEv13rocblas_fill_17rocblas_diagonal_iiT2_lPT3_llS5_llPT4_lli, .Lfunc_end71-_ZL23rocblas_trmm_rTx_kernelILi32ELb1EddKddEv13rocblas_fill_17rocblas_diagonal_iiT2_lPT3_llS5_llPT4_lli
                                        ; -- End function
	.set _ZL23rocblas_trmm_rTx_kernelILi32ELb1EddKddEv13rocblas_fill_17rocblas_diagonal_iiT2_lPT3_llS5_llPT4_lli.num_vgpr, 28
	.set _ZL23rocblas_trmm_rTx_kernelILi32ELb1EddKddEv13rocblas_fill_17rocblas_diagonal_iiT2_lPT3_llS5_llPT4_lli.num_agpr, 0
	.set _ZL23rocblas_trmm_rTx_kernelILi32ELb1EddKddEv13rocblas_fill_17rocblas_diagonal_iiT2_lPT3_llS5_llPT4_lli.numbered_sgpr, 29
	.set _ZL23rocblas_trmm_rTx_kernelILi32ELb1EddKddEv13rocblas_fill_17rocblas_diagonal_iiT2_lPT3_llS5_llPT4_lli.num_named_barrier, 0
	.set _ZL23rocblas_trmm_rTx_kernelILi32ELb1EddKddEv13rocblas_fill_17rocblas_diagonal_iiT2_lPT3_llS5_llPT4_lli.private_seg_size, 0
	.set _ZL23rocblas_trmm_rTx_kernelILi32ELb1EddKddEv13rocblas_fill_17rocblas_diagonal_iiT2_lPT3_llS5_llPT4_lli.uses_vcc, 1
	.set _ZL23rocblas_trmm_rTx_kernelILi32ELb1EddKddEv13rocblas_fill_17rocblas_diagonal_iiT2_lPT3_llS5_llPT4_lli.uses_flat_scratch, 0
	.set _ZL23rocblas_trmm_rTx_kernelILi32ELb1EddKddEv13rocblas_fill_17rocblas_diagonal_iiT2_lPT3_llS5_llPT4_lli.has_dyn_sized_stack, 0
	.set _ZL23rocblas_trmm_rTx_kernelILi32ELb1EddKddEv13rocblas_fill_17rocblas_diagonal_iiT2_lPT3_llS5_llPT4_lli.has_recursion, 0
	.set _ZL23rocblas_trmm_rTx_kernelILi32ELb1EddKddEv13rocblas_fill_17rocblas_diagonal_iiT2_lPT3_llS5_llPT4_lli.has_indirect_call, 0
	.section	.AMDGPU.csdata,"",@progbits
; Kernel info:
; codeLenInByte = 1652
; TotalNumSgprs: 31
; NumVgprs: 28
; ScratchSize: 0
; MemoryBound: 0
; FloatMode: 240
; IeeeMode: 1
; LDSByteSize: 16384 bytes/workgroup (compile time only)
; SGPRBlocks: 0
; VGPRBlocks: 3
; NumSGPRsForWavesPerEU: 31
; NumVGPRsForWavesPerEU: 28
; Occupancy: 16
; WaveLimiterHint : 0
; COMPUTE_PGM_RSRC2:SCRATCH_EN: 0
; COMPUTE_PGM_RSRC2:USER_SGPR: 2
; COMPUTE_PGM_RSRC2:TRAP_HANDLER: 0
; COMPUTE_PGM_RSRC2:TGID_X_EN: 1
; COMPUTE_PGM_RSRC2:TGID_Y_EN: 0
; COMPUTE_PGM_RSRC2:TGID_Z_EN: 1
; COMPUTE_PGM_RSRC2:TIDIG_COMP_CNT: 1
	.section	.text._ZL30rocblas_trmm_outofplace_kernelI19rocblas_complex_numIfELi32ELi2ELb1ELb0ELb0ELb0EPKS1_S2_S1_Ev17rocblas_diagonal_iiT6_lPT7_lllS7_lllPT8_llli,"axG",@progbits,_ZL30rocblas_trmm_outofplace_kernelI19rocblas_complex_numIfELi32ELi2ELb1ELb0ELb0ELb0EPKS1_S2_S1_Ev17rocblas_diagonal_iiT6_lPT7_lllS7_lllPT8_llli,comdat
	.globl	_ZL30rocblas_trmm_outofplace_kernelI19rocblas_complex_numIfELi32ELi2ELb1ELb0ELb0ELb0EPKS1_S2_S1_Ev17rocblas_diagonal_iiT6_lPT7_lllS7_lllPT8_llli ; -- Begin function _ZL30rocblas_trmm_outofplace_kernelI19rocblas_complex_numIfELi32ELi2ELb1ELb0ELb0ELb0EPKS1_S2_S1_Ev17rocblas_diagonal_iiT6_lPT7_lllS7_lllPT8_llli
	.p2align	8
	.type	_ZL30rocblas_trmm_outofplace_kernelI19rocblas_complex_numIfELi32ELi2ELb1ELb0ELb0ELb0EPKS1_S2_S1_Ev17rocblas_diagonal_iiT6_lPT7_lllS7_lllPT8_llli,@function
_ZL30rocblas_trmm_outofplace_kernelI19rocblas_complex_numIfELi32ELi2ELb1ELb0ELb0ELb0EPKS1_S2_S1_Ev17rocblas_diagonal_iiT6_lPT7_lllS7_lllPT8_llli: ; @_ZL30rocblas_trmm_outofplace_kernelI19rocblas_complex_numIfELi32ELi2ELb1ELb0ELb0ELb0EPKS1_S2_S1_Ev17rocblas_diagonal_iiT6_lPT7_lllS7_lllPT8_llli
; %bb.0:
	s_load_b32 s11, s[0:1], 0x80
	s_lshr_b32 s34, ttmp7, 16
	s_wait_kmcnt 0x0
	s_cmp_ge_u32 s34, s11
	s_cbranch_scc1 .LBB72_67
; %bb.1:
	s_clause 0x3
	s_load_b96 s[8:10], s[0:1], 0x0
	s_load_b256 s[36:43], s[0:1], 0x50
	s_load_b512 s[12:27], s[0:1], 0x10
	s_load_b128 s[28:31], s[0:1], 0x70
	s_add_nc_u64 s[44:45], s[0:1], 0x88
	s_and_b32 s33, ttmp7, 0xffff
	v_bfe_u32 v44, v0, 10, 10
	s_mov_b32 s35, 0
	v_mov_b32_e32 v5, 0
	s_delay_alu instid0(VALU_DEP_2)
	v_lshl_add_u32 v18, v44, 3, 0x80
	v_lshl_add_u32 v50, s33, 5, v44
	s_wait_kmcnt 0x0
	s_add_co_i32 s2, s10, -1
	s_mov_b32 s51, s10
	s_ashr_i32 s0, s2, 31
	v_mad_co_u64_u32 v[2:3], null, s20, v44, 0
	s_lshr_b32 s0, s0, 27
	s_delay_alu instid0(SALU_CYCLE_1)
	s_add_co_i32 s2, s2, s0
	s_lshl_b64 s[0:1], s[42:43], 3
	s_ashr_i32 s50, s2, 5
	s_mov_b32 s42, s9
	s_cmp_le_i32 s33, s50
	v_mad_co_u64_u32 v[3:4], null, s21, v44, v[3:4]
	s_cselect_b32 s52, -1, 0
	s_lshl_b32 s53, ttmp9, 5
	s_cmp_gt_i32 ttmp9, -1
	s_add_nc_u64 s[40:41], s[40:41], s[0:1]
	s_cselect_b32 s54, -1, 0
	s_cmp_eq_u32 s8, 0x84
	v_lshlrev_b64_e32 v[2:3], 3, v[2:3]
	s_cselect_b32 s55, -1, 0
	s_lshl_b64 s[4:5], s[18:19], 3
	s_lshl_b64 s[6:7], s[26:27], 3
	s_add_nc_u64 s[4:5], s[16:17], s[4:5]
	s_add_nc_u64 s[6:7], s[24:25], s[6:7]
	v_mad_co_u64_u32 v[14:15], null, s20, v18, s[4:5]
	v_and_b32_e32 v45, 0x3ff, v0
	v_lshlrev_b32_e32 v0, 8, v44
	s_ashr_i32 s43, s9, 31
	s_ashr_i32 s56, s10, 31
	s_lshl_b64 s[46:47], s[20:21], 8
	s_add_nc_u64 s[48:49], s[42:43], -16
	s_delay_alu instid0(VALU_DEP_3)
	v_mov_b32_e32 v4, v15
	v_add_nc_u32_e32 v6, s53, v45
	v_add_nc_u32_e32 v47, 0x2000, v0
	s_lshl_b64 s[16:17], s[38:39], 3
	s_lshl_b64 s[18:19], s[36:37], 3
	v_mad_co_u64_u32 v[22:23], null, s21, v18, v[4:5]
	v_ashrrev_i32_e32 v7, 31, v6
	v_add_co_u32 v8, vcc_lo, v6, 16
	v_lshlrev_b32_e32 v46, 3, v45
	v_cmp_le_i32_e64 s0, s9, v6
	s_delay_alu instid0(VALU_DEP_4) | instskip(SKIP_4) | instid1(VALU_DEP_3)
	v_add_co_ci_u32_e64 v9, null, 0, v7, vcc_lo
	v_sub_co_u32 v10, vcc_lo, v6, v44
	s_wait_alu 0xfffd
	v_subrev_co_ci_u32_e64 v11, null, 0, v7, vcc_lo
	v_add_co_u32 v15, s6, s6, v46
	v_add_co_u32 v12, vcc_lo, v10, 16
	s_wait_alu 0xfffd
	s_delay_alu instid0(VALU_DEP_3)
	v_add_co_ci_u32_e64 v13, null, 0, v11, vcc_lo
	v_add_co_u32 v16, vcc_lo, v10, -16
	s_wait_alu 0xfffd
	v_add_co_ci_u32_e64 v17, null, -1, v11, vcc_lo
	v_add_co_u32 v18, vcc_lo, 0x80, v15
	v_mov_b32_e32 v15, v22
	v_add_nc_u32_e32 v48, v46, v0
	v_add_nc_u32_e32 v0, 16, v6
	s_wait_alu 0xf1ff
	v_add_co_ci_u32_e64 v19, null, s7, 0, s6
	v_cmp_le_i64_e64 s3, s[42:43], v[8:9]
	v_lshlrev_b64_e32 v[20:21], 3, v[6:7]
	v_ashrrev_i32_e32 v1, 31, v0
	s_wait_alu 0xfffd
	v_add_co_ci_u32_e64 v19, null, 0, v19, vcc_lo
	v_add_co_u32 v22, vcc_lo, s4, v2
	s_delay_alu instid0(VALU_DEP_3)
	v_lshlrev_b64_e32 v[24:25], 3, v[0:1]
	v_cmp_gt_i32_e64 s1, s9, v6
	v_cmp_gt_i32_e64 s2, s9, v0
	s_wait_alu 0xfffd
	v_add_co_ci_u32_e64 v23, null, s5, v3, vcc_lo
	v_dual_mov_b32 v4, 1.0 :: v_dual_add_nc_u32 v49, v47, v46
	v_add_nc_u32_e32 v51, 0x800, v46
	v_add_nc_u32_e32 v52, 0x1000, v46
	;; [unrolled: 1-line block ×3, first 2 shown]
	s_lshl_b64 s[20:21], s[22:23], 3
	s_branch .LBB72_4
.LBB72_2:                               ;   in Loop: Header=BB72_4 Depth=1
	s_add_co_i32 s34, s34, 0x10000
	s_wait_alu 0xfffe
	s_cmp_ge_u32 s34, s11
	s_cselect_b32 s4, -1, 0
.LBB72_3:                               ;   in Loop: Header=BB72_4 Depth=1
	s_wait_alu 0xfffe
	s_and_b32 vcc_lo, exec_lo, s4
	s_wait_alu 0xfffe
	s_cbranch_vccnz .LBB72_67
.LBB72_4:                               ; =>This Loop Header: Depth=1
                                        ;     Child Loop BB72_8 Depth 2
                                        ;       Child Loop BB72_11 Depth 3
	s_mul_u64 s[4:5], s[14:15], s[34:35]
	s_wait_alu 0xfffe
	s_lshl_b64 s[4:5], s[4:5], 3
	s_wait_alu 0xfffe
	s_add_nc_u64 s[4:5], s[12:13], s[4:5]
	global_load_b64 v[26:27], v5, s[4:5]
	s_mov_b32 s4, -1
	s_wait_loadcnt 0x0
	v_or_b32_e32 v0, v26, v27
	s_delay_alu instid0(VALU_DEP_1) | instskip(NEXT) | instid1(VALU_DEP_1)
	v_and_b32_e32 v0, 0x7fffffff, v0
	v_cmp_eq_u32_e32 vcc_lo, 0, v0
	s_cbranch_vccnz .LBB72_3
; %bb.5:                                ;   in Loop: Header=BB72_4 Depth=1
	s_and_not1_b32 vcc_lo, exec_lo, s52
	s_wait_alu 0xfffe
	s_cbranch_vccnz .LBB72_2
; %bb.6:                                ;   in Loop: Header=BB72_4 Depth=1
	v_mad_co_u64_u32 v[28:29], null, s16, s34, v[18:19]
	s_load_b32 s9, s[44:45], 0x4
	v_mad_co_u64_u32 v[30:31], null, s20, s34, v[14:15]
	s_mul_i32 s6, s21, s34
	v_mad_co_u64_u32 v[32:33], null, s20, s34, v[22:23]
	v_mov_b32_e32 v0, v29
	s_mul_u64 s[4:5], s[30:31], s[34:35]
	s_wait_alu 0xfffe
	v_dual_mov_b32 v34, v50 :: v_dual_add_nc_u32 v31, s6, v31
	s_lshl_b64 s[4:5], s[4:5], 3
	v_mad_co_u64_u32 v[0:1], null, s17, s34, v[0:1]
	s_delay_alu instid0(VALU_DEP_4) | instskip(SKIP_3) | instid1(VALU_DEP_2)
	v_add_nc_u32_e32 v33, s6, v33
	s_wait_alu 0xfffe
	s_add_nc_u64 s[22:23], s[40:41], s[4:5]
	s_mov_b32 s27, s33
	v_mov_b32_e32 v29, v0
	s_wait_kmcnt 0x0
	s_lshl_b32 s26, s9, 5
	s_branch .LBB72_8
.LBB72_7:                               ;   in Loop: Header=BB72_8 Depth=2
	s_wait_alu 0xfffe
	s_or_b32 exec_lo, exec_lo, s4
	v_add_nc_u32_e32 v34, s26, v34
	s_add_co_i32 s27, s9, s27
	s_wait_alu 0xfffe
	s_cmp_gt_i32 s27, s50
	s_cbranch_scc1 .LBB72_2
.LBB72_8:                               ;   Parent Loop BB72_4 Depth=1
                                        ; =>  This Loop Header: Depth=2
                                        ;       Child Loop BB72_11 Depth 3
	s_wait_alu 0xfffe
	v_lshl_add_u32 v54, s27, 5, v44
	v_dual_mov_b32 v61, 0 :: v_dual_mov_b32 v62, 0
	v_dual_mov_b32 v59, 0 :: v_dual_mov_b32 v60, 0
	s_delay_alu instid0(VALU_DEP_3)
	v_ashrrev_i32_e32 v55, 31, v54
	v_dual_mov_b32 v57, 0 :: v_dual_mov_b32 v58, 0
	v_dual_mov_b32 v56, 0 :: v_dual_mov_b32 v35, 0
	s_and_not1_b32 vcc_lo, exec_lo, s54
	s_wait_alu 0xfffe
	s_cbranch_vccnz .LBB72_59
; %bb.9:                                ;   in Loop: Header=BB72_8 Depth=2
	v_ashrrev_i32_e32 v35, 31, v34
	v_mad_co_u64_u32 v[36:37], null, s18, v34, v[28:29]
	v_mul_lo_u32 v2, s19, v34
	v_mov_b32_e32 v41, v33
	s_delay_alu instid0(VALU_DEP_4)
	v_lshlrev_b64_e32 v[0:1], 3, v[34:35]
	v_mul_lo_u32 v56, s18, v35
	v_mov_b32_e32 v43, v31
	v_dual_mov_b32 v35, 0 :: v_dual_mov_b32 v40, v32
	v_mov_b32_e32 v42, v30
	v_add_co_u32 v3, vcc_lo, 0x80, v0
	s_wait_alu 0xfffd
	v_add_co_ci_u32_e64 v38, null, 0, v1, vcc_lo
	v_sub_co_u32 v0, vcc_lo, s51, v54
	s_delay_alu instid0(VALU_DEP_3) | instskip(NEXT) | instid1(VALU_DEP_3)
	v_mul_lo_u32 v58, s37, v3
	v_mul_lo_u32 v57, s36, v38
	v_mad_co_u64_u32 v[38:39], null, s36, v3, v[28:29]
	s_wait_alu 0xfffd
	v_sub_co_ci_u32_e64 v1, null, s56, v55, vcc_lo
	v_add3_u32 v37, v2, v37, v56
	v_mov_b32_e32 v56, 0
	v_dual_mov_b32 v60, 0 :: v_dual_mov_b32 v59, 0
	s_delay_alu instid0(VALU_DEP_4)
	v_cmp_lt_i64_e64 s4, 16, v[0:1]
	v_add3_u32 v39, v58, v39, v57
	v_dual_mov_b32 v58, 0 :: v_dual_mov_b32 v57, 0
	v_dual_mov_b32 v62, 0 :: v_dual_mov_b32 v61, 0
	s_mov_b64 s[24:25], 0
	v_cmp_lt_i64_e32 vcc_lo, 0, v[0:1]
	s_branch .LBB72_11
.LBB72_10:                              ;   in Loop: Header=BB72_11 Depth=3
	s_wait_alu 0xfffe
	s_or_b32 exec_lo, exec_lo, s5
	s_wait_dscnt 0x0
	s_barrier_signal -1
	s_barrier_wait -1
	global_inv scope:SCOPE_SE
	ds_load_b128 v[63:66], v47
	ds_load_2addr_b64 v[67:70], v46 offset1:16
	ds_load_b128 v[71:74], v47 offset:4096
	ds_load_b128 v[75:78], v47 offset:16
	;; [unrolled: 1-line block ×4, first 2 shown]
	ds_load_2addr_b64 v[83:86], v46 offset0:32 offset1:48
	ds_load_b128 v[87:90], v47 offset:4112
	v_add_co_u32 v36, s5, 0x100, v36
	s_wait_alu 0xf1ff
	v_add_co_ci_u32_e64 v37, null, 0, v37, s5
	v_add_co_u32 v42, s5, v42, s46
	s_wait_alu 0xf1ff
	v_add_co_ci_u32_e64 v43, null, s47, v43, s5
	;; [unrolled: 3-line block ×3, first 2 shown]
	v_add_co_u32 v40, s5, v40, s46
	s_wait_dscnt 0x6
	v_dual_mul_f32 v91, v64, v68 :: v_dual_mul_f32 v94, v63, v70
	v_dual_mul_f32 v92, v63, v68 :: v_dual_mul_f32 v93, v64, v70
	s_wait_dscnt 0x5
	v_mul_f32_e32 v95, v72, v68
	s_delay_alu instid0(VALU_DEP_3)
	v_fma_f32 v91, v63, v67, -v91
	v_mul_f32_e32 v68, v71, v68
	v_fmac_f32_e32 v92, v64, v67
	v_fma_f32 v63, v63, v69, -v93
	v_mul_f32_e32 v96, v72, v70
	v_mul_f32_e32 v70, v71, v70
	v_fmac_f32_e32 v94, v64, v69
	v_fma_f32 v64, v71, v67, -v95
	v_add_f32_e32 v61, v61, v91
	s_delay_alu instid0(VALU_DEP_4)
	v_dual_add_f32 v63, v59, v63 :: v_dual_fmac_f32 v70, v72, v69
	v_fmac_f32_e32 v68, v72, v67
	v_fma_f32 v67, v71, v69, -v96
	s_wait_dscnt 0x1
	v_mul_f32_e32 v71, v66, v84
	v_mul_f32_e32 v69, v65, v84
	v_add_f32_e32 v62, v62, v92
	v_add_f32_e32 v60, v60, v94
	;; [unrolled: 1-line block ×3, first 2 shown]
	v_fma_f32 v71, v65, v83, -v71
	v_dual_add_f32 v35, v35, v70 :: v_dual_add_f32 v68, v58, v68
	v_dual_fmac_f32 v69, v66, v83 :: v_dual_add_f32 v64, v57, v64
	ds_load_2addr_b64 v[56:59], v46 offset0:64 offset1:80
	v_mul_f32_e32 v72, v66, v86
	v_mul_f32_e32 v70, v65, v86
	v_add_f32_e32 v71, v61, v71
	v_dual_add_f32 v69, v62, v69 :: v_dual_mul_f32 v62, v73, v84
	s_delay_alu instid0(VALU_DEP_4)
	v_fma_f32 v61, v65, v85, -v72
	v_mul_f32_e32 v65, v74, v84
	v_fmac_f32_e32 v70, v66, v85
	s_add_nc_u64 s[24:25], s[24:25], 32
	v_add_co_ci_u32_e64 v41, null, s47, v41, s5
	v_add_f32_e32 v66, v63, v61
	v_fma_f32 v61, v73, v83, -v65
	v_mul_f32_e32 v63, v74, v86
	v_add_f32_e32 v65, v60, v70
	v_mul_f32_e32 v70, v73, v86
	s_wait_alu 0xfffe
	s_sub_co_i32 s5, s24, 32
	v_fma_f32 v60, v73, v85, -v63
	s_wait_dscnt 0x0
	v_mul_f32_e32 v72, v75, v57
	s_wait_alu 0xfffe
	s_cmp_ge_i32 s5, s53
	v_add_f32_e32 v67, v67, v60
	s_delay_alu instid0(VALU_DEP_2) | instskip(SKIP_2) | instid1(VALU_DEP_3)
	v_fmac_f32_e32 v72, v76, v56
	v_add_f32_e32 v64, v64, v61
	v_mul_f32_e32 v61, v76, v57
	v_dual_add_f32 v69, v69, v72 :: v_dual_mul_f32 v72, v88, v57
	s_delay_alu instid0(VALU_DEP_2) | instskip(SKIP_2) | instid1(VALU_DEP_2)
	v_fma_f32 v73, v75, v56, -v61
	v_mul_f32_e32 v57, v87, v57
	v_fmac_f32_e32 v70, v74, v85
	v_dual_fmac_f32 v62, v74, v83 :: v_dual_fmac_f32 v57, v88, v56
	s_delay_alu instid0(VALU_DEP_2) | instskip(SKIP_2) | instid1(VALU_DEP_1)
	v_add_f32_e32 v35, v35, v70
	v_add_f32_e32 v70, v71, v73
	v_mul_f32_e32 v71, v75, v59
	v_fmac_f32_e32 v71, v76, v58
	v_add_f32_e32 v68, v68, v62
	ds_load_2addr_b64 v[60:63], v46 offset0:96 offset1:112
	v_mul_f32_e32 v74, v76, v59
	v_add_f32_e32 v65, v65, v71
	s_delay_alu instid0(VALU_DEP_2) | instskip(SKIP_1) | instid1(VALU_DEP_1)
	v_fma_f32 v73, v75, v58, -v74
	v_mul_f32_e32 v74, v87, v59
	v_fmac_f32_e32 v74, v88, v58
	s_delay_alu instid0(VALU_DEP_1) | instskip(SKIP_3) | instid1(VALU_DEP_2)
	v_add_f32_e32 v35, v35, v74
	v_fma_f32 v72, v87, v56, -v72
	v_dual_add_f32 v66, v66, v73 :: v_dual_mul_f32 v73, v88, v59
	s_wait_dscnt 0x0
	v_dual_add_f32 v71, v64, v72 :: v_dual_mul_f32 v64, v78, v61
	s_delay_alu instid0(VALU_DEP_2) | instskip(SKIP_1) | instid1(VALU_DEP_3)
	v_fma_f32 v56, v87, v58, -v73
	v_mul_f32_e32 v73, v78, v63
	v_fma_f32 v64, v77, v60, -v64
	s_delay_alu instid0(VALU_DEP_3) | instskip(NEXT) | instid1(VALU_DEP_3)
	v_dual_add_f32 v72, v67, v56 :: v_dual_mul_f32 v67, v77, v61
	v_fma_f32 v73, v77, v62, -v73
	s_delay_alu instid0(VALU_DEP_3) | instskip(SKIP_1) | instid1(VALU_DEP_4)
	v_add_f32_e32 v70, v70, v64
	v_mul_f32_e32 v64, v90, v61
	v_dual_fmac_f32 v67, v78, v60 :: v_dual_add_f32 v68, v68, v57
	ds_load_2addr_b64 v[56:59], v46 offset0:128 offset1:144
	v_mul_f32_e32 v61, v89, v61
	v_mul_f32_e32 v74, v77, v63
	v_fma_f32 v75, v89, v60, -v64
	v_mul_f32_e32 v76, v90, v63
	v_add_f32_e32 v69, v69, v67
	v_fmac_f32_e32 v61, v90, v60
	s_delay_alu instid0(VALU_DEP_4) | instskip(SKIP_3) | instid1(VALU_DEP_3)
	v_dual_fmac_f32 v74, v78, v62 :: v_dual_add_f32 v75, v71, v75
	v_mul_f32_e32 v71, v89, v63
	v_add_f32_e32 v73, v66, v73
	v_fma_f32 v60, v89, v62, -v76
	v_dual_add_f32 v76, v68, v61 :: v_dual_fmac_f32 v71, v90, v62
	s_delay_alu instid0(VALU_DEP_1) | instskip(SKIP_4) | instid1(VALU_DEP_3)
	v_dual_add_f32 v72, v72, v60 :: v_dual_add_f32 v35, v35, v71
	s_wait_dscnt 0x0
	v_mul_f32_e32 v63, v80, v57
	v_mul_f32_e32 v83, v79, v59
	v_mul_f32_e32 v68, v79, v57
	v_fma_f32 v77, v79, v56, -v63
	v_add_f32_e32 v74, v65, v74
	ds_load_b128 v[64:67], v47 offset:4128
	ds_load_2addr_b64 v[60:63], v46 offset0:160 offset1:176
	v_mul_f32_e32 v78, v80, v59
	v_fmac_f32_e32 v83, v80, v58
	v_add_f32_e32 v77, v70, v77
	s_delay_alu instid0(VALU_DEP_3) | instskip(NEXT) | instid1(VALU_DEP_1)
	v_fma_f32 v78, v79, v58, -v78
	v_dual_fmac_f32 v68, v80, v56 :: v_dual_add_f32 v73, v73, v78
	s_delay_alu instid0(VALU_DEP_1)
	v_add_f32_e32 v84, v69, v68
	ds_load_b128 v[68:71], v47 offset:4144
	s_wait_dscnt 0x2
	v_mul_f32_e32 v79, v65, v57
	v_dual_mul_f32 v57, v64, v57 :: v_dual_mul_f32 v78, v65, v59
	s_wait_dscnt 0x1
	v_dual_mul_f32 v80, v64, v59 :: v_dual_mul_f32 v59, v82, v61
	s_delay_alu instid0(VALU_DEP_3) | instskip(NEXT) | instid1(VALU_DEP_3)
	v_fma_f32 v79, v64, v56, -v79
	v_fmac_f32_e32 v57, v65, v56
	v_fma_f32 v56, v64, v58, -v78
	v_add_f32_e32 v74, v74, v83
	s_delay_alu instid0(VALU_DEP_3)
	v_dual_add_f32 v64, v75, v79 :: v_dual_add_f32 v75, v76, v57
	v_fma_f32 v76, v81, v60, -v59
	v_dual_mul_f32 v79, v67, v61 :: v_dual_fmac_f32 v80, v65, v58
	v_dual_add_f32 v65, v72, v56 :: v_dual_mul_f32 v72, v81, v61
	ds_load_2addr_b64 v[56:59], v46 offset0:192 offset1:208
	v_add_f32_e32 v76, v77, v76
	v_mul_f32_e32 v77, v81, v63
	v_mul_f32_e32 v61, v66, v61
	v_dual_mul_f32 v78, v82, v63 :: v_dual_add_f32 v35, v35, v80
	v_fmac_f32_e32 v72, v82, v60
	s_delay_alu instid0(VALU_DEP_4) | instskip(NEXT) | instid1(VALU_DEP_4)
	v_fmac_f32_e32 v77, v82, v62
	v_fmac_f32_e32 v61, v67, v60
	s_delay_alu instid0(VALU_DEP_4) | instskip(NEXT) | instid1(VALU_DEP_4)
	v_fma_f32 v78, v81, v62, -v78
	v_add_f32_e32 v72, v84, v72
	s_delay_alu instid0(VALU_DEP_4) | instskip(NEXT) | instid1(VALU_DEP_4)
	v_add_f32_e32 v74, v74, v77
	v_add_f32_e32 v75, v75, v61
	s_delay_alu instid0(VALU_DEP_4) | instskip(SKIP_2) | instid1(VALU_DEP_2)
	v_add_f32_e32 v73, v73, v78
	v_fma_f32 v78, v66, v60, -v79
	v_mul_f32_e32 v60, v67, v63
	v_dual_mul_f32 v77, v66, v63 :: v_dual_add_f32 v64, v64, v78
	s_wait_dscnt 0x0
	v_dual_mul_f32 v78, v1, v57 :: v_dual_mul_f32 v79, v0, v59
	s_delay_alu instid0(VALU_DEP_2)
	v_fmac_f32_e32 v77, v67, v62
	v_mul_f32_e32 v67, v0, v57
	v_fma_f32 v66, v66, v62, -v60
	ds_load_2addr_b64 v[60:63], v46 offset0:224 offset1:240
	v_fmac_f32_e32 v79, v1, v58
	v_fmac_f32_e32 v67, v1, v56
	v_add_f32_e32 v65, v65, v66
	v_fma_f32 v66, v0, v56, -v78
	v_mul_f32_e32 v78, v1, v59
	v_mul_f32_e32 v1, v69, v57
	v_mul_f32_e32 v57, v68, v57
	s_delay_alu instid0(VALU_DEP_4) | instskip(NEXT) | instid1(VALU_DEP_4)
	v_add_f32_e32 v76, v76, v66
	v_fma_f32 v0, v0, v58, -v78
	v_dual_add_f32 v35, v35, v77 :: v_dual_mul_f32 v66, v69, v59
	s_delay_alu instid0(VALU_DEP_4) | instskip(NEXT) | instid1(VALU_DEP_3)
	v_dual_fmac_f32 v57, v69, v56 :: v_dual_add_f32 v72, v72, v67
	v_add_f32_e32 v0, v73, v0
	s_wait_dscnt 0x0
	v_mul_f32_e32 v78, v3, v63
	v_fma_f32 v1, v68, v56, -v1
	v_add_f32_e32 v73, v74, v79
	v_mul_f32_e32 v74, v68, v59
	v_fma_f32 v56, v68, v58, -v66
	v_mul_f32_e32 v59, v3, v61
	v_add_f32_e32 v68, v64, v1
	s_delay_alu instid0(VALU_DEP_4) | instskip(NEXT) | instid1(VALU_DEP_3)
	v_fmac_f32_e32 v74, v69, v58
	v_fma_f32 v1, v2, v60, -v59
	v_add_f32_e32 v69, v65, v56
	s_delay_alu instid0(VALU_DEP_3)
	v_dual_add_f32 v35, v35, v74 :: v_dual_mul_f32 v74, v2, v63
	v_add_f32_e32 v77, v75, v57
	v_mul_f32_e32 v75, v2, v61
	ds_load_b128 v[56:59], v47 offset:64
	ds_load_2addr_b64 v[64:67], v51 offset1:16
	v_add_f32_e32 v76, v76, v1
	v_fma_f32 v1, v2, v62, -v78
	v_mul_f32_e32 v2, v71, v61
	v_fmac_f32_e32 v74, v3, v62
	s_delay_alu instid0(VALU_DEP_1) | instskip(NEXT) | instid1(VALU_DEP_1)
	v_dual_fmac_f32 v75, v3, v60 :: v_dual_add_f32 v80, v73, v74
	v_add_f32_e32 v78, v72, v75
	s_delay_alu instid0(VALU_DEP_4) | instskip(SKIP_1) | instid1(VALU_DEP_2)
	v_fma_f32 v72, v70, v60, -v2
	v_mul_f32_e32 v75, v71, v63
	v_dual_add_f32 v81, v68, v72 :: v_dual_mul_f32 v68, v70, v63
	v_mul_f32_e32 v61, v70, v61
	s_wait_dscnt 0x0
	s_delay_alu instid0(VALU_DEP_2) | instskip(NEXT) | instid1(VALU_DEP_2)
	v_dual_mul_f32 v83, v56, v67 :: v_dual_fmac_f32 v68, v71, v62
	v_fmac_f32_e32 v61, v71, v60
	v_fma_f32 v60, v70, v62, -v75
	v_mul_f32_e32 v70, v56, v65
	v_add_f32_e32 v79, v0, v1
	ds_load_b128 v[0:3], v47 offset:4160
	ds_load_b128 v[72:75], v47 offset:80
	v_add_f32_e32 v82, v69, v60
	v_fmac_f32_e32 v70, v57, v64
	v_mul_f32_e32 v63, v57, v65
	v_mul_f32_e32 v71, v57, v67
	s_delay_alu instid0(VALU_DEP_3) | instskip(NEXT) | instid1(VALU_DEP_3)
	v_dual_add_f32 v35, v35, v68 :: v_dual_add_f32 v78, v78, v70
	v_fma_f32 v69, v56, v64, -v63
	s_delay_alu instid0(VALU_DEP_3) | instskip(NEXT) | instid1(VALU_DEP_2)
	v_fma_f32 v56, v56, v66, -v71
	v_add_f32_e32 v76, v76, v69
	s_delay_alu instid0(VALU_DEP_2)
	v_dual_add_f32 v77, v77, v61 :: v_dual_add_f32 v56, v79, v56
	ds_load_2addr_b64 v[60:63], v51 offset0:32 offset1:48
	v_fmac_f32_e32 v83, v57, v66
	ds_load_b128 v[68:71], v47 offset:4176
	s_wait_dscnt 0x3
	v_mul_f32_e32 v84, v1, v65
	v_mul_f32_e32 v57, v0, v65
	;; [unrolled: 1-line block ×3, first 2 shown]
	v_add_f32_e32 v80, v80, v83
	v_mul_f32_e32 v83, v0, v67
	v_fma_f32 v79, v0, v64, -v84
	v_fmac_f32_e32 v57, v1, v64
	s_delay_alu instid0(VALU_DEP_3) | instskip(NEXT) | instid1(VALU_DEP_3)
	v_fmac_f32_e32 v83, v1, v66
	v_add_f32_e32 v79, v81, v79
	s_delay_alu instid0(VALU_DEP_3) | instskip(SKIP_2) | instid1(VALU_DEP_1)
	v_add_f32_e32 v57, v77, v57
	s_wait_dscnt 0x1
	v_mul_f32_e32 v64, v59, v61
	v_fma_f32 v1, v58, v60, -v64
	s_delay_alu instid0(VALU_DEP_1)
	v_add_f32_e32 v76, v76, v1
	v_fma_f32 v0, v0, v66, -v65
	ds_load_2addr_b64 v[64:67], v51 offset0:64 offset1:80
	v_mul_f32_e32 v81, v59, v63
	v_mul_f32_e32 v1, v58, v63
	v_add_f32_e32 v77, v82, v0
	v_mul_f32_e32 v0, v58, v61
	s_delay_alu instid0(VALU_DEP_4) | instskip(NEXT) | instid1(VALU_DEP_2)
	v_fma_f32 v58, v58, v62, -v81
	v_fmac_f32_e32 v0, v59, v60
	s_delay_alu instid0(VALU_DEP_2) | instskip(SKIP_1) | instid1(VALU_DEP_3)
	v_add_f32_e32 v56, v56, v58
	v_mul_f32_e32 v58, v3, v63
	v_dual_add_f32 v78, v78, v0 :: v_dual_mul_f32 v81, v3, v61
	v_mul_f32_e32 v61, v2, v61
	s_delay_alu instid0(VALU_DEP_3) | instskip(NEXT) | instid1(VALU_DEP_3)
	v_fma_f32 v58, v2, v62, -v58
	v_fma_f32 v0, v2, v60, -v81
	s_delay_alu instid0(VALU_DEP_3) | instskip(NEXT) | instid1(VALU_DEP_2)
	v_dual_fmac_f32 v61, v3, v60 :: v_dual_mul_f32 v60, v2, v63
	v_add_f32_e32 v63, v79, v0
	s_delay_alu instid0(VALU_DEP_2) | instskip(SKIP_1) | instid1(VALU_DEP_3)
	v_add_f32_e32 v57, v57, v61
	s_wait_dscnt 0x0
	v_dual_mul_f32 v61, v73, v65 :: v_dual_fmac_f32 v60, v3, v62
	v_dual_add_f32 v35, v35, v83 :: v_dual_add_f32 v58, v77, v58
	v_mul_f32_e32 v77, v73, v67
	s_delay_alu instid0(VALU_DEP_3) | instskip(SKIP_2) | instid1(VALU_DEP_3)
	v_fma_f32 v61, v72, v64, -v61
	v_dual_fmac_f32 v1, v59, v62 :: v_dual_mul_f32 v62, v72, v65
	v_mul_f32_e32 v79, v72, v67
	v_dual_add_f32 v35, v35, v60 :: v_dual_add_f32 v76, v76, v61
	v_fma_f32 v60, v72, v66, -v77
	s_delay_alu instid0(VALU_DEP_4) | instskip(NEXT) | instid1(VALU_DEP_1)
	v_fmac_f32_e32 v62, v73, v64
	v_dual_mul_f32 v61, v69, v65 :: v_dual_add_f32 v72, v78, v62
	v_mul_f32_e32 v62, v68, v65
	v_add_f32_e32 v59, v80, v1
	ds_load_2addr_b64 v[0:3], v51 offset0:96 offset1:112
	v_fmac_f32_e32 v79, v73, v66
	s_delay_alu instid0(VALU_DEP_1) | instskip(SKIP_2) | instid1(VALU_DEP_1)
	v_dual_fmac_f32 v62, v69, v64 :: v_dual_add_f32 v73, v59, v79
	v_fma_f32 v59, v68, v64, -v61
	v_mul_f32_e32 v64, v68, v67
	v_fmac_f32_e32 v64, v69, v66
	s_wait_dscnt 0x0
	s_delay_alu instid0(VALU_DEP_1) | instskip(SKIP_3) | instid1(VALU_DEP_4)
	v_dual_add_f32 v35, v35, v64 :: v_dual_mul_f32 v64, v74, v3
	v_dual_add_f32 v65, v56, v60 :: v_dual_mul_f32 v56, v69, v67
	v_mul_f32_e32 v60, v75, v1
	v_mul_f32_e32 v78, v75, v3
	v_dual_fmac_f32 v64, v75, v2 :: v_dual_mul_f32 v67, v74, v1
	s_delay_alu instid0(VALU_DEP_4) | instskip(NEXT) | instid1(VALU_DEP_4)
	v_fma_f32 v56, v68, v66, -v56
	v_fma_f32 v66, v74, v0, -v60
	s_delay_alu instid0(VALU_DEP_2) | instskip(NEXT) | instid1(VALU_DEP_2)
	v_dual_add_f32 v68, v63, v59 :: v_dual_add_f32 v69, v58, v56
	v_dual_add_f32 v76, v76, v66 :: v_dual_fmac_f32 v67, v75, v0
	v_add_f32_e32 v77, v57, v62
	ds_load_b128 v[56:59], v47 offset:96
	ds_load_2addr_b64 v[60:63], v51 offset0:128 offset1:144
	v_fma_f32 v66, v74, v2, -v78
	v_mul_f32_e32 v74, v71, v1
	v_add_f32_e32 v78, v72, v67
	s_delay_alu instid0(VALU_DEP_2) | instskip(NEXT) | instid1(VALU_DEP_1)
	v_fma_f32 v72, v70, v0, -v74
	v_dual_mul_f32 v74, v71, v3 :: v_dual_add_f32 v81, v68, v72
	v_mul_f32_e32 v68, v70, v3
	s_delay_alu instid0(VALU_DEP_1) | instskip(NEXT) | instid1(VALU_DEP_1)
	v_dual_mul_f32 v1, v70, v1 :: v_dual_fmac_f32 v68, v71, v2
	v_fmac_f32_e32 v1, v71, v0
	s_delay_alu instid0(VALU_DEP_4)
	v_fma_f32 v0, v70, v2, -v74
	s_wait_dscnt 0x0
	v_mul_f32_e32 v83, v56, v63
	v_mul_f32_e32 v70, v56, v61
	v_add_f32_e32 v80, v73, v64
	ds_load_b128 v[72:75], v47 offset:112
	v_add_f32_e32 v82, v69, v0
	v_fmac_f32_e32 v83, v57, v62
	v_add_f32_e32 v79, v65, v66
	ds_load_b128 v[64:67], v47 offset:4192
	v_fmac_f32_e32 v70, v57, v60
	v_mul_f32_e32 v71, v57, v63
	v_dual_add_f32 v80, v80, v83 :: v_dual_mul_f32 v3, v57, v61
	s_delay_alu instid0(VALU_DEP_1) | instskip(NEXT) | instid1(VALU_DEP_3)
	v_fma_f32 v69, v56, v60, -v3
	v_fma_f32 v56, v56, v62, -v71
	s_delay_alu instid0(VALU_DEP_2) | instskip(SKIP_1) | instid1(VALU_DEP_2)
	v_add_f32_e32 v76, v76, v69
	s_wait_dscnt 0x0
	v_dual_add_f32 v56, v79, v56 :: v_dual_mul_f32 v57, v64, v61
	v_dual_add_f32 v78, v78, v70 :: v_dual_add_f32 v77, v77, v1
	ds_load_2addr_b64 v[0:3], v51 offset0:160 offset1:176
	v_mul_f32_e32 v84, v65, v61
	v_mul_f32_e32 v61, v65, v63
	v_fmac_f32_e32 v57, v65, v60
	v_mul_f32_e32 v83, v64, v63
	s_delay_alu instid0(VALU_DEP_4) | instskip(NEXT) | instid1(VALU_DEP_4)
	v_fma_f32 v79, v64, v60, -v84
	v_fma_f32 v60, v64, v62, -v61
	v_add_f32_e32 v35, v35, v68
	ds_load_b128 v[68:71], v47 offset:4208
	v_fmac_f32_e32 v83, v65, v62
	v_dual_add_f32 v64, v81, v79 :: v_dual_add_f32 v65, v82, v60
	s_wait_dscnt 0x1
	v_mul_f32_e32 v61, v59, v1
	s_delay_alu instid0(VALU_DEP_1)
	v_fma_f32 v79, v58, v0, -v61
	ds_load_2addr_b64 v[60:63], v51 offset0:192 offset1:208
	v_mul_f32_e32 v81, v59, v3
	v_dual_add_f32 v76, v76, v79 :: v_dual_add_f32 v57, v77, v57
	v_mul_f32_e32 v77, v58, v1
	v_mul_f32_e32 v79, v58, v3
	s_delay_alu instid0(VALU_DEP_4)
	v_fma_f32 v58, v58, v2, -v81
	v_mul_f32_e32 v81, v67, v1
	v_mul_f32_e32 v1, v66, v1
	v_fmac_f32_e32 v77, v59, v0
	v_fmac_f32_e32 v79, v59, v2
	v_add_f32_e32 v56, v56, v58
	v_fma_f32 v58, v66, v0, -v81
	v_fmac_f32_e32 v1, v67, v0
	v_dual_mul_f32 v0, v67, v3 :: v_dual_add_f32 v77, v78, v77
	v_mul_f32_e32 v78, v66, v3
	s_delay_alu instid0(VALU_DEP_4) | instskip(NEXT) | instid1(VALU_DEP_3)
	v_add_f32_e32 v58, v64, v58
	v_fma_f32 v64, v66, v2, -v0
	s_wait_dscnt 0x0
	v_mul_f32_e32 v66, v73, v61
	v_dual_fmac_f32 v78, v67, v2 :: v_dual_mul_f32 v67, v72, v61
	s_delay_alu instid0(VALU_DEP_3) | instskip(NEXT) | instid1(VALU_DEP_3)
	v_add_f32_e32 v64, v65, v64
	v_fma_f32 v65, v72, v60, -v66
	v_mul_f32_e32 v66, v73, v63
	s_delay_alu instid0(VALU_DEP_4) | instskip(NEXT) | instid1(VALU_DEP_2)
	v_fmac_f32_e32 v67, v73, v60
	v_fma_f32 v66, v72, v62, -v66
	s_delay_alu instid0(VALU_DEP_1) | instskip(SKIP_4) | instid1(VALU_DEP_2)
	v_dual_add_f32 v66, v56, v66 :: v_dual_add_f32 v57, v57, v1
	ds_load_2addr_b64 v[0:3], v51 offset0:224 offset1:240
	v_add_f32_e32 v59, v80, v79
	v_dual_mul_f32 v79, v72, v63 :: v_dual_mul_f32 v72, v69, v61
	v_dual_mul_f32 v61, v68, v61 :: v_dual_mul_f32 v56, v69, v63
	v_fmac_f32_e32 v79, v73, v62
	s_delay_alu instid0(VALU_DEP_2) | instskip(NEXT) | instid1(VALU_DEP_3)
	v_fmac_f32_e32 v61, v69, v60
	v_fma_f32 v56, v68, v62, -v56
	s_delay_alu instid0(VALU_DEP_3) | instskip(SKIP_3) | instid1(VALU_DEP_3)
	v_add_f32_e32 v73, v59, v79
	v_fma_f32 v59, v68, v60, -v72
	v_mul_f32_e32 v72, v68, v63
	v_add_f32_e32 v35, v35, v83
	v_add_f32_e32 v68, v58, v59
	s_delay_alu instid0(VALU_DEP_3) | instskip(SKIP_4) | instid1(VALU_DEP_3)
	v_fmac_f32_e32 v72, v69, v62
	s_wait_dscnt 0x0
	v_dual_mul_f32 v60, v75, v1 :: v_dual_add_f32 v69, v64, v56
	v_add_f32_e32 v65, v76, v65
	v_add_f32_e32 v76, v57, v61
	v_fma_f32 v64, v74, v0, -v60
	ds_load_b128 v[56:59], v47 offset:128
	ds_load_2addr_b64 v[60:63], v52 offset1:16
	v_add_f32_e32 v35, v35, v78
	v_dual_mul_f32 v78, v75, v3 :: v_dual_add_f32 v79, v65, v64
	v_mul_f32_e32 v65, v71, v1
	s_delay_alu instid0(VALU_DEP_3) | instskip(NEXT) | instid1(VALU_DEP_3)
	v_add_f32_e32 v35, v35, v72
	v_fma_f32 v64, v74, v2, -v78
	v_mul_f32_e32 v72, v74, v3
	s_delay_alu instid0(VALU_DEP_2) | instskip(SKIP_2) | instid1(VALU_DEP_4)
	v_dual_add_f32 v78, v66, v64 :: v_dual_add_f32 v67, v77, v67
	v_mul_f32_e32 v77, v74, v1
	v_fma_f32 v74, v70, v0, -v65
	v_dual_fmac_f32 v72, v75, v2 :: v_dual_mul_f32 v1, v70, v1
	s_delay_alu instid0(VALU_DEP_3) | instskip(SKIP_1) | instid1(VALU_DEP_4)
	v_fmac_f32_e32 v77, v75, v0
	v_mul_f32_e32 v75, v71, v3
	v_dual_add_f32 v81, v68, v74 :: v_dual_mul_f32 v68, v70, v3
	s_delay_alu instid0(VALU_DEP_4)
	v_fmac_f32_e32 v1, v71, v0
	s_wait_dscnt 0x0
	v_mul_f32_e32 v3, v57, v61
	v_fma_f32 v0, v70, v2, -v75
	v_mul_f32_e32 v70, v56, v61
	v_dual_fmac_f32 v68, v71, v2 :: v_dual_mul_f32 v71, v57, v63
	s_delay_alu instid0(VALU_DEP_3) | instskip(SKIP_2) | instid1(VALU_DEP_4)
	v_dual_mul_f32 v83, v56, v63 :: v_dual_add_f32 v82, v69, v0
	v_fma_f32 v69, v56, v60, -v3
	v_add_f32_e32 v76, v76, v1
	v_fma_f32 v56, v56, v62, -v71
	ds_load_2addr_b64 v[0:3], v52 offset0:32 offset1:48
	v_add_f32_e32 v80, v73, v72
	ds_load_b128 v[72:75], v47 offset:144
	v_fmac_f32_e32 v70, v57, v60
	v_dual_add_f32 v56, v78, v56 :: v_dual_add_f32 v77, v67, v77
	ds_load_b128 v[64:67], v47 offset:4224
	v_fmac_f32_e32 v83, v57, v62
	s_delay_alu instid0(VALU_DEP_1)
	v_add_f32_e32 v80, v80, v83
	s_wait_dscnt 0x0
	v_mul_f32_e32 v84, v65, v61
	v_mul_f32_e32 v57, v64, v61
	;; [unrolled: 1-line block ×4, first 2 shown]
	s_delay_alu instid0(VALU_DEP_4) | instskip(NEXT) | instid1(VALU_DEP_4)
	v_fma_f32 v78, v64, v60, -v84
	v_fmac_f32_e32 v57, v65, v60
	s_delay_alu instid0(VALU_DEP_4) | instskip(SKIP_3) | instid1(VALU_DEP_4)
	v_fma_f32 v60, v64, v62, -v61
	v_mul_f32_e32 v61, v59, v1
	v_fmac_f32_e32 v83, v65, v62
	v_dual_add_f32 v64, v81, v78 :: v_dual_mul_f32 v81, v59, v3
	v_add_f32_e32 v65, v82, v60
	s_delay_alu instid0(VALU_DEP_4) | instskip(SKIP_4) | instid1(VALU_DEP_3)
	v_fma_f32 v78, v58, v0, -v61
	ds_load_2addr_b64 v[60:63], v52 offset0:64 offset1:80
	v_add_f32_e32 v79, v79, v69
	v_add_f32_e32 v57, v76, v57
	v_mul_f32_e32 v76, v58, v1
	v_dual_add_f32 v78, v79, v78 :: v_dual_mul_f32 v79, v58, v3
	v_fma_f32 v58, v58, v2, -v81
	v_mul_f32_e32 v81, v67, v1
	s_delay_alu instid0(VALU_DEP_4) | instskip(NEXT) | instid1(VALU_DEP_4)
	v_dual_mul_f32 v1, v66, v1 :: v_dual_fmac_f32 v76, v59, v0
	v_fmac_f32_e32 v79, v59, v2
	s_delay_alu instid0(VALU_DEP_4) | instskip(NEXT) | instid1(VALU_DEP_4)
	v_add_f32_e32 v56, v56, v58
	v_fma_f32 v58, v66, v0, -v81
	s_delay_alu instid0(VALU_DEP_4) | instskip(SKIP_3) | instid1(VALU_DEP_4)
	v_fmac_f32_e32 v1, v67, v0
	v_mul_f32_e32 v0, v67, v3
	v_add_f32_e32 v35, v35, v68
	v_add_f32_e32 v59, v80, v79
	v_dual_add_f32 v58, v64, v58 :: v_dual_add_f32 v57, v57, v1
	s_delay_alu instid0(VALU_DEP_4) | instskip(SKIP_1) | instid1(VALU_DEP_1)
	v_fma_f32 v64, v66, v2, -v0
	s_wait_dscnt 0x0
	v_dual_mul_f32 v79, v72, v63 :: v_dual_add_f32 v64, v65, v64
	v_add_f32_e32 v77, v77, v70
	ds_load_b128 v[68:71], v47 offset:4240
	v_fmac_f32_e32 v79, v73, v62
	v_dual_add_f32 v76, v77, v76 :: v_dual_mul_f32 v77, v66, v3
	s_delay_alu instid0(VALU_DEP_1) | instskip(SKIP_3) | instid1(VALU_DEP_2)
	v_dual_mul_f32 v66, v73, v61 :: v_dual_fmac_f32 v77, v67, v2
	ds_load_2addr_b64 v[0:3], v52 offset0:96 offset1:112
	v_fma_f32 v65, v72, v60, -v66
	v_dual_mul_f32 v66, v73, v63 :: v_dual_mul_f32 v67, v72, v61
	v_add_f32_e32 v65, v78, v65
	s_delay_alu instid0(VALU_DEP_2) | instskip(NEXT) | instid1(VALU_DEP_3)
	v_fma_f32 v66, v72, v62, -v66
	v_fmac_f32_e32 v67, v73, v60
	s_wait_dscnt 0x1
	v_mul_f32_e32 v72, v69, v61
	v_mul_f32_e32 v61, v68, v61
	v_dual_add_f32 v73, v59, v79 :: v_dual_add_f32 v66, v56, v66
	v_mul_f32_e32 v56, v69, v63
	s_delay_alu instid0(VALU_DEP_4) | instskip(NEXT) | instid1(VALU_DEP_4)
	v_fma_f32 v59, v68, v60, -v72
	v_dual_fmac_f32 v61, v69, v60 :: v_dual_mul_f32 v72, v68, v63
	v_add_f32_e32 v67, v76, v67
	s_delay_alu instid0(VALU_DEP_4) | instskip(NEXT) | instid1(VALU_DEP_4)
	v_fma_f32 v56, v68, v62, -v56
	v_add_f32_e32 v68, v58, v59
	s_wait_dscnt 0x0
	v_mul_f32_e32 v60, v75, v1
	v_add_f32_e32 v76, v57, v61
	v_dual_fmac_f32 v72, v69, v62 :: v_dual_add_f32 v69, v64, v56
	v_mul_f32_e32 v78, v75, v3
	s_delay_alu instid0(VALU_DEP_4)
	v_fma_f32 v64, v74, v0, -v60
	ds_load_b128 v[56:59], v47 offset:160
	ds_load_2addr_b64 v[60:63], v52 offset0:128 offset1:144
	v_add_f32_e32 v35, v35, v83
	v_add_f32_e32 v79, v65, v64
	v_mul_f32_e32 v65, v71, v1
	s_delay_alu instid0(VALU_DEP_3) | instskip(SKIP_3) | instid1(VALU_DEP_4)
	v_add_f32_e32 v35, v35, v77
	v_mul_f32_e32 v77, v74, v1
	v_fma_f32 v64, v74, v2, -v78
	v_mul_f32_e32 v1, v70, v1
	v_dual_add_f32 v35, v35, v72 :: v_dual_mul_f32 v72, v74, v3
	s_delay_alu instid0(VALU_DEP_4)
	v_fmac_f32_e32 v77, v75, v0
	v_fma_f32 v74, v70, v0, -v65
	v_add_f32_e32 v78, v66, v64
	v_fmac_f32_e32 v1, v71, v0
	v_fmac_f32_e32 v72, v75, v2
	v_mul_f32_e32 v75, v71, v3
	v_add_f32_e32 v77, v67, v77
	ds_load_b128 v[64:67], v47 offset:4256
	v_dual_add_f32 v81, v68, v74 :: v_dual_mul_f32 v68, v70, v3
	v_fma_f32 v0, v70, v2, -v75
	s_wait_dscnt 0x1
	v_mul_f32_e32 v3, v57, v61
	v_add_f32_e32 v76, v76, v1
	v_mul_f32_e32 v70, v56, v61
	v_fmac_f32_e32 v68, v71, v2
	v_add_f32_e32 v82, v69, v0
	v_fma_f32 v69, v56, v60, -v3
	ds_load_2addr_b64 v[0:3], v52 offset0:160 offset1:176
	v_mul_f32_e32 v71, v57, v63
	v_dual_mul_f32 v83, v56, v63 :: v_dual_add_f32 v80, v73, v72
	ds_load_b128 v[72:75], v47 offset:176
	v_fmac_f32_e32 v70, v57, v60
	v_fma_f32 v56, v56, v62, -v71
	v_fmac_f32_e32 v83, v57, v62
	v_add_f32_e32 v79, v79, v69
	s_wait_dscnt 0x2
	v_dual_add_f32 v35, v35, v68 :: v_dual_mul_f32 v84, v65, v61
	v_mul_f32_e32 v57, v64, v61
	v_dual_mul_f32 v61, v65, v63 :: v_dual_add_f32 v56, v78, v56
	v_add_f32_e32 v80, v80, v83
	s_delay_alu instid0(VALU_DEP_4) | instskip(NEXT) | instid1(VALU_DEP_4)
	v_fma_f32 v78, v64, v60, -v84
	v_fmac_f32_e32 v57, v65, v60
	v_mul_f32_e32 v83, v64, v63
	v_fma_f32 v60, v64, v62, -v61
	v_add_f32_e32 v77, v77, v70
	s_wait_dscnt 0x1
	v_dual_mul_f32 v61, v59, v1 :: v_dual_add_f32 v64, v81, v78
	v_fmac_f32_e32 v83, v65, v62
	v_add_f32_e32 v65, v82, v60
	v_add_f32_e32 v57, v76, v57
	s_delay_alu instid0(VALU_DEP_4)
	v_fma_f32 v78, v58, v0, -v61
	ds_load_2addr_b64 v[60:63], v52 offset0:192 offset1:208
	v_dual_mul_f32 v76, v58, v1 :: v_dual_mul_f32 v81, v59, v3
	ds_load_b128 v[68:71], v47 offset:4272
	v_dual_add_f32 v78, v79, v78 :: v_dual_mul_f32 v79, v58, v3
	v_fmac_f32_e32 v76, v59, v0
	v_fma_f32 v58, v58, v2, -v81
	v_mul_f32_e32 v81, v67, v1
	v_mul_f32_e32 v1, v66, v1
	s_delay_alu instid0(VALU_DEP_4) | instskip(NEXT) | instid1(VALU_DEP_4)
	v_dual_fmac_f32 v79, v59, v2 :: v_dual_add_f32 v76, v77, v76
	v_add_f32_e32 v56, v56, v58
	s_delay_alu instid0(VALU_DEP_4) | instskip(NEXT) | instid1(VALU_DEP_4)
	v_fma_f32 v58, v66, v0, -v81
	v_fmac_f32_e32 v1, v67, v0
	v_mul_f32_e32 v0, v67, v3
	v_mul_f32_e32 v77, v66, v3
	v_add_f32_e32 v59, v80, v79
	s_delay_alu instid0(VALU_DEP_4) | instskip(NEXT) | instid1(VALU_DEP_4)
	v_dual_add_f32 v58, v64, v58 :: v_dual_add_f32 v57, v57, v1
	v_fma_f32 v64, v66, v2, -v0
	s_wait_dscnt 0x1
	v_dual_mul_f32 v66, v73, v61 :: v_dual_fmac_f32 v77, v67, v2
	ds_load_2addr_b64 v[0:3], v52 offset0:224 offset1:240
	v_dual_mul_f32 v79, v72, v63 :: v_dual_add_f32 v64, v65, v64
	v_fma_f32 v65, v72, v60, -v66
	v_dual_mul_f32 v66, v73, v63 :: v_dual_mul_f32 v67, v72, v61
	s_delay_alu instid0(VALU_DEP_3) | instskip(SKIP_1) | instid1(VALU_DEP_4)
	v_fmac_f32_e32 v79, v73, v62
	v_add_f32_e32 v35, v35, v83
	v_add_f32_e32 v65, v78, v65
	s_delay_alu instid0(VALU_DEP_4)
	v_fma_f32 v66, v72, v62, -v66
	s_wait_dscnt 0x1
	v_mul_f32_e32 v72, v69, v61
	v_mul_f32_e32 v61, v68, v61
	v_fmac_f32_e32 v67, v73, v60
	v_dual_add_f32 v73, v59, v79 :: v_dual_add_f32 v66, v56, v66
	v_mul_f32_e32 v56, v69, v63
	v_fma_f32 v59, v68, v60, -v72
	v_dual_fmac_f32 v61, v69, v60 :: v_dual_mul_f32 v72, v68, v63
	v_add_f32_e32 v67, v76, v67
	s_delay_alu instid0(VALU_DEP_4)
	v_fma_f32 v56, v68, v62, -v56
	s_wait_dscnt 0x0
	v_mul_f32_e32 v60, v75, v1
	v_add_f32_e32 v68, v58, v59
	v_add_f32_e32 v76, v57, v61
	v_dual_fmac_f32 v72, v69, v62 :: v_dual_add_f32 v69, v64, v56
	s_delay_alu instid0(VALU_DEP_4)
	v_fma_f32 v64, v74, v0, -v60
	ds_load_b128 v[56:59], v47 offset:192
	ds_load_2addr_b64 v[60:63], v53 offset1:16
	v_add_f32_e32 v35, v35, v77
	v_dual_mul_f32 v77, v74, v1 :: v_dual_mul_f32 v78, v75, v3
	v_add_f32_e32 v79, v65, v64
	v_mul_f32_e32 v65, v71, v1
	s_delay_alu instid0(VALU_DEP_4) | instskip(NEXT) | instid1(VALU_DEP_4)
	v_dual_add_f32 v35, v35, v72 :: v_dual_mul_f32 v72, v74, v3
	v_fmac_f32_e32 v77, v75, v0
	v_fma_f32 v64, v74, v2, -v78
	v_mul_f32_e32 v1, v70, v1
	v_fma_f32 v74, v70, v0, -v65
	v_fmac_f32_e32 v72, v75, v2
	v_mul_f32_e32 v75, v71, v3
	v_dual_add_f32 v77, v67, v77 :: v_dual_add_f32 v78, v66, v64
	v_fmac_f32_e32 v1, v71, v0
	ds_load_b128 v[64:67], v47 offset:4288
	v_add_f32_e32 v81, v68, v74
	v_fma_f32 v0, v70, v2, -v75
	s_wait_dscnt 0x1
	v_dual_mul_f32 v68, v70, v3 :: v_dual_mul_f32 v3, v57, v61
	v_add_f32_e32 v76, v76, v1
	v_mul_f32_e32 v70, v56, v61
	v_add_f32_e32 v82, v69, v0
	s_delay_alu instid0(VALU_DEP_4)
	v_fmac_f32_e32 v68, v71, v2
	v_fma_f32 v69, v56, v60, -v3
	ds_load_2addr_b64 v[0:3], v53 offset0:32 offset1:48
	v_mul_f32_e32 v71, v57, v63
	v_dual_mul_f32 v83, v56, v63 :: v_dual_add_f32 v80, v73, v72
	ds_load_b128 v[72:75], v47 offset:208
	v_fmac_f32_e32 v70, v57, v60
	v_fma_f32 v56, v56, v62, -v71
	v_fmac_f32_e32 v83, v57, v62
	v_add_f32_e32 v79, v79, v69
	s_wait_dscnt 0x2
	v_dual_add_f32 v35, v35, v68 :: v_dual_mul_f32 v84, v65, v61
	v_mul_f32_e32 v57, v64, v61
	v_dual_mul_f32 v61, v65, v63 :: v_dual_add_f32 v56, v78, v56
	v_add_f32_e32 v80, v80, v83
	s_delay_alu instid0(VALU_DEP_4) | instskip(NEXT) | instid1(VALU_DEP_4)
	v_fma_f32 v78, v64, v60, -v84
	v_fmac_f32_e32 v57, v65, v60
	v_mul_f32_e32 v83, v64, v63
	v_fma_f32 v60, v64, v62, -v61
	v_add_f32_e32 v77, v77, v70
	s_wait_dscnt 0x1
	v_dual_mul_f32 v61, v59, v1 :: v_dual_add_f32 v64, v81, v78
	v_fmac_f32_e32 v83, v65, v62
	v_add_f32_e32 v65, v82, v60
	v_add_f32_e32 v57, v76, v57
	s_delay_alu instid0(VALU_DEP_4)
	v_fma_f32 v78, v58, v0, -v61
	ds_load_2addr_b64 v[60:63], v53 offset0:64 offset1:80
	v_dual_mul_f32 v76, v58, v1 :: v_dual_mul_f32 v81, v59, v3
	ds_load_b128 v[68:71], v47 offset:4304
	v_dual_add_f32 v78, v79, v78 :: v_dual_mul_f32 v79, v58, v3
	v_fmac_f32_e32 v76, v59, v0
	v_fma_f32 v58, v58, v2, -v81
	v_mul_f32_e32 v81, v67, v1
	v_mul_f32_e32 v1, v66, v1
	s_delay_alu instid0(VALU_DEP_4) | instskip(NEXT) | instid1(VALU_DEP_4)
	v_dual_fmac_f32 v79, v59, v2 :: v_dual_add_f32 v76, v77, v76
	v_add_f32_e32 v56, v56, v58
	s_delay_alu instid0(VALU_DEP_4) | instskip(NEXT) | instid1(VALU_DEP_4)
	v_fma_f32 v58, v66, v0, -v81
	v_fmac_f32_e32 v1, v67, v0
	v_mul_f32_e32 v0, v67, v3
	v_mul_f32_e32 v77, v66, v3
	v_add_f32_e32 v59, v80, v79
	s_delay_alu instid0(VALU_DEP_4) | instskip(NEXT) | instid1(VALU_DEP_4)
	v_dual_add_f32 v58, v64, v58 :: v_dual_add_f32 v57, v57, v1
	v_fma_f32 v64, v66, v2, -v0
	s_wait_dscnt 0x1
	v_dual_mul_f32 v66, v73, v61 :: v_dual_fmac_f32 v77, v67, v2
	ds_load_2addr_b64 v[0:3], v53 offset0:96 offset1:112
	v_dual_mul_f32 v79, v72, v63 :: v_dual_add_f32 v64, v65, v64
	v_fma_f32 v65, v72, v60, -v66
	v_dual_mul_f32 v66, v73, v63 :: v_dual_mul_f32 v67, v72, v61
	s_delay_alu instid0(VALU_DEP_3) | instskip(SKIP_1) | instid1(VALU_DEP_4)
	v_fmac_f32_e32 v79, v73, v62
	v_add_f32_e32 v35, v35, v83
	v_add_f32_e32 v65, v78, v65
	s_delay_alu instid0(VALU_DEP_4)
	v_fma_f32 v66, v72, v62, -v66
	s_wait_dscnt 0x1
	v_mul_f32_e32 v72, v69, v61
	v_mul_f32_e32 v61, v68, v61
	v_fmac_f32_e32 v67, v73, v60
	v_dual_add_f32 v73, v59, v79 :: v_dual_add_f32 v66, v56, v66
	v_mul_f32_e32 v56, v69, v63
	v_fma_f32 v59, v68, v60, -v72
	v_dual_fmac_f32 v61, v69, v60 :: v_dual_mul_f32 v72, v68, v63
	v_add_f32_e32 v35, v35, v77
	s_delay_alu instid0(VALU_DEP_4)
	v_fma_f32 v56, v68, v62, -v56
	s_wait_dscnt 0x0
	v_dual_mul_f32 v60, v75, v1 :: v_dual_add_f32 v67, v76, v67
	v_add_f32_e32 v68, v58, v59
	v_add_f32_e32 v76, v57, v61
	v_dual_fmac_f32 v72, v69, v62 :: v_dual_add_f32 v69, v64, v56
	s_delay_alu instid0(VALU_DEP_4) | instskip(SKIP_4) | instid1(VALU_DEP_2)
	v_fma_f32 v64, v74, v0, -v60
	ds_load_b128 v[56:59], v47 offset:224
	ds_load_2addr_b64 v[60:63], v53 offset0:128 offset1:144
	v_dual_mul_f32 v77, v74, v1 :: v_dual_mul_f32 v78, v75, v3
	v_dual_add_f32 v35, v35, v72 :: v_dual_mul_f32 v72, v74, v3
	v_fmac_f32_e32 v77, v75, v0
	s_delay_alu instid0(VALU_DEP_3)
	v_fma_f32 v74, v74, v2, -v78
	v_add_f32_e32 v78, v65, v64
	v_mul_f32_e32 v64, v71, v1
	v_fmac_f32_e32 v72, v75, v2
	v_add_f32_e32 v77, v67, v77
	v_add_f32_e32 v79, v66, v74
	v_mul_f32_e32 v1, v70, v1
	v_fma_f32 v74, v70, v0, -v64
	v_add_f32_e32 v80, v73, v72
	v_mul_f32_e32 v72, v71, v3
	ds_load_b128 v[64:67], v47 offset:4320
	v_fmac_f32_e32 v1, v71, v0
	v_dual_add_f32 v81, v68, v74 :: v_dual_mul_f32 v68, v70, v3
	v_fma_f32 v0, v70, v2, -v72
	s_wait_dscnt 0x1
	v_mul_f32_e32 v3, v57, v61
	v_add_f32_e32 v76, v76, v1
	v_mul_f32_e32 v70, v57, v63
	v_fmac_f32_e32 v68, v71, v2
	v_add_f32_e32 v82, v69, v0
	v_fma_f32 v69, v56, v60, -v3
	ds_load_2addr_b64 v[0:3], v53 offset0:160 offset1:176
	ds_load_b128 v[72:75], v47 offset:240
	v_mul_f32_e32 v83, v56, v61
	v_mul_f32_e32 v84, v56, v63
	v_fma_f32 v56, v56, v62, -v70
	v_dual_add_f32 v78, v78, v69 :: v_dual_add_f32 v35, v35, v68
	s_delay_alu instid0(VALU_DEP_4) | instskip(NEXT) | instid1(VALU_DEP_4)
	v_fmac_f32_e32 v83, v57, v60
	v_fmac_f32_e32 v84, v57, v62
	s_wait_dscnt 0x2
	v_mul_f32_e32 v85, v65, v61
	v_dual_mul_f32 v57, v64, v61 :: v_dual_add_f32 v56, v79, v56
	v_mul_f32_e32 v79, v65, v63
	v_add_f32_e32 v77, v77, v83
	s_delay_alu instid0(VALU_DEP_4) | instskip(NEXT) | instid1(VALU_DEP_4)
	v_fma_f32 v61, v64, v60, -v85
	v_fmac_f32_e32 v57, v65, v60
	v_mul_f32_e32 v83, v64, v63
	v_fma_f32 v60, v64, v62, -v79
	ds_load_b128 v[68:71], v47 offset:4336
	v_add_f32_e32 v81, v81, v61
	s_wait_dscnt 0x2
	v_mul_f32_e32 v61, v59, v1
	v_add_f32_e32 v57, v76, v57
	v_dual_fmac_f32 v83, v65, v62 :: v_dual_mul_f32 v64, v58, v1
	v_add_f32_e32 v65, v82, v60
	s_delay_alu instid0(VALU_DEP_4)
	v_fma_f32 v76, v58, v0, -v61
	ds_load_2addr_b64 v[60:63], v53 offset0:192 offset1:208
	v_mul_f32_e32 v79, v59, v3
	v_fmac_f32_e32 v64, v59, v0
	v_add_f32_e32 v80, v80, v84
	v_add_f32_e32 v76, v78, v76
	v_mul_f32_e32 v78, v58, v3
	v_fma_f32 v58, v58, v2, -v79
	v_dual_add_f32 v64, v77, v64 :: v_dual_mul_f32 v77, v67, v1
	s_delay_alu instid0(VALU_DEP_3) | instskip(NEXT) | instid1(VALU_DEP_3)
	v_dual_mul_f32 v1, v66, v1 :: v_dual_fmac_f32 v78, v59, v2
	v_add_f32_e32 v56, v56, v58
	v_mul_f32_e32 v58, v67, v3
	s_delay_alu instid0(VALU_DEP_4) | instskip(NEXT) | instid1(VALU_DEP_4)
	v_fma_f32 v59, v66, v0, -v77
	v_fmac_f32_e32 v1, v67, v0
	v_dual_add_f32 v77, v80, v78 :: v_dual_mul_f32 v78, v66, v3
	s_delay_alu instid0(VALU_DEP_4) | instskip(NEXT) | instid1(VALU_DEP_4)
	v_fma_f32 v0, v66, v2, -v58
	v_add_f32_e32 v58, v81, v59
	s_delay_alu instid0(VALU_DEP_4)
	v_add_f32_e32 v57, v57, v1
	s_wait_dscnt 0x0
	v_dual_mul_f32 v59, v73, v61 :: v_dual_fmac_f32 v78, v67, v2
	v_add_f32_e32 v65, v65, v0
	ds_load_2addr_b64 v[0:3], v53 offset0:224 offset1:240
	v_mul_f32_e32 v66, v72, v61
	v_fma_f32 v59, v72, v60, -v59
	v_mul_f32_e32 v67, v73, v63
	v_add_f32_e32 v35, v35, v83
	s_wait_loadcnt_dscnt 0x0
	s_delay_alu instid0(VALU_DEP_3) | instskip(SKIP_3) | instid1(VALU_DEP_4)
	v_dual_fmac_f32 v66, v73, v60 :: v_dual_add_f32 v59, v76, v59
	v_mul_f32_e32 v76, v69, v61
	v_fma_f32 v67, v72, v62, -v67
	v_mul_f32_e32 v61, v68, v61
	v_add_f32_e32 v64, v64, v66
	v_add_f32_e32 v35, v35, v78
	v_fma_f32 v66, v68, v60, -v76
	v_add_f32_e32 v56, v56, v67
	v_mul_f32_e32 v67, v69, v63
	v_dual_mul_f32 v78, v72, v63 :: v_dual_fmac_f32 v61, v69, v60
	s_delay_alu instid0(VALU_DEP_4) | instskip(SKIP_1) | instid1(VALU_DEP_4)
	v_add_f32_e32 v58, v58, v66
	v_mul_f32_e32 v60, v68, v63
	v_fma_f32 v63, v68, v62, -v67
	v_mul_f32_e32 v66, v75, v1
	v_mul_f32_e32 v67, v74, v1
	v_add_f32_e32 v68, v57, v61
	v_fmac_f32_e32 v60, v69, v62
	v_add_f32_e32 v63, v65, v63
	v_fma_f32 v57, v74, v0, -v66
	v_fmac_f32_e32 v67, v75, v0
	v_dual_mul_f32 v65, v75, v3 :: v_dual_fmac_f32 v78, v73, v62
	v_dual_mul_f32 v66, v74, v3 :: v_dual_add_f32 v35, v35, v60
	s_delay_alu instid0(VALU_DEP_3) | instskip(NEXT) | instid1(VALU_DEP_3)
	v_dual_add_f32 v61, v59, v57 :: v_dual_add_f32 v62, v64, v67
	v_fma_f32 v57, v74, v2, -v65
	v_mul_f32_e32 v60, v71, v1
	v_dual_mul_f32 v1, v70, v1 :: v_dual_mul_f32 v64, v71, v3
	v_dual_mul_f32 v3, v70, v3 :: v_dual_add_f32 v72, v77, v78
	s_delay_alu instid0(VALU_DEP_4) | instskip(NEXT) | instid1(VALU_DEP_4)
	v_dual_fmac_f32 v66, v75, v2 :: v_dual_add_f32 v59, v56, v57
	v_fma_f32 v56, v70, v0, -v60
	s_delay_alu instid0(VALU_DEP_4) | instskip(SKIP_2) | instid1(VALU_DEP_4)
	v_fmac_f32_e32 v1, v71, v0
	v_fma_f32 v0, v70, v2, -v64
	v_fmac_f32_e32 v3, v71, v2
	v_dual_add_f32 v60, v72, v66 :: v_dual_add_f32 v57, v58, v56
	s_delay_alu instid0(VALU_DEP_4) | instskip(NEXT) | instid1(VALU_DEP_4)
	v_add_f32_e32 v58, v68, v1
	v_add_f32_e32 v56, v63, v0
	s_delay_alu instid0(VALU_DEP_4)
	v_add_f32_e32 v35, v35, v3
	s_barrier_signal -1
	s_barrier_wait -1
	global_inv scope:SCOPE_SE
	s_cbranch_scc1 .LBB72_59
.LBB72_11:                              ;   Parent Loop BB72_4 Depth=1
                                        ;     Parent Loop BB72_8 Depth=2
                                        ; =>    This Inner Loop Header: Depth=3
	s_wait_alu 0xfffe
	v_add_co_u32 v0, s5, v44, s24
	s_wait_alu 0xf1ff
	v_add_co_ci_u32_e64 v1, null, 0, s25, s5
	v_cmp_eq_u64_e64 s7, s[24:25], v[10:11]
	s_delay_alu instid0(VALU_DEP_2)
	v_cmp_le_i64_e64 s6, s[42:43], v[0:1]
	v_cmp_gt_i64_e64 s5, v[0:1], v[6:7]
	s_and_b32 s39, s55, s7
	v_add_co_u32 v2, s7, v40, v20
	s_wait_alu 0xf1ff
	v_add_co_ci_u32_e64 v3, null, v41, v21, s7
	s_or_b32 s8, s6, s5
	s_wait_alu 0xfffe
	s_or_b32 s7, s8, s39
	s_wait_alu 0xfffe
	s_nor_b32 s7, s0, s7
	s_wait_alu 0xfffe
	s_and_saveexec_b32 s8, s7
	s_wait_alu 0xfffe
	s_xor_b32 s7, exec_lo, s8
	s_cbranch_execz .LBB72_13
; %bb.12:                               ;   in Loop: Header=BB72_11 Depth=3
	global_load_b64 v[63:64], v[2:3], off
	s_wait_loadcnt 0x0
	ds_store_b64 v48, v[63:64]
.LBB72_13:                              ;   in Loop: Header=BB72_11 Depth=3
	s_wait_alu 0xfffe
	s_or_saveexec_b32 s7, s7
	s_xor_b32 s38, s39, -1
	s_wait_alu 0xfffe
	s_xor_b32 exec_lo, exec_lo, s7
	s_cbranch_execz .LBB72_19
; %bb.14:                               ;   in Loop: Header=BB72_11 Depth=3
	s_and_saveexec_b32 s8, s38
	s_wait_alu 0xfffe
	s_xor_b32 s8, exec_lo, s8
; %bb.15:                               ;   in Loop: Header=BB72_11 Depth=3
	v_dual_mov_b32 v63, v5 :: v_dual_mov_b32 v64, v5
	ds_store_b64 v48, v[63:64]
; %bb.16:                               ;   in Loop: Header=BB72_11 Depth=3
	s_wait_alu 0xfffe
	s_and_not1_saveexec_b32 s8, s8
; %bb.17:                               ;   in Loop: Header=BB72_11 Depth=3
	ds_store_b64 v48, v[4:5]
; %bb.18:                               ;   in Loop: Header=BB72_11 Depth=3
	s_wait_alu 0xfffe
	s_or_b32 exec_lo, exec_lo, s8
.LBB72_19:                              ;   in Loop: Header=BB72_11 Depth=3
	s_delay_alu instid0(SALU_CYCLE_1)
	s_or_b32 exec_lo, exec_lo, s7
	v_cmp_eq_u64_e64 s7, s[24:25], v[12:13]
	v_cmp_lt_i64_e64 s8, v[8:9], v[0:1]
	s_and_b32 s7, s55, s7
	s_or_b32 s6, s6, s8
	s_wait_alu 0xfffe
	s_or_b32 s6, s6, s7
	s_wait_alu 0xfffe
	s_nor_b32 s6, s3, s6
	s_wait_alu 0xfffe
	s_and_saveexec_b32 s8, s6
	s_wait_alu 0xfffe
	s_xor_b32 s6, exec_lo, s8
	s_cbranch_execz .LBB72_21
; %bb.20:                               ;   in Loop: Header=BB72_11 Depth=3
	global_load_b64 v[2:3], v[2:3], off offset:128
	s_wait_loadcnt 0x0
	ds_store_b64 v48, v[2:3] offset:128
.LBB72_21:                              ;   in Loop: Header=BB72_11 Depth=3
	s_wait_alu 0xfffe
	s_and_not1_saveexec_b32 s6, s6
	s_cbranch_execz .LBB72_27
; %bb.22:                               ;   in Loop: Header=BB72_11 Depth=3
	s_xor_b32 s7, s7, -1
	s_wait_alu 0xfffe
	s_and_saveexec_b32 s8, s7
	s_wait_alu 0xfffe
	s_xor_b32 s7, exec_lo, s8
; %bb.23:                               ;   in Loop: Header=BB72_11 Depth=3
	v_dual_mov_b32 v2, v5 :: v_dual_mov_b32 v3, v5
	ds_store_b64 v48, v[2:3] offset:128
; %bb.24:                               ;   in Loop: Header=BB72_11 Depth=3
	s_wait_alu 0xfffe
	s_and_not1_saveexec_b32 s7, s7
; %bb.25:                               ;   in Loop: Header=BB72_11 Depth=3
	ds_store_b64 v48, v[4:5] offset:128
; %bb.26:                               ;   in Loop: Header=BB72_11 Depth=3
	s_wait_alu 0xfffe
	s_or_b32 exec_lo, exec_lo, s7
.LBB72_27:                              ;   in Loop: Header=BB72_11 Depth=3
	s_wait_alu 0xfffe
	s_or_b32 exec_lo, exec_lo, s6
	v_add_co_u32 v0, s6, v0, 16
	s_wait_alu 0xf1ff
	v_add_co_ci_u32_e64 v1, null, 0, v1, s6
	v_cmp_eq_u64_e64 s7, s[24:25], v[16:17]
	s_delay_alu instid0(VALU_DEP_2)
	v_cmp_le_i64_e64 s6, s[42:43], v[0:1]
	v_cmp_gt_i64_e64 s8, v[0:1], v[6:7]
	s_and_b32 s57, s55, s7
	v_add_co_u32 v0, s7, v42, v20
	s_wait_alu 0xf1ff
	v_add_co_ci_u32_e64 v1, null, v43, v21, s7
	s_or_b32 s8, s6, s8
	s_wait_alu 0xfffe
	s_or_b32 s7, s8, s57
	s_wait_alu 0xfffe
	s_nor_b32 s7, s0, s7
	s_wait_alu 0xfffe
	s_and_saveexec_b32 s8, s7
	s_wait_alu 0xfffe
	s_xor_b32 s7, exec_lo, s8
	s_cbranch_execz .LBB72_29
; %bb.28:                               ;   in Loop: Header=BB72_11 Depth=3
	global_load_b64 v[2:3], v[0:1], off
	s_wait_loadcnt 0x0
	ds_store_b64 v48, v[2:3] offset:4096
.LBB72_29:                              ;   in Loop: Header=BB72_11 Depth=3
	s_wait_alu 0xfffe
	s_and_not1_saveexec_b32 s7, s7
	s_cbranch_execz .LBB72_35
; %bb.30:                               ;   in Loop: Header=BB72_11 Depth=3
	s_xor_b32 s8, s57, -1
	s_wait_alu 0xfffe
	s_and_saveexec_b32 s57, s8
	s_wait_alu 0xfffe
	s_xor_b32 s8, exec_lo, s57
; %bb.31:                               ;   in Loop: Header=BB72_11 Depth=3
	v_dual_mov_b32 v2, v5 :: v_dual_mov_b32 v3, v5
	ds_store_b64 v48, v[2:3] offset:4096
; %bb.32:                               ;   in Loop: Header=BB72_11 Depth=3
	s_wait_alu 0xfffe
	s_and_not1_saveexec_b32 s8, s8
; %bb.33:                               ;   in Loop: Header=BB72_11 Depth=3
	ds_store_b64 v48, v[4:5] offset:4096
; %bb.34:                               ;   in Loop: Header=BB72_11 Depth=3
	s_wait_alu 0xfffe
	s_or_b32 exec_lo, exec_lo, s8
.LBB72_35:                              ;   in Loop: Header=BB72_11 Depth=3
	s_wait_alu 0xfffe
	s_or_b32 exec_lo, exec_lo, s7
	s_or_b32 s5, s6, s5
	s_wait_alu 0xfffe
	s_or_b32 s5, s5, s39
	s_wait_alu 0xfffe
	s_nor_b32 s5, s3, s5
	s_wait_alu 0xfffe
	s_and_saveexec_b32 s6, s5
	s_wait_alu 0xfffe
	s_xor_b32 s5, exec_lo, s6
	s_cbranch_execz .LBB72_37
; %bb.36:                               ;   in Loop: Header=BB72_11 Depth=3
	global_load_b64 v[0:1], v[0:1], off offset:128
	s_wait_loadcnt 0x0
	ds_store_b64 v48, v[0:1] offset:4224
.LBB72_37:                              ;   in Loop: Header=BB72_11 Depth=3
	s_wait_alu 0xfffe
	s_and_not1_saveexec_b32 s5, s5
	s_cbranch_execz .LBB72_43
; %bb.38:                               ;   in Loop: Header=BB72_11 Depth=3
	s_and_saveexec_b32 s6, s38
	s_wait_alu 0xfffe
	s_xor_b32 s6, exec_lo, s6
; %bb.39:                               ;   in Loop: Header=BB72_11 Depth=3
	v_dual_mov_b32 v0, v5 :: v_dual_mov_b32 v1, v5
	ds_store_b64 v48, v[0:1] offset:4224
; %bb.40:                               ;   in Loop: Header=BB72_11 Depth=3
	s_wait_alu 0xfffe
	s_and_not1_saveexec_b32 s6, s6
; %bb.41:                               ;   in Loop: Header=BB72_11 Depth=3
	ds_store_b64 v48, v[4:5] offset:4224
; %bb.42:                               ;   in Loop: Header=BB72_11 Depth=3
	s_wait_alu 0xfffe
	s_or_b32 exec_lo, exec_lo, s6
.LBB72_43:                              ;   in Loop: Header=BB72_11 Depth=3
	s_wait_alu 0xfffe
	s_or_b32 exec_lo, exec_lo, s5
	v_add_co_u32 v0, s5, v45, s24
	s_wait_alu 0xf1ff
	v_add_co_ci_u32_e64 v1, null, 0, s25, s5
	s_delay_alu instid0(VALU_DEP_1)
	v_cmp_gt_i64_e64 s5, s[42:43], v[0:1]
	s_and_b32 s6, vcc_lo, s5
	s_wait_alu 0xfffe
	s_xor_b32 s6, s6, -1
	s_wait_alu 0xfffe
	s_and_saveexec_b32 s7, s6
	s_wait_alu 0xfffe
	s_xor_b32 s6, exec_lo, s7
; %bb.44:                               ;   in Loop: Header=BB72_11 Depth=3
	v_dual_mov_b32 v2, v5 :: v_dual_mov_b32 v3, v5
	ds_store_b64 v49, v[2:3]
; %bb.45:                               ;   in Loop: Header=BB72_11 Depth=3
	s_wait_alu 0xfffe
	s_and_not1_saveexec_b32 s6, s6
	s_cbranch_execz .LBB72_47
; %bb.46:                               ;   in Loop: Header=BB72_11 Depth=3
	global_load_b64 v[2:3], v[36:37], off offset:-128
	s_wait_loadcnt 0x0
	ds_store_b64 v49, v[2:3]
.LBB72_47:                              ;   in Loop: Header=BB72_11 Depth=3
	s_wait_alu 0xfffe
	s_or_b32 exec_lo, exec_lo, s6
	v_cmp_gt_i64_e64 s6, s[48:49], v[0:1]
	s_and_b32 s7, vcc_lo, s6
	s_wait_alu 0xfffe
	s_xor_b32 s7, s7, -1
	s_wait_alu 0xfffe
	s_and_saveexec_b32 s8, s7
	s_wait_alu 0xfffe
	s_xor_b32 s7, exec_lo, s8
; %bb.48:                               ;   in Loop: Header=BB72_11 Depth=3
	v_dual_mov_b32 v0, v5 :: v_dual_mov_b32 v1, v5
	ds_store_b64 v49, v[0:1] offset:128
; %bb.49:                               ;   in Loop: Header=BB72_11 Depth=3
	s_wait_alu 0xfffe
	s_and_not1_saveexec_b32 s7, s7
	s_cbranch_execz .LBB72_51
; %bb.50:                               ;   in Loop: Header=BB72_11 Depth=3
	global_load_b64 v[0:1], v[36:37], off
	s_wait_loadcnt 0x0
	ds_store_b64 v49, v[0:1] offset:128
.LBB72_51:                              ;   in Loop: Header=BB72_11 Depth=3
	s_wait_alu 0xfffe
	s_or_b32 exec_lo, exec_lo, s7
	s_and_b32 s5, s4, s5
	s_wait_alu 0xfffe
	s_xor_b32 s5, s5, -1
	s_wait_alu 0xfffe
	s_and_saveexec_b32 s7, s5
	s_wait_alu 0xfffe
	s_xor_b32 s5, exec_lo, s7
; %bb.52:                               ;   in Loop: Header=BB72_11 Depth=3
	v_dual_mov_b32 v0, v5 :: v_dual_mov_b32 v1, v5
	ds_store_b64 v49, v[0:1] offset:4096
; %bb.53:                               ;   in Loop: Header=BB72_11 Depth=3
	s_wait_alu 0xfffe
	s_and_not1_saveexec_b32 s5, s5
	s_cbranch_execz .LBB72_55
; %bb.54:                               ;   in Loop: Header=BB72_11 Depth=3
	global_load_b64 v[0:1], v[38:39], off offset:-128
	s_wait_loadcnt 0x0
	ds_store_b64 v49, v[0:1] offset:4096
.LBB72_55:                              ;   in Loop: Header=BB72_11 Depth=3
	s_wait_alu 0xfffe
	s_or_b32 exec_lo, exec_lo, s5
	s_and_b32 s5, s4, s6
	s_wait_alu 0xfffe
	s_xor_b32 s5, s5, -1
	s_wait_alu 0xfffe
	s_and_saveexec_b32 s6, s5
	s_wait_alu 0xfffe
	s_xor_b32 s5, exec_lo, s6
; %bb.56:                               ;   in Loop: Header=BB72_11 Depth=3
	v_dual_mov_b32 v0, v5 :: v_dual_mov_b32 v1, v5
	ds_store_b64 v49, v[0:1] offset:4224
; %bb.57:                               ;   in Loop: Header=BB72_11 Depth=3
	s_wait_alu 0xfffe
	s_and_not1_saveexec_b32 s5, s5
	s_cbranch_execz .LBB72_10
; %bb.58:                               ;   in Loop: Header=BB72_11 Depth=3
	global_load_b64 v[0:1], v[38:39], off
	s_wait_loadcnt 0x0
	ds_store_b64 v49, v[0:1] offset:4224
	s_branch .LBB72_10
.LBB72_59:                              ;   in Loop: Header=BB72_8 Depth=2
	v_mul_lo_u32 v2, s29, v54
	v_mul_lo_u32 v3, s28, v55
	v_mad_co_u64_u32 v[0:1], null, s28, v54, 0
	v_cmp_gt_i32_e32 vcc_lo, s10, v54
	s_delay_alu instid0(VALU_DEP_2) | instskip(NEXT) | instid1(VALU_DEP_1)
	v_add3_u32 v1, v1, v3, v2
	v_lshlrev_b64_e32 v[0:1], 3, v[0:1]
	s_delay_alu instid0(VALU_DEP_1) | instskip(SKIP_1) | instid1(VALU_DEP_2)
	v_add_co_u32 v0, s4, s22, v0
	s_wait_alu 0xf1ff
	v_add_co_ci_u32_e64 v1, null, s23, v1, s4
	s_and_b32 s4, s1, vcc_lo
	s_wait_alu 0xfffe
	s_and_saveexec_b32 s5, s4
	s_cbranch_execz .LBB72_61
; %bb.60:                               ;   in Loop: Header=BB72_8 Depth=2
	v_add_co_u32 v2, s4, v0, v20
	s_wait_alu 0xf1ff
	v_add_co_ci_u32_e64 v3, null, v1, v21, s4
	v_mul_f32_e32 v39, v62, v26
	global_load_b64 v[36:37], v[2:3], off
	v_fmac_f32_e32 v39, v61, v27
	s_wait_loadcnt 0x0
	s_delay_alu instid0(VALU_DEP_1) | instskip(NEXT) | instid1(VALU_DEP_1)
	v_dual_mul_f32 v38, v62, v27 :: v_dual_add_f32 v37, v39, v37
	v_fma_f32 v38, v61, v26, -v38
	s_delay_alu instid0(VALU_DEP_1)
	v_add_f32_e32 v36, v36, v38
	global_store_b64 v[2:3], v[36:37], off
.LBB72_61:                              ;   in Loop: Header=BB72_8 Depth=2
	s_wait_alu 0xfffe
	s_or_b32 exec_lo, exec_lo, s5
	s_and_b32 s5, s2, vcc_lo
	s_wait_alu 0xfffe
	s_and_saveexec_b32 s4, s5
	s_cbranch_execz .LBB72_63
; %bb.62:                               ;   in Loop: Header=BB72_8 Depth=2
	v_add_co_u32 v0, vcc_lo, v0, v24
	s_wait_alu 0xfffd
	v_add_co_ci_u32_e64 v1, null, v1, v25, vcc_lo
	v_mul_f32_e32 v36, v60, v27
	global_load_b64 v[2:3], v[0:1], off
	v_fma_f32 v36, v59, v26, -v36
	s_wait_loadcnt 0x0
	s_delay_alu instid0(VALU_DEP_1) | instskip(NEXT) | instid1(VALU_DEP_1)
	v_dual_mul_f32 v37, v60, v26 :: v_dual_add_f32 v2, v2, v36
	v_fmac_f32_e32 v37, v59, v27
	s_delay_alu instid0(VALU_DEP_1)
	v_add_f32_e32 v3, v37, v3
	global_store_b64 v[0:1], v[2:3], off
.LBB72_63:                              ;   in Loop: Header=BB72_8 Depth=2
	s_wait_alu 0xfffe
	s_or_b32 exec_lo, exec_lo, s4
	v_add_nc_u32_e32 v2, 16, v54
	s_delay_alu instid0(VALU_DEP_1) | instskip(SKIP_3) | instid1(VALU_DEP_4)
	v_ashrrev_i32_e32 v3, 31, v2
	v_mul_lo_u32 v36, s29, v2
	v_mad_co_u64_u32 v[0:1], null, s28, v2, 0
	v_cmp_gt_i32_e32 vcc_lo, s10, v2
	v_mul_lo_u32 v3, s28, v3
	s_delay_alu instid0(VALU_DEP_1) | instskip(NEXT) | instid1(VALU_DEP_1)
	v_add3_u32 v1, v1, v3, v36
	v_lshlrev_b64_e32 v[0:1], 3, v[0:1]
	s_delay_alu instid0(VALU_DEP_1) | instskip(SKIP_1) | instid1(VALU_DEP_2)
	v_add_co_u32 v0, s4, s22, v0
	s_wait_alu 0xf1ff
	v_add_co_ci_u32_e64 v1, null, s23, v1, s4
	s_and_b32 s4, s1, vcc_lo
	s_wait_alu 0xfffe
	s_and_saveexec_b32 s5, s4
	s_cbranch_execz .LBB72_65
; %bb.64:                               ;   in Loop: Header=BB72_8 Depth=2
	v_add_co_u32 v2, s4, v0, v20
	s_wait_alu 0xf1ff
	v_add_co_ci_u32_e64 v3, null, v1, v21, s4
	v_mul_f32_e32 v39, v58, v26
	global_load_b64 v[36:37], v[2:3], off
	v_fmac_f32_e32 v39, v57, v27
	s_wait_loadcnt 0x0
	s_delay_alu instid0(VALU_DEP_1) | instskip(NEXT) | instid1(VALU_DEP_1)
	v_dual_mul_f32 v38, v58, v27 :: v_dual_add_f32 v37, v39, v37
	v_fma_f32 v38, v57, v26, -v38
	s_delay_alu instid0(VALU_DEP_1)
	v_add_f32_e32 v36, v36, v38
	global_store_b64 v[2:3], v[36:37], off
.LBB72_65:                              ;   in Loop: Header=BB72_8 Depth=2
	s_wait_alu 0xfffe
	s_or_b32 exec_lo, exec_lo, s5
	s_and_b32 s5, s2, vcc_lo
	s_wait_alu 0xfffe
	s_and_saveexec_b32 s4, s5
	s_cbranch_execz .LBB72_7
; %bb.66:                               ;   in Loop: Header=BB72_8 Depth=2
	v_add_co_u32 v0, vcc_lo, v0, v24
	s_wait_alu 0xfffd
	v_add_co_ci_u32_e64 v1, null, v1, v25, vcc_lo
	v_mul_f32_e32 v36, v35, v27
	global_load_b64 v[2:3], v[0:1], off
	v_fma_f32 v36, v56, v26, -v36
	s_wait_loadcnt 0x0
	s_delay_alu instid0(VALU_DEP_1) | instskip(NEXT) | instid1(VALU_DEP_1)
	v_dual_mul_f32 v35, v35, v26 :: v_dual_add_f32 v2, v2, v36
	v_fmac_f32_e32 v35, v56, v27
	s_delay_alu instid0(VALU_DEP_1)
	v_add_f32_e32 v3, v35, v3
	global_store_b64 v[0:1], v[2:3], off
	s_branch .LBB72_7
.LBB72_67:
	s_nop 0
	s_sendmsg sendmsg(MSG_DEALLOC_VGPRS)
	s_endpgm
	.section	.rodata,"a",@progbits
	.p2align	6, 0x0
	.amdhsa_kernel _ZL30rocblas_trmm_outofplace_kernelI19rocblas_complex_numIfELi32ELi2ELb1ELb0ELb0ELb0EPKS1_S2_S1_Ev17rocblas_diagonal_iiT6_lPT7_lllS7_lllPT8_llli
		.amdhsa_group_segment_fixed_size 16384
		.amdhsa_private_segment_fixed_size 0
		.amdhsa_kernarg_size 392
		.amdhsa_user_sgpr_count 2
		.amdhsa_user_sgpr_dispatch_ptr 0
		.amdhsa_user_sgpr_queue_ptr 0
		.amdhsa_user_sgpr_kernarg_segment_ptr 1
		.amdhsa_user_sgpr_dispatch_id 0
		.amdhsa_user_sgpr_private_segment_size 0
		.amdhsa_wavefront_size32 1
		.amdhsa_uses_dynamic_stack 0
		.amdhsa_enable_private_segment 0
		.amdhsa_system_sgpr_workgroup_id_x 1
		.amdhsa_system_sgpr_workgroup_id_y 1
		.amdhsa_system_sgpr_workgroup_id_z 1
		.amdhsa_system_sgpr_workgroup_info 0
		.amdhsa_system_vgpr_workitem_id 1
		.amdhsa_next_free_vgpr 97
		.amdhsa_next_free_sgpr 58
		.amdhsa_reserve_vcc 1
		.amdhsa_float_round_mode_32 0
		.amdhsa_float_round_mode_16_64 0
		.amdhsa_float_denorm_mode_32 3
		.amdhsa_float_denorm_mode_16_64 3
		.amdhsa_fp16_overflow 0
		.amdhsa_workgroup_processor_mode 1
		.amdhsa_memory_ordered 1
		.amdhsa_forward_progress 1
		.amdhsa_inst_pref_size 60
		.amdhsa_round_robin_scheduling 0
		.amdhsa_exception_fp_ieee_invalid_op 0
		.amdhsa_exception_fp_denorm_src 0
		.amdhsa_exception_fp_ieee_div_zero 0
		.amdhsa_exception_fp_ieee_overflow 0
		.amdhsa_exception_fp_ieee_underflow 0
		.amdhsa_exception_fp_ieee_inexact 0
		.amdhsa_exception_int_div_zero 0
	.end_amdhsa_kernel
	.section	.text._ZL30rocblas_trmm_outofplace_kernelI19rocblas_complex_numIfELi32ELi2ELb1ELb0ELb0ELb0EPKS1_S2_S1_Ev17rocblas_diagonal_iiT6_lPT7_lllS7_lllPT8_llli,"axG",@progbits,_ZL30rocblas_trmm_outofplace_kernelI19rocblas_complex_numIfELi32ELi2ELb1ELb0ELb0ELb0EPKS1_S2_S1_Ev17rocblas_diagonal_iiT6_lPT7_lllS7_lllPT8_llli,comdat
.Lfunc_end72:
	.size	_ZL30rocblas_trmm_outofplace_kernelI19rocblas_complex_numIfELi32ELi2ELb1ELb0ELb0ELb0EPKS1_S2_S1_Ev17rocblas_diagonal_iiT6_lPT7_lllS7_lllPT8_llli, .Lfunc_end72-_ZL30rocblas_trmm_outofplace_kernelI19rocblas_complex_numIfELi32ELi2ELb1ELb0ELb0ELb0EPKS1_S2_S1_Ev17rocblas_diagonal_iiT6_lPT7_lllS7_lllPT8_llli
                                        ; -- End function
	.set _ZL30rocblas_trmm_outofplace_kernelI19rocblas_complex_numIfELi32ELi2ELb1ELb0ELb0ELb0EPKS1_S2_S1_Ev17rocblas_diagonal_iiT6_lPT7_lllS7_lllPT8_llli.num_vgpr, 97
	.set _ZL30rocblas_trmm_outofplace_kernelI19rocblas_complex_numIfELi32ELi2ELb1ELb0ELb0ELb0EPKS1_S2_S1_Ev17rocblas_diagonal_iiT6_lPT7_lllS7_lllPT8_llli.num_agpr, 0
	.set _ZL30rocblas_trmm_outofplace_kernelI19rocblas_complex_numIfELi32ELi2ELb1ELb0ELb0ELb0EPKS1_S2_S1_Ev17rocblas_diagonal_iiT6_lPT7_lllS7_lllPT8_llli.numbered_sgpr, 58
	.set _ZL30rocblas_trmm_outofplace_kernelI19rocblas_complex_numIfELi32ELi2ELb1ELb0ELb0ELb0EPKS1_S2_S1_Ev17rocblas_diagonal_iiT6_lPT7_lllS7_lllPT8_llli.num_named_barrier, 0
	.set _ZL30rocblas_trmm_outofplace_kernelI19rocblas_complex_numIfELi32ELi2ELb1ELb0ELb0ELb0EPKS1_S2_S1_Ev17rocblas_diagonal_iiT6_lPT7_lllS7_lllPT8_llli.private_seg_size, 0
	.set _ZL30rocblas_trmm_outofplace_kernelI19rocblas_complex_numIfELi32ELi2ELb1ELb0ELb0ELb0EPKS1_S2_S1_Ev17rocblas_diagonal_iiT6_lPT7_lllS7_lllPT8_llli.uses_vcc, 1
	.set _ZL30rocblas_trmm_outofplace_kernelI19rocblas_complex_numIfELi32ELi2ELb1ELb0ELb0ELb0EPKS1_S2_S1_Ev17rocblas_diagonal_iiT6_lPT7_lllS7_lllPT8_llli.uses_flat_scratch, 0
	.set _ZL30rocblas_trmm_outofplace_kernelI19rocblas_complex_numIfELi32ELi2ELb1ELb0ELb0ELb0EPKS1_S2_S1_Ev17rocblas_diagonal_iiT6_lPT7_lllS7_lllPT8_llli.has_dyn_sized_stack, 0
	.set _ZL30rocblas_trmm_outofplace_kernelI19rocblas_complex_numIfELi32ELi2ELb1ELb0ELb0ELb0EPKS1_S2_S1_Ev17rocblas_diagonal_iiT6_lPT7_lllS7_lllPT8_llli.has_recursion, 0
	.set _ZL30rocblas_trmm_outofplace_kernelI19rocblas_complex_numIfELi32ELi2ELb1ELb0ELb0ELb0EPKS1_S2_S1_Ev17rocblas_diagonal_iiT6_lPT7_lllS7_lllPT8_llli.has_indirect_call, 0
	.section	.AMDGPU.csdata,"",@progbits
; Kernel info:
; codeLenInByte = 7664
; TotalNumSgprs: 60
; NumVgprs: 97
; ScratchSize: 0
; MemoryBound: 1
; FloatMode: 240
; IeeeMode: 1
; LDSByteSize: 16384 bytes/workgroup (compile time only)
; SGPRBlocks: 0
; VGPRBlocks: 12
; NumSGPRsForWavesPerEU: 60
; NumVGPRsForWavesPerEU: 97
; Occupancy: 12
; WaveLimiterHint : 0
; COMPUTE_PGM_RSRC2:SCRATCH_EN: 0
; COMPUTE_PGM_RSRC2:USER_SGPR: 2
; COMPUTE_PGM_RSRC2:TRAP_HANDLER: 0
; COMPUTE_PGM_RSRC2:TGID_X_EN: 1
; COMPUTE_PGM_RSRC2:TGID_Y_EN: 1
; COMPUTE_PGM_RSRC2:TGID_Z_EN: 1
; COMPUTE_PGM_RSRC2:TIDIG_COMP_CNT: 1
	.section	.text._ZL30rocblas_trmm_outofplace_kernelI19rocblas_complex_numIfELi32ELi2ELb1ELb0ELb0ELb0ES1_KS1_S1_Ev17rocblas_diagonal_iiT6_lPT7_lllS6_lllPT8_llli,"axG",@progbits,_ZL30rocblas_trmm_outofplace_kernelI19rocblas_complex_numIfELi32ELi2ELb1ELb0ELb0ELb0ES1_KS1_S1_Ev17rocblas_diagonal_iiT6_lPT7_lllS6_lllPT8_llli,comdat
	.globl	_ZL30rocblas_trmm_outofplace_kernelI19rocblas_complex_numIfELi32ELi2ELb1ELb0ELb0ELb0ES1_KS1_S1_Ev17rocblas_diagonal_iiT6_lPT7_lllS6_lllPT8_llli ; -- Begin function _ZL30rocblas_trmm_outofplace_kernelI19rocblas_complex_numIfELi32ELi2ELb1ELb0ELb0ELb0ES1_KS1_S1_Ev17rocblas_diagonal_iiT6_lPT7_lllS6_lllPT8_llli
	.p2align	8
	.type	_ZL30rocblas_trmm_outofplace_kernelI19rocblas_complex_numIfELi32ELi2ELb1ELb0ELb0ELb0ES1_KS1_S1_Ev17rocblas_diagonal_iiT6_lPT7_lllS6_lllPT8_llli,@function
_ZL30rocblas_trmm_outofplace_kernelI19rocblas_complex_numIfELi32ELi2ELb1ELb0ELb0ELb0ES1_KS1_S1_Ev17rocblas_diagonal_iiT6_lPT7_lllS6_lllPT8_llli: ; @_ZL30rocblas_trmm_outofplace_kernelI19rocblas_complex_numIfELi32ELi2ELb1ELb0ELb0ELb0ES1_KS1_S1_Ev17rocblas_diagonal_iiT6_lPT7_lllS6_lllPT8_llli
; %bb.0:
	s_load_b32 s31, s[0:1], 0x80
	s_lshr_b32 s34, ttmp7, 16
	s_wait_kmcnt 0x0
	s_cmp_ge_u32 s34, s31
	s_cbranch_scc1 .LBB73_66
; %bb.1:
	s_load_b64 s[36:37], s[0:1], 0xc
	s_mov_b32 s35, 0
	s_wait_kmcnt 0x0
	s_or_b32 s2, s36, s37
	s_delay_alu instid0(SALU_CYCLE_1) | instskip(NEXT) | instid1(SALU_CYCLE_1)
	s_bitset0_b32 s2, 31
	s_cmp_eq_u32 s2, 0
	s_cbranch_scc1 .LBB73_66
; %bb.2:
	s_clause 0x1
	s_load_b96 s[28:30], s[0:1], 0x0
	s_load_b512 s[4:19], s[0:1], 0x20
	s_add_nc_u64 s[38:39], s[0:1], 0x88
	s_load_b256 s[20:27], s[0:1], 0x60
	s_and_b32 s33, ttmp7, 0xffff
	v_bfe_u32 v42, v0, 10, 10
	v_mov_b32_e32 v5, 0
	s_delay_alu instid0(VALU_DEP_2)
	v_lshl_add_u32 v20, v42, 3, 0x80
	v_lshl_add_u32 v48, s33, 5, v42
	s_wait_kmcnt 0x0
	s_add_co_i32 s2, s30, -1
	s_mov_b32 s40, s29
	s_ashr_i32 s3, s2, 31
	s_mov_b32 s45, s30
	s_lshr_b32 s0, s3, 27
	s_delay_alu instid0(SALU_CYCLE_1) | instskip(NEXT) | instid1(SALU_CYCLE_1)
	s_add_co_i32 s2, s2, s0
	s_ashr_i32 s44, s2, 5
	s_delay_alu instid0(SALU_CYCLE_1)
	s_cmp_le_i32 s33, s44
	s_cselect_b32 s46, -1, 0
	s_lshl_b32 s47, ttmp9, 5
	s_cmp_gt_i32 ttmp9, -1
	s_cselect_b32 s48, -1, 0
	s_cmp_eq_u32 s28, 0x84
	s_cselect_b32 s49, -1, 0
	s_lshl_b64 s[6:7], s[6:7], 3
	s_ashr_i32 s41, s29, 31
	s_add_nc_u64 s[4:5], s[4:5], s[6:7]
	s_lshl_b64 s[6:7], s[14:15], 3
	v_mad_co_u64_u32 v[14:15], null, s8, v20, s[4:5]
	v_and_b32_e32 v43, 0x3ff, v0
	v_lshlrev_b32_e32 v0, 8, v42
	s_add_nc_u64 s[6:7], s[12:13], s[6:7]
	s_lshl_b64 s[0:1], s[22:23], 3
	s_ashr_i32 s50, s30, 31
	s_add_nc_u64 s[20:21], s[20:21], s[0:1]
	s_delay_alu instid0(VALU_DEP_3)
	v_mov_b32_e32 v4, v15
	v_lshlrev_b32_e32 v44, 3, v43
	v_add_nc_u32_e32 v6, s47, v43
	v_add_nc_u32_e32 v45, 0x2000, v0
	s_lshl_b64 s[42:43], s[8:9], 8
	v_mad_co_u64_u32 v[22:23], null, s9, v20, v[4:5]
	v_add_nc_u32_e32 v46, v44, v0
	v_mad_co_u64_u32 v[0:1], null, s8, v42, 0
	v_add_nc_u32_e32 v2, 16, v6
	v_ashrrev_i32_e32 v7, 31, v6
	v_add_co_u32 v8, vcc_lo, v6, 16
	v_cmp_le_i32_e64 s0, s29, v6
	s_delay_alu instid0(VALU_DEP_4)
	v_ashrrev_i32_e32 v3, 31, v2
	v_mad_co_u64_u32 v[18:19], null, s9, v42, v[1:2]
	v_add_co_ci_u32_e64 v9, null, 0, v7, vcc_lo
	v_sub_co_u32 v10, vcc_lo, v6, v42
	s_wait_alu 0xfffd
	v_subrev_co_ci_u32_e64 v11, null, 0, v7, vcc_lo
	s_delay_alu instid0(VALU_DEP_4) | instskip(SKIP_2) | instid1(VALU_DEP_3)
	v_mov_b32_e32 v1, v18
	v_add_co_u32 v15, s6, s6, v44
	v_add_co_u32 v12, vcc_lo, v10, 16
	v_lshlrev_b64_e32 v[0:1], 3, v[0:1]
	s_wait_alu 0xf1ff
	v_add_co_ci_u32_e64 v19, null, s7, 0, s6
	s_wait_alu 0xfffd
	v_add_co_ci_u32_e64 v13, null, 0, v11, vcc_lo
	v_add_co_u32 v16, vcc_lo, v10, -16
	s_wait_alu 0xfffd
	v_add_co_ci_u32_e64 v17, null, -1, v11, vcc_lo
	v_add_co_u32 v18, vcc_lo, 0x80, v15
	s_wait_alu 0xfffd
	v_add_co_ci_u32_e64 v19, null, 0, v19, vcc_lo
	v_mov_b32_e32 v15, v22
	v_add_co_u32 v22, vcc_lo, s4, v0
	v_cmp_le_i64_e64 s3, s[40:41], v[8:9]
	v_lshlrev_b64_e32 v[20:21], 3, v[6:7]
	v_lshlrev_b64_e32 v[24:25], 3, v[2:3]
	v_cmp_gt_i32_e64 s1, s29, v6
	v_cmp_gt_i32_e64 s2, s29, v2
	s_wait_alu 0xfffd
	v_add_co_ci_u32_e64 v23, null, s5, v1, vcc_lo
	v_dual_mov_b32 v4, 1.0 :: v_dual_add_nc_u32 v47, v45, v44
	v_add_nc_u32_e32 v49, 0x800, v44
	v_add_nc_u32_e32 v50, 0x1000, v44
	;; [unrolled: 1-line block ×3, first 2 shown]
	s_add_nc_u64 s[22:23], s[40:41], -16
	s_lshl_b64 s[12:13], s[18:19], 3
	s_lshl_b64 s[14:15], s[16:17], 3
	;; [unrolled: 1-line block ×3, first 2 shown]
	s_branch .LBB73_4
.LBB73_3:                               ;   in Loop: Header=BB73_4 Depth=1
	s_add_co_i32 s34, s34, 0x10000
	s_wait_alu 0xfffe
	s_cmp_ge_u32 s34, s31
	s_cbranch_scc1 .LBB73_66
.LBB73_4:                               ; =>This Loop Header: Depth=1
                                        ;     Child Loop BB73_7 Depth 2
                                        ;       Child Loop BB73_10 Depth 3
	s_and_not1_b32 vcc_lo, exec_lo, s46
	s_wait_alu 0xfffe
	s_cbranch_vccnz .LBB73_3
; %bb.5:                                ;   in Loop: Header=BB73_4 Depth=1
	v_mad_co_u64_u32 v[26:27], null, s12, s34, v[18:19]
	s_load_b32 s9, s[38:39], 0x4
	v_mad_co_u64_u32 v[28:29], null, s10, s34, v[14:15]
	s_mul_i32 s6, s11, s34
	v_mad_co_u64_u32 v[30:31], null, s10, s34, v[22:23]
	v_mov_b32_e32 v0, v27
	s_mul_u64 s[4:5], s[26:27], s[34:35]
	s_wait_alu 0xfffe
	v_dual_mov_b32 v32, v48 :: v_dual_add_nc_u32 v29, s6, v29
	s_lshl_b64 s[4:5], s[4:5], 3
	v_mad_co_u64_u32 v[0:1], null, s13, s34, v[0:1]
	s_delay_alu instid0(VALU_DEP_4) | instskip(SKIP_3) | instid1(VALU_DEP_2)
	v_add_nc_u32_e32 v31, s6, v31
	s_wait_alu 0xfffe
	s_add_nc_u64 s[18:19], s[20:21], s[4:5]
	s_mov_b32 s52, s33
	v_mov_b32_e32 v27, v0
	s_wait_kmcnt 0x0
	s_lshl_b32 s51, s9, 5
	s_branch .LBB73_7
.LBB73_6:                               ;   in Loop: Header=BB73_7 Depth=2
	s_wait_alu 0xfffe
	s_or_b32 exec_lo, exec_lo, s4
	v_add_nc_u32_e32 v32, s51, v32
	s_add_co_i32 s52, s9, s52
	s_wait_alu 0xfffe
	s_cmp_gt_i32 s52, s44
	s_cbranch_scc1 .LBB73_3
.LBB73_7:                               ;   Parent Loop BB73_4 Depth=1
                                        ; =>  This Loop Header: Depth=2
                                        ;       Child Loop BB73_10 Depth 3
	s_wait_alu 0xfffe
	v_lshl_add_u32 v52, s52, 5, v42
	v_dual_mov_b32 v59, 0 :: v_dual_mov_b32 v60, 0
	v_dual_mov_b32 v57, 0 :: v_dual_mov_b32 v58, 0
	s_delay_alu instid0(VALU_DEP_3)
	v_ashrrev_i32_e32 v53, 31, v52
	v_dual_mov_b32 v55, 0 :: v_dual_mov_b32 v56, 0
	v_dual_mov_b32 v54, 0 :: v_dual_mov_b32 v33, 0
	s_and_not1_b32 vcc_lo, exec_lo, s48
	s_wait_alu 0xfffe
	s_cbranch_vccnz .LBB73_58
; %bb.8:                                ;   in Loop: Header=BB73_7 Depth=2
	v_ashrrev_i32_e32 v33, 31, v32
	v_mad_co_u64_u32 v[34:35], null, s14, v32, v[26:27]
	v_mul_lo_u32 v2, s15, v32
	v_mov_b32_e32 v39, v31
	s_delay_alu instid0(VALU_DEP_4)
	v_lshlrev_b64_e32 v[0:1], 3, v[32:33]
	v_mul_lo_u32 v54, s14, v33
	v_mov_b32_e32 v41, v29
	v_dual_mov_b32 v33, 0 :: v_dual_mov_b32 v38, v30
	v_mov_b32_e32 v40, v28
	v_add_co_u32 v3, vcc_lo, 0x80, v0
	s_wait_alu 0xfffd
	v_add_co_ci_u32_e64 v36, null, 0, v1, vcc_lo
	v_sub_co_u32 v0, vcc_lo, s45, v52
	s_delay_alu instid0(VALU_DEP_3) | instskip(NEXT) | instid1(VALU_DEP_3)
	v_mul_lo_u32 v56, s17, v3
	v_mul_lo_u32 v55, s16, v36
	v_mad_co_u64_u32 v[36:37], null, s16, v3, v[26:27]
	s_wait_alu 0xfffd
	v_sub_co_ci_u32_e64 v1, null, s50, v53, vcc_lo
	v_add3_u32 v35, v2, v35, v54
	v_mov_b32_e32 v54, 0
	v_dual_mov_b32 v58, 0 :: v_dual_mov_b32 v57, 0
	s_delay_alu instid0(VALU_DEP_4)
	v_cmp_lt_i64_e64 s4, 16, v[0:1]
	v_add3_u32 v37, v56, v37, v55
	v_dual_mov_b32 v56, 0 :: v_dual_mov_b32 v55, 0
	v_dual_mov_b32 v60, 0 :: v_dual_mov_b32 v59, 0
	s_mov_b64 s[28:29], 0
	v_cmp_lt_i64_e32 vcc_lo, 0, v[0:1]
	s_branch .LBB73_10
.LBB73_9:                               ;   in Loop: Header=BB73_10 Depth=3
	s_wait_alu 0xfffe
	s_or_b32 exec_lo, exec_lo, s5
	s_wait_dscnt 0x0
	s_barrier_signal -1
	s_barrier_wait -1
	global_inv scope:SCOPE_SE
	ds_load_b128 v[61:64], v45
	ds_load_2addr_b64 v[65:68], v44 offset1:16
	ds_load_b128 v[69:72], v45 offset:4096
	ds_load_b128 v[73:76], v45 offset:16
	;; [unrolled: 1-line block ×4, first 2 shown]
	ds_load_2addr_b64 v[81:84], v44 offset0:32 offset1:48
	ds_load_b128 v[85:88], v45 offset:4112
	v_add_co_u32 v34, s5, 0x100, v34
	s_wait_alu 0xf1ff
	v_add_co_ci_u32_e64 v35, null, 0, v35, s5
	v_add_co_u32 v40, s5, v40, s42
	s_wait_alu 0xf1ff
	v_add_co_ci_u32_e64 v41, null, s43, v41, s5
	v_add_co_u32 v36, s5, 0x100, v36
	s_wait_alu 0xf1ff
	v_add_co_ci_u32_e64 v37, null, 0, v37, s5
	v_add_co_u32 v38, s5, v38, s42
	s_wait_dscnt 0x6
	v_dual_mul_f32 v89, v62, v66 :: v_dual_mul_f32 v92, v61, v68
	v_dual_mul_f32 v90, v61, v66 :: v_dual_mul_f32 v91, v62, v68
	s_wait_dscnt 0x5
	v_mul_f32_e32 v93, v70, v66
	s_delay_alu instid0(VALU_DEP_3)
	v_fma_f32 v89, v61, v65, -v89
	v_mul_f32_e32 v66, v69, v66
	v_fmac_f32_e32 v90, v62, v65
	v_fma_f32 v61, v61, v67, -v91
	v_mul_f32_e32 v94, v70, v68
	v_mul_f32_e32 v68, v69, v68
	v_fmac_f32_e32 v92, v62, v67
	v_fma_f32 v62, v69, v65, -v93
	v_add_f32_e32 v59, v59, v89
	s_delay_alu instid0(VALU_DEP_4)
	v_dual_add_f32 v61, v57, v61 :: v_dual_fmac_f32 v68, v70, v67
	v_fmac_f32_e32 v66, v70, v65
	v_fma_f32 v65, v69, v67, -v94
	s_wait_dscnt 0x1
	v_mul_f32_e32 v69, v64, v82
	v_mul_f32_e32 v67, v63, v82
	v_add_f32_e32 v60, v60, v90
	v_add_f32_e32 v58, v58, v92
	;; [unrolled: 1-line block ×3, first 2 shown]
	v_fma_f32 v69, v63, v81, -v69
	v_dual_add_f32 v33, v33, v68 :: v_dual_add_f32 v66, v56, v66
	v_dual_fmac_f32 v67, v64, v81 :: v_dual_add_f32 v62, v55, v62
	ds_load_2addr_b64 v[54:57], v44 offset0:64 offset1:80
	v_mul_f32_e32 v70, v64, v84
	v_mul_f32_e32 v68, v63, v84
	v_add_f32_e32 v69, v59, v69
	v_dual_add_f32 v67, v60, v67 :: v_dual_mul_f32 v60, v71, v82
	s_delay_alu instid0(VALU_DEP_4)
	v_fma_f32 v59, v63, v83, -v70
	v_mul_f32_e32 v63, v72, v82
	v_fmac_f32_e32 v68, v64, v83
	s_add_nc_u64 s[28:29], s[28:29], 32
	v_add_co_ci_u32_e64 v39, null, s43, v39, s5
	v_add_f32_e32 v64, v61, v59
	v_fma_f32 v59, v71, v81, -v63
	v_mul_f32_e32 v61, v72, v84
	v_add_f32_e32 v63, v58, v68
	v_mul_f32_e32 v68, v71, v84
	s_wait_alu 0xfffe
	s_sub_co_i32 s5, s28, 32
	v_fma_f32 v58, v71, v83, -v61
	s_wait_dscnt 0x0
	v_mul_f32_e32 v70, v73, v55
	s_wait_alu 0xfffe
	s_cmp_ge_i32 s5, s47
	v_add_f32_e32 v65, v65, v58
	s_delay_alu instid0(VALU_DEP_2) | instskip(SKIP_2) | instid1(VALU_DEP_3)
	v_fmac_f32_e32 v70, v74, v54
	v_add_f32_e32 v62, v62, v59
	v_mul_f32_e32 v59, v74, v55
	v_dual_add_f32 v67, v67, v70 :: v_dual_mul_f32 v70, v86, v55
	s_delay_alu instid0(VALU_DEP_2) | instskip(SKIP_2) | instid1(VALU_DEP_2)
	v_fma_f32 v71, v73, v54, -v59
	v_mul_f32_e32 v55, v85, v55
	v_fmac_f32_e32 v68, v72, v83
	v_dual_fmac_f32 v60, v72, v81 :: v_dual_fmac_f32 v55, v86, v54
	s_delay_alu instid0(VALU_DEP_2) | instskip(SKIP_2) | instid1(VALU_DEP_1)
	v_add_f32_e32 v33, v33, v68
	v_add_f32_e32 v68, v69, v71
	v_mul_f32_e32 v69, v73, v57
	v_fmac_f32_e32 v69, v74, v56
	v_add_f32_e32 v66, v66, v60
	ds_load_2addr_b64 v[58:61], v44 offset0:96 offset1:112
	v_mul_f32_e32 v72, v74, v57
	v_add_f32_e32 v63, v63, v69
	s_delay_alu instid0(VALU_DEP_2) | instskip(SKIP_1) | instid1(VALU_DEP_1)
	v_fma_f32 v71, v73, v56, -v72
	v_mul_f32_e32 v72, v85, v57
	v_fmac_f32_e32 v72, v86, v56
	s_delay_alu instid0(VALU_DEP_1) | instskip(SKIP_3) | instid1(VALU_DEP_2)
	v_add_f32_e32 v33, v33, v72
	v_fma_f32 v70, v85, v54, -v70
	v_dual_add_f32 v64, v64, v71 :: v_dual_mul_f32 v71, v86, v57
	s_wait_dscnt 0x0
	v_dual_add_f32 v69, v62, v70 :: v_dual_mul_f32 v62, v76, v59
	s_delay_alu instid0(VALU_DEP_2) | instskip(SKIP_1) | instid1(VALU_DEP_3)
	v_fma_f32 v54, v85, v56, -v71
	v_mul_f32_e32 v71, v76, v61
	v_fma_f32 v62, v75, v58, -v62
	s_delay_alu instid0(VALU_DEP_3) | instskip(NEXT) | instid1(VALU_DEP_3)
	v_dual_add_f32 v70, v65, v54 :: v_dual_mul_f32 v65, v75, v59
	v_fma_f32 v71, v75, v60, -v71
	s_delay_alu instid0(VALU_DEP_3) | instskip(SKIP_1) | instid1(VALU_DEP_4)
	v_add_f32_e32 v68, v68, v62
	v_mul_f32_e32 v62, v88, v59
	v_dual_fmac_f32 v65, v76, v58 :: v_dual_add_f32 v66, v66, v55
	ds_load_2addr_b64 v[54:57], v44 offset0:128 offset1:144
	v_mul_f32_e32 v59, v87, v59
	v_mul_f32_e32 v72, v75, v61
	v_fma_f32 v73, v87, v58, -v62
	v_mul_f32_e32 v74, v88, v61
	v_add_f32_e32 v67, v67, v65
	v_fmac_f32_e32 v59, v88, v58
	s_delay_alu instid0(VALU_DEP_4) | instskip(SKIP_3) | instid1(VALU_DEP_3)
	v_dual_fmac_f32 v72, v76, v60 :: v_dual_add_f32 v73, v69, v73
	v_mul_f32_e32 v69, v87, v61
	v_add_f32_e32 v71, v64, v71
	v_fma_f32 v58, v87, v60, -v74
	v_dual_add_f32 v74, v66, v59 :: v_dual_fmac_f32 v69, v88, v60
	s_delay_alu instid0(VALU_DEP_1) | instskip(SKIP_4) | instid1(VALU_DEP_3)
	v_dual_add_f32 v70, v70, v58 :: v_dual_add_f32 v33, v33, v69
	s_wait_dscnt 0x0
	v_mul_f32_e32 v61, v78, v55
	v_mul_f32_e32 v81, v77, v57
	;; [unrolled: 1-line block ×3, first 2 shown]
	v_fma_f32 v75, v77, v54, -v61
	v_add_f32_e32 v72, v63, v72
	ds_load_b128 v[62:65], v45 offset:4128
	ds_load_2addr_b64 v[58:61], v44 offset0:160 offset1:176
	v_mul_f32_e32 v76, v78, v57
	v_fmac_f32_e32 v81, v78, v56
	v_add_f32_e32 v75, v68, v75
	s_delay_alu instid0(VALU_DEP_3) | instskip(NEXT) | instid1(VALU_DEP_1)
	v_fma_f32 v76, v77, v56, -v76
	v_dual_fmac_f32 v66, v78, v54 :: v_dual_add_f32 v71, v71, v76
	s_delay_alu instid0(VALU_DEP_1)
	v_add_f32_e32 v82, v67, v66
	ds_load_b128 v[66:69], v45 offset:4144
	s_wait_dscnt 0x2
	v_mul_f32_e32 v77, v63, v55
	v_dual_mul_f32 v55, v62, v55 :: v_dual_mul_f32 v76, v63, v57
	s_wait_dscnt 0x1
	v_dual_mul_f32 v78, v62, v57 :: v_dual_mul_f32 v57, v80, v59
	s_delay_alu instid0(VALU_DEP_3) | instskip(NEXT) | instid1(VALU_DEP_3)
	v_fma_f32 v77, v62, v54, -v77
	v_fmac_f32_e32 v55, v63, v54
	v_fma_f32 v54, v62, v56, -v76
	v_add_f32_e32 v72, v72, v81
	s_delay_alu instid0(VALU_DEP_3)
	v_dual_add_f32 v62, v73, v77 :: v_dual_add_f32 v73, v74, v55
	v_fma_f32 v74, v79, v58, -v57
	v_dual_mul_f32 v77, v65, v59 :: v_dual_fmac_f32 v78, v63, v56
	v_dual_add_f32 v63, v70, v54 :: v_dual_mul_f32 v70, v79, v59
	ds_load_2addr_b64 v[54:57], v44 offset0:192 offset1:208
	v_add_f32_e32 v74, v75, v74
	v_mul_f32_e32 v75, v79, v61
	v_mul_f32_e32 v59, v64, v59
	v_dual_mul_f32 v76, v80, v61 :: v_dual_add_f32 v33, v33, v78
	v_fmac_f32_e32 v70, v80, v58
	s_delay_alu instid0(VALU_DEP_4) | instskip(NEXT) | instid1(VALU_DEP_4)
	v_fmac_f32_e32 v75, v80, v60
	v_fmac_f32_e32 v59, v65, v58
	s_delay_alu instid0(VALU_DEP_4) | instskip(NEXT) | instid1(VALU_DEP_4)
	v_fma_f32 v76, v79, v60, -v76
	v_add_f32_e32 v70, v82, v70
	s_delay_alu instid0(VALU_DEP_2) | instskip(SKIP_2) | instid1(VALU_DEP_2)
	v_dual_add_f32 v72, v72, v75 :: v_dual_add_f32 v71, v71, v76
	v_fma_f32 v76, v64, v58, -v77
	v_mul_f32_e32 v58, v65, v61
	v_dual_mul_f32 v75, v64, v61 :: v_dual_add_f32 v62, v62, v76
	s_wait_dscnt 0x0
	v_mul_f32_e32 v77, v0, v57
	s_delay_alu instid0(VALU_DEP_2) | instskip(SKIP_4) | instid1(VALU_DEP_4)
	v_fmac_f32_e32 v75, v65, v60
	v_mul_f32_e32 v65, v0, v55
	v_fma_f32 v64, v64, v60, -v58
	v_mul_f32_e32 v76, v1, v55
	v_fmac_f32_e32 v77, v1, v56
	v_fmac_f32_e32 v65, v1, v54
	s_delay_alu instid0(VALU_DEP_4) | instskip(NEXT) | instid1(VALU_DEP_4)
	v_add_f32_e32 v63, v63, v64
	v_fma_f32 v64, v0, v54, -v76
	v_add_f32_e32 v73, v73, v59
	ds_load_2addr_b64 v[58:61], v44 offset0:224 offset1:240
	v_dual_mul_f32 v76, v1, v57 :: v_dual_mul_f32 v1, v67, v55
	v_add_f32_e32 v74, v74, v64
	v_dual_mul_f32 v55, v66, v55 :: v_dual_mul_f32 v64, v67, v57
	s_delay_alu instid0(VALU_DEP_3) | instskip(NEXT) | instid1(VALU_DEP_4)
	v_fma_f32 v0, v0, v56, -v76
	v_fma_f32 v1, v66, v54, -v1
	s_delay_alu instid0(VALU_DEP_2) | instskip(SKIP_2) | instid1(VALU_DEP_2)
	v_dual_add_f32 v0, v71, v0 :: v_dual_add_f32 v71, v72, v77
	v_dual_mul_f32 v72, v66, v57 :: v_dual_add_f32 v33, v33, v75
	v_add_f32_e32 v70, v70, v65
	v_fmac_f32_e32 v72, v67, v56
	s_wait_dscnt 0x0
	v_mul_f32_e32 v57, v3, v59
	v_mul_f32_e32 v76, v3, v61
	v_fmac_f32_e32 v55, v67, v54
	v_fma_f32 v54, v66, v56, -v64
	v_add_f32_e32 v66, v62, v1
	v_fma_f32 v1, v2, v58, -v57
	v_add_f32_e32 v33, v33, v72
	v_dual_add_f32 v75, v73, v55 :: v_dual_mul_f32 v72, v2, v61
	s_delay_alu instid0(VALU_DEP_3)
	v_dual_add_f32 v67, v63, v54 :: v_dual_add_f32 v74, v74, v1
	ds_load_b128 v[54:57], v45 offset:64
	ds_load_2addr_b64 v[62:65], v49 offset1:16
	v_dual_mul_f32 v73, v2, v59 :: v_dual_fmac_f32 v72, v3, v60
	v_fma_f32 v1, v2, v60, -v76
	v_mul_f32_e32 v2, v69, v59
	v_mul_f32_e32 v59, v68, v59
	s_delay_alu instid0(VALU_DEP_4) | instskip(NEXT) | instid1(VALU_DEP_4)
	v_fmac_f32_e32 v73, v3, v58
	v_dual_add_f32 v78, v71, v72 :: v_dual_add_f32 v77, v0, v1
	s_delay_alu instid0(VALU_DEP_2)
	v_dual_fmac_f32 v59, v69, v58 :: v_dual_add_f32 v76, v70, v73
	v_fma_f32 v70, v68, v58, -v2
	v_mul_f32_e32 v73, v69, v61
	ds_load_b128 v[0:3], v45 offset:4160
	v_add_f32_e32 v79, v66, v70
	v_fma_f32 v58, v68, v60, -v73
	v_mul_f32_e32 v66, v68, v61
	s_wait_dscnt 0x1
	v_mul_f32_e32 v68, v54, v63
	v_mul_f32_e32 v81, v54, v65
	ds_load_b128 v[70:73], v45 offset:80
	v_add_f32_e32 v80, v67, v58
	v_fmac_f32_e32 v66, v69, v60
	v_fmac_f32_e32 v68, v55, v62
	v_mul_f32_e32 v61, v55, v63
	s_delay_alu instid0(VALU_DEP_2) | instskip(NEXT) | instid1(VALU_DEP_2)
	v_dual_mul_f32 v69, v55, v65 :: v_dual_add_f32 v76, v76, v68
	v_fma_f32 v67, v54, v62, -v61
	s_wait_dscnt 0x1
	v_mul_f32_e32 v82, v1, v63
	s_delay_alu instid0(VALU_DEP_3) | instskip(NEXT) | instid1(VALU_DEP_3)
	v_fma_f32 v54, v54, v64, -v69
	v_add_f32_e32 v74, v74, v67
	v_add_f32_e32 v75, v75, v59
	ds_load_2addr_b64 v[58:61], v49 offset0:32 offset1:48
	v_fmac_f32_e32 v81, v55, v64
	v_dual_mul_f32 v55, v0, v63 :: v_dual_add_f32 v54, v77, v54
	v_mul_f32_e32 v63, v1, v65
	v_fma_f32 v77, v0, v62, -v82
	s_delay_alu instid0(VALU_DEP_3)
	v_fmac_f32_e32 v55, v1, v62
	s_wait_dscnt 0x0
	v_mul_f32_e32 v62, v57, v59
	v_dual_add_f32 v33, v33, v66 :: v_dual_add_f32 v78, v78, v81
	v_mul_f32_e32 v81, v0, v65
	v_fma_f32 v0, v0, v64, -v63
	ds_load_b128 v[66:69], v45 offset:4176
	v_fmac_f32_e32 v81, v1, v64
	v_fma_f32 v1, v56, v58, -v62
	ds_load_2addr_b64 v[62:65], v49 offset0:64 offset1:80
	v_dual_add_f32 v74, v74, v1 :: v_dual_add_f32 v55, v75, v55
	v_add_f32_e32 v75, v80, v0
	v_mul_f32_e32 v0, v56, v59
	s_delay_alu instid0(VALU_DEP_1) | instskip(SKIP_1) | instid1(VALU_DEP_2)
	v_dual_mul_f32 v1, v56, v61 :: v_dual_fmac_f32 v0, v57, v58
	v_add_f32_e32 v77, v79, v77
	v_dual_mul_f32 v79, v57, v61 :: v_dual_add_f32 v76, v76, v0
	s_delay_alu instid0(VALU_DEP_1) | instskip(SKIP_2) | instid1(VALU_DEP_3)
	v_fma_f32 v56, v56, v60, -v79
	v_mul_f32_e32 v79, v3, v59
	v_mul_f32_e32 v59, v2, v59
	v_add_f32_e32 v54, v54, v56
	s_delay_alu instid0(VALU_DEP_3) | instskip(NEXT) | instid1(VALU_DEP_3)
	v_fma_f32 v0, v2, v58, -v79
	v_fmac_f32_e32 v59, v3, v58
	v_mul_f32_e32 v56, v3, v61
	s_delay_alu instid0(VALU_DEP_3) | instskip(NEXT) | instid1(VALU_DEP_3)
	v_dual_mul_f32 v58, v2, v61 :: v_dual_add_f32 v61, v77, v0
	v_add_f32_e32 v55, v55, v59
	s_wait_dscnt 0x0
	v_mul_f32_e32 v59, v71, v63
	v_fma_f32 v56, v2, v60, -v56
	v_dual_fmac_f32 v58, v3, v60 :: v_dual_mul_f32 v77, v70, v65
	s_delay_alu instid0(VALU_DEP_3) | instskip(SKIP_1) | instid1(VALU_DEP_4)
	v_fma_f32 v59, v70, v62, -v59
	v_dual_fmac_f32 v1, v57, v60 :: v_dual_mul_f32 v60, v70, v63
	v_dual_add_f32 v33, v33, v81 :: v_dual_add_f32 v56, v75, v56
	s_delay_alu instid0(VALU_DEP_3) | instskip(NEXT) | instid1(VALU_DEP_3)
	v_dual_mul_f32 v75, v71, v65 :: v_dual_add_f32 v74, v74, v59
	v_fmac_f32_e32 v60, v71, v62
	s_delay_alu instid0(VALU_DEP_3) | instskip(SKIP_1) | instid1(VALU_DEP_4)
	v_add_f32_e32 v33, v33, v58
	v_mul_f32_e32 v59, v67, v63
	v_fma_f32 v58, v70, v64, -v75
	s_delay_alu instid0(VALU_DEP_4)
	v_add_f32_e32 v70, v76, v60
	v_mul_f32_e32 v60, v66, v63
	v_add_f32_e32 v57, v78, v1
	ds_load_2addr_b64 v[0:3], v49 offset0:96 offset1:112
	v_fmac_f32_e32 v77, v71, v64
	v_dual_add_f32 v63, v54, v58 :: v_dual_mul_f32 v54, v67, v65
	s_delay_alu instid0(VALU_DEP_2) | instskip(SKIP_2) | instid1(VALU_DEP_4)
	v_dual_fmac_f32 v60, v67, v62 :: v_dual_add_f32 v71, v57, v77
	v_fma_f32 v57, v66, v62, -v59
	v_mul_f32_e32 v62, v66, v65
	v_fma_f32 v54, v66, v64, -v54
	s_delay_alu instid0(VALU_DEP_3) | instskip(NEXT) | instid1(VALU_DEP_2)
	v_add_f32_e32 v66, v61, v57
	v_dual_fmac_f32 v62, v67, v64 :: v_dual_add_f32 v67, v56, v54
	s_delay_alu instid0(VALU_DEP_1) | instskip(SKIP_4) | instid1(VALU_DEP_3)
	v_add_f32_e32 v33, v33, v62
	s_wait_dscnt 0x0
	v_mul_f32_e32 v58, v73, v1
	v_mul_f32_e32 v62, v72, v3
	v_dual_mul_f32 v65, v72, v1 :: v_dual_mul_f32 v76, v73, v3
	v_fma_f32 v64, v72, v0, -v58
	s_delay_alu instid0(VALU_DEP_3) | instskip(NEXT) | instid1(VALU_DEP_3)
	v_fmac_f32_e32 v62, v73, v2
	v_fmac_f32_e32 v65, v73, v0
	v_add_f32_e32 v75, v55, v60
	ds_load_b128 v[54:57], v45 offset:96
	ds_load_2addr_b64 v[58:61], v49 offset0:128 offset1:144
	v_add_f32_e32 v74, v74, v64
	v_fma_f32 v64, v72, v2, -v76
	v_mul_f32_e32 v72, v69, v1
	v_add_f32_e32 v76, v70, v65
	s_delay_alu instid0(VALU_DEP_2) | instskip(NEXT) | instid1(VALU_DEP_1)
	v_fma_f32 v70, v68, v0, -v72
	v_dual_mul_f32 v72, v69, v3 :: v_dual_add_f32 v79, v66, v70
	v_mul_f32_e32 v66, v68, v3
	v_dual_mul_f32 v1, v68, v1 :: v_dual_add_f32 v78, v71, v62
	s_delay_alu instid0(VALU_DEP_2) | instskip(NEXT) | instid1(VALU_DEP_2)
	v_fmac_f32_e32 v66, v69, v2
	v_fmac_f32_e32 v1, v69, v0
	v_fma_f32 v0, v68, v2, -v72
	s_wait_dscnt 0x0
	v_mul_f32_e32 v3, v55, v59
	v_mul_f32_e32 v68, v54, v59
	ds_load_b128 v[70:73], v45 offset:112
	v_add_f32_e32 v80, v67, v0
	v_fma_f32 v67, v54, v58, -v3
	v_add_f32_e32 v77, v63, v64
	ds_load_b128 v[62:65], v45 offset:4192
	v_mul_f32_e32 v69, v55, v61
	v_dual_mul_f32 v81, v54, v61 :: v_dual_fmac_f32 v68, v55, v58
	v_dual_add_f32 v74, v74, v67 :: v_dual_add_f32 v33, v33, v66
	s_delay_alu instid0(VALU_DEP_3) | instskip(NEXT) | instid1(VALU_DEP_3)
	v_fma_f32 v54, v54, v60, -v69
	v_fmac_f32_e32 v81, v55, v60
	s_delay_alu instid0(VALU_DEP_4)
	v_add_f32_e32 v76, v76, v68
	ds_load_b128 v[66:69], v45 offset:4208
	v_dual_add_f32 v54, v77, v54 :: v_dual_add_f32 v75, v75, v1
	ds_load_2addr_b64 v[0:3], v49 offset0:160 offset1:176
	s_wait_dscnt 0x2
	v_mul_f32_e32 v82, v63, v59
	s_delay_alu instid0(VALU_DEP_1) | instskip(SKIP_4) | instid1(VALU_DEP_4)
	v_fma_f32 v77, v62, v58, -v82
	v_mul_f32_e32 v55, v62, v59
	v_mul_f32_e32 v59, v63, v61
	v_add_f32_e32 v78, v78, v81
	v_mul_f32_e32 v81, v62, v61
	v_fmac_f32_e32 v55, v63, v58
	s_delay_alu instid0(VALU_DEP_4) | instskip(SKIP_1) | instid1(VALU_DEP_4)
	v_fma_f32 v58, v62, v60, -v59
	v_add_f32_e32 v62, v79, v77
	v_fmac_f32_e32 v81, v63, v60
	s_wait_dscnt 0x0
	v_mul_f32_e32 v79, v57, v3
	v_add_f32_e32 v55, v75, v55
	v_add_f32_e32 v63, v80, v58
	v_mul_f32_e32 v59, v57, v1
	s_delay_alu instid0(VALU_DEP_1)
	v_fma_f32 v77, v56, v0, -v59
	ds_load_2addr_b64 v[58:61], v49 offset0:192 offset1:208
	v_mul_f32_e32 v75, v56, v1
	v_dual_add_f32 v74, v74, v77 :: v_dual_mul_f32 v77, v56, v3
	v_fma_f32 v56, v56, v2, -v79
	v_mul_f32_e32 v79, v65, v1
	v_mul_f32_e32 v1, v64, v1
	v_fmac_f32_e32 v75, v57, v0
	s_delay_alu instid0(VALU_DEP_4) | instskip(NEXT) | instid1(VALU_DEP_4)
	v_add_f32_e32 v54, v54, v56
	v_fma_f32 v56, v64, v0, -v79
	s_delay_alu instid0(VALU_DEP_4) | instskip(SKIP_4) | instid1(VALU_DEP_4)
	v_fmac_f32_e32 v1, v65, v0
	v_mul_f32_e32 v0, v65, v3
	v_add_f32_e32 v75, v76, v75
	v_mul_f32_e32 v76, v64, v3
	v_dual_add_f32 v56, v62, v56 :: v_dual_fmac_f32 v77, v57, v2
	v_fma_f32 v62, v64, v2, -v0
	s_wait_dscnt 0x0
	v_mul_f32_e32 v64, v71, v59
	v_dual_fmac_f32 v76, v65, v2 :: v_dual_add_f32 v55, v55, v1
	ds_load_2addr_b64 v[0:3], v49 offset0:224 offset1:240
	v_add_f32_e32 v62, v63, v62
	v_fma_f32 v63, v70, v58, -v64
	v_dual_mul_f32 v64, v71, v61 :: v_dual_mul_f32 v65, v70, v59
	s_delay_alu instid0(VALU_DEP_1) | instskip(NEXT) | instid1(VALU_DEP_1)
	v_fma_f32 v64, v70, v60, -v64
	v_dual_fmac_f32 v65, v71, v58 :: v_dual_add_f32 v64, v54, v64
	v_add_f32_e32 v57, v78, v77
	v_dual_mul_f32 v77, v70, v61 :: v_dual_mul_f32 v70, v67, v59
	v_dual_mul_f32 v59, v66, v59 :: v_dual_mul_f32 v54, v67, v61
	s_delay_alu instid0(VALU_DEP_2) | instskip(NEXT) | instid1(VALU_DEP_2)
	v_fmac_f32_e32 v77, v71, v60
	v_fmac_f32_e32 v59, v67, v58
	s_delay_alu instid0(VALU_DEP_3) | instskip(NEXT) | instid1(VALU_DEP_3)
	v_fma_f32 v54, v66, v60, -v54
	v_add_f32_e32 v71, v57, v77
	v_fma_f32 v57, v66, v58, -v70
	v_mul_f32_e32 v70, v66, v61
	v_add_f32_e32 v33, v33, v81
	s_wait_dscnt 0x0
	v_mul_f32_e32 v58, v73, v1
	v_add_f32_e32 v66, v56, v57
	v_dual_fmac_f32 v70, v67, v60 :: v_dual_add_f32 v67, v62, v54
	v_add_f32_e32 v63, v74, v63
	v_add_f32_e32 v74, v55, v59
	v_fma_f32 v62, v72, v0, -v58
	ds_load_b128 v[54:57], v45 offset:128
	ds_load_2addr_b64 v[58:61], v50 offset1:16
	v_add_f32_e32 v33, v33, v76
	v_dual_mul_f32 v76, v73, v3 :: v_dual_add_f32 v77, v63, v62
	v_mul_f32_e32 v63, v69, v1
	s_delay_alu instid0(VALU_DEP_3) | instskip(NEXT) | instid1(VALU_DEP_3)
	v_dual_add_f32 v33, v33, v70 :: v_dual_mul_f32 v70, v72, v3
	v_fma_f32 v62, v72, v2, -v76
	s_delay_alu instid0(VALU_DEP_2) | instskip(NEXT) | instid1(VALU_DEP_2)
	v_fmac_f32_e32 v70, v73, v2
	v_dual_add_f32 v76, v64, v62 :: v_dual_add_f32 v65, v75, v65
	v_mul_f32_e32 v75, v72, v1
	v_fma_f32 v72, v68, v0, -v63
	s_delay_alu instid0(VALU_DEP_4) | instskip(NEXT) | instid1(VALU_DEP_3)
	v_dual_mul_f32 v1, v68, v1 :: v_dual_add_f32 v78, v71, v70
	v_fmac_f32_e32 v75, v73, v0
	v_mul_f32_e32 v73, v69, v3
	s_delay_alu instid0(VALU_DEP_4) | instskip(NEXT) | instid1(VALU_DEP_4)
	v_dual_add_f32 v79, v66, v72 :: v_dual_mul_f32 v66, v68, v3
	v_fmac_f32_e32 v1, v69, v0
	s_wait_dscnt 0x0
	v_mul_f32_e32 v3, v55, v59
	v_fma_f32 v0, v68, v2, -v73
	v_mul_f32_e32 v68, v54, v59
	v_dual_fmac_f32 v66, v69, v2 :: v_dual_mul_f32 v69, v55, v61
	s_delay_alu instid0(VALU_DEP_3) | instskip(SKIP_2) | instid1(VALU_DEP_4)
	v_dual_mul_f32 v81, v54, v61 :: v_dual_add_f32 v80, v67, v0
	v_fma_f32 v67, v54, v58, -v3
	v_add_f32_e32 v74, v74, v1
	v_fma_f32 v54, v54, v60, -v69
	ds_load_2addr_b64 v[0:3], v50 offset0:32 offset1:48
	ds_load_b128 v[70:73], v45 offset:144
	v_fmac_f32_e32 v68, v55, v58
	v_dual_fmac_f32 v81, v55, v60 :: v_dual_add_f32 v54, v76, v54
	v_add_f32_e32 v75, v65, v75
	ds_load_b128 v[62:65], v45 offset:4224
	v_add_f32_e32 v78, v78, v81
	s_wait_dscnt 0x0
	v_mul_f32_e32 v82, v63, v59
	v_mul_f32_e32 v55, v62, v59
	v_mul_f32_e32 v59, v63, v61
	v_mul_f32_e32 v81, v62, v61
	s_delay_alu instid0(VALU_DEP_4) | instskip(NEXT) | instid1(VALU_DEP_4)
	v_fma_f32 v76, v62, v58, -v82
	v_fmac_f32_e32 v55, v63, v58
	s_delay_alu instid0(VALU_DEP_4) | instskip(SKIP_3) | instid1(VALU_DEP_4)
	v_fma_f32 v58, v62, v60, -v59
	v_mul_f32_e32 v59, v57, v1
	v_fmac_f32_e32 v81, v63, v60
	v_dual_add_f32 v62, v79, v76 :: v_dual_mul_f32 v79, v57, v3
	v_add_f32_e32 v63, v80, v58
	s_delay_alu instid0(VALU_DEP_4) | instskip(SKIP_3) | instid1(VALU_DEP_2)
	v_fma_f32 v76, v56, v0, -v59
	ds_load_2addr_b64 v[58:61], v50 offset0:64 offset1:80
	v_add_f32_e32 v77, v77, v67
	v_dual_add_f32 v55, v74, v55 :: v_dual_mul_f32 v74, v56, v1
	v_dual_add_f32 v76, v77, v76 :: v_dual_mul_f32 v77, v56, v3
	v_fma_f32 v56, v56, v2, -v79
	v_mul_f32_e32 v79, v65, v1
	s_delay_alu instid0(VALU_DEP_4) | instskip(NEXT) | instid1(VALU_DEP_3)
	v_dual_fmac_f32 v74, v57, v0 :: v_dual_mul_f32 v1, v64, v1
	v_dual_fmac_f32 v77, v57, v2 :: v_dual_add_f32 v54, v54, v56
	s_delay_alu instid0(VALU_DEP_3) | instskip(SKIP_1) | instid1(VALU_DEP_4)
	v_fma_f32 v56, v64, v0, -v79
	v_add_f32_e32 v33, v33, v66
	v_fmac_f32_e32 v1, v65, v0
	s_delay_alu instid0(VALU_DEP_4) | instskip(NEXT) | instid1(VALU_DEP_4)
	v_dual_mul_f32 v0, v65, v3 :: v_dual_add_f32 v57, v78, v77
	v_add_f32_e32 v56, v62, v56
	v_add_f32_e32 v75, v75, v68
	ds_load_b128 v[66:69], v45 offset:4240
	v_add_f32_e32 v55, v55, v1
	v_fma_f32 v62, v64, v2, -v0
	s_wait_dscnt 0x1
	v_dual_mul_f32 v77, v70, v61 :: v_dual_add_f32 v74, v75, v74
	v_mul_f32_e32 v75, v64, v3
	v_mul_f32_e32 v64, v71, v59
	v_add_f32_e32 v62, v63, v62
	s_delay_alu instid0(VALU_DEP_4) | instskip(NEXT) | instid1(VALU_DEP_4)
	v_fmac_f32_e32 v77, v71, v60
	v_fmac_f32_e32 v75, v65, v2
	ds_load_2addr_b64 v[0:3], v50 offset0:96 offset1:112
	v_fma_f32 v63, v70, v58, -v64
	v_dual_mul_f32 v64, v71, v61 :: v_dual_mul_f32 v65, v70, v59
	s_delay_alu instid0(VALU_DEP_2) | instskip(NEXT) | instid1(VALU_DEP_2)
	v_add_f32_e32 v63, v76, v63
	v_fma_f32 v64, v70, v60, -v64
	s_delay_alu instid0(VALU_DEP_3)
	v_fmac_f32_e32 v65, v71, v58
	s_wait_dscnt 0x1
	v_mul_f32_e32 v70, v67, v59
	v_mul_f32_e32 v59, v66, v59
	v_dual_add_f32 v71, v57, v77 :: v_dual_add_f32 v64, v54, v64
	v_mul_f32_e32 v54, v67, v61
	s_delay_alu instid0(VALU_DEP_4) | instskip(NEXT) | instid1(VALU_DEP_4)
	v_fma_f32 v57, v66, v58, -v70
	v_dual_fmac_f32 v59, v67, v58 :: v_dual_mul_f32 v70, v66, v61
	v_add_f32_e32 v65, v74, v65
	s_delay_alu instid0(VALU_DEP_4) | instskip(NEXT) | instid1(VALU_DEP_4)
	v_fma_f32 v54, v66, v60, -v54
	v_add_f32_e32 v66, v56, v57
	s_wait_dscnt 0x0
	v_mul_f32_e32 v58, v73, v1
	v_add_f32_e32 v74, v55, v59
	v_dual_fmac_f32 v70, v67, v60 :: v_dual_add_f32 v67, v62, v54
	v_mul_f32_e32 v76, v73, v3
	s_delay_alu instid0(VALU_DEP_4)
	v_fma_f32 v62, v72, v0, -v58
	ds_load_b128 v[54:57], v45 offset:160
	ds_load_2addr_b64 v[58:61], v50 offset0:128 offset1:144
	v_add_f32_e32 v33, v33, v81
	v_add_f32_e32 v77, v63, v62
	v_mul_f32_e32 v63, v69, v1
	s_delay_alu instid0(VALU_DEP_3) | instskip(SKIP_3) | instid1(VALU_DEP_4)
	v_add_f32_e32 v33, v33, v75
	v_mul_f32_e32 v75, v72, v1
	v_fma_f32 v62, v72, v2, -v76
	v_mul_f32_e32 v1, v68, v1
	v_dual_add_f32 v33, v33, v70 :: v_dual_mul_f32 v70, v72, v3
	s_delay_alu instid0(VALU_DEP_4) | instskip(SKIP_1) | instid1(VALU_DEP_4)
	v_fmac_f32_e32 v75, v73, v0
	v_fma_f32 v72, v68, v0, -v63
	v_dual_add_f32 v76, v64, v62 :: v_dual_fmac_f32 v1, v69, v0
	s_delay_alu instid0(VALU_DEP_4)
	v_fmac_f32_e32 v70, v73, v2
	v_mul_f32_e32 v73, v69, v3
	v_add_f32_e32 v75, v65, v75
	ds_load_b128 v[62:65], v45 offset:4256
	v_dual_add_f32 v79, v66, v72 :: v_dual_mul_f32 v66, v68, v3
	v_fma_f32 v0, v68, v2, -v73
	s_wait_dscnt 0x1
	v_dual_mul_f32 v3, v55, v59 :: v_dual_add_f32 v74, v74, v1
	v_mul_f32_e32 v68, v54, v59
	v_fmac_f32_e32 v66, v69, v2
	v_add_f32_e32 v80, v67, v0
	s_delay_alu instid0(VALU_DEP_4)
	v_fma_f32 v67, v54, v58, -v3
	ds_load_2addr_b64 v[0:3], v50 offset0:160 offset1:176
	v_mul_f32_e32 v69, v55, v61
	v_dual_mul_f32 v81, v54, v61 :: v_dual_add_f32 v78, v71, v70
	ds_load_b128 v[70:73], v45 offset:176
	v_fmac_f32_e32 v68, v55, v58
	v_fma_f32 v54, v54, v60, -v69
	v_fmac_f32_e32 v81, v55, v60
	v_add_f32_e32 v77, v77, v67
	s_wait_dscnt 0x2
	v_dual_add_f32 v33, v33, v66 :: v_dual_mul_f32 v82, v63, v59
	v_mul_f32_e32 v55, v62, v59
	v_dual_mul_f32 v59, v63, v61 :: v_dual_add_f32 v54, v76, v54
	v_add_f32_e32 v78, v78, v81
	s_delay_alu instid0(VALU_DEP_4) | instskip(NEXT) | instid1(VALU_DEP_4)
	v_fma_f32 v76, v62, v58, -v82
	v_fmac_f32_e32 v55, v63, v58
	v_mul_f32_e32 v81, v62, v61
	v_fma_f32 v58, v62, v60, -v59
	v_add_f32_e32 v75, v75, v68
	s_wait_dscnt 0x1
	v_dual_mul_f32 v59, v57, v1 :: v_dual_add_f32 v62, v79, v76
	v_fmac_f32_e32 v81, v63, v60
	v_add_f32_e32 v63, v80, v58
	v_add_f32_e32 v55, v74, v55
	s_delay_alu instid0(VALU_DEP_4)
	v_fma_f32 v76, v56, v0, -v59
	ds_load_2addr_b64 v[58:61], v50 offset0:192 offset1:208
	v_dual_mul_f32 v74, v56, v1 :: v_dual_mul_f32 v79, v57, v3
	ds_load_b128 v[66:69], v45 offset:4272
	v_dual_add_f32 v76, v77, v76 :: v_dual_mul_f32 v77, v56, v3
	v_fmac_f32_e32 v74, v57, v0
	v_fma_f32 v56, v56, v2, -v79
	v_mul_f32_e32 v79, v65, v1
	v_mul_f32_e32 v1, v64, v1
	v_fmac_f32_e32 v77, v57, v2
	v_add_f32_e32 v74, v75, v74
	v_add_f32_e32 v54, v54, v56
	v_fma_f32 v56, v64, v0, -v79
	v_fmac_f32_e32 v1, v65, v0
	v_mul_f32_e32 v0, v65, v3
	v_mul_f32_e32 v75, v64, v3
	v_add_f32_e32 v57, v78, v77
	s_delay_alu instid0(VALU_DEP_4) | instskip(NEXT) | instid1(VALU_DEP_4)
	v_dual_add_f32 v56, v62, v56 :: v_dual_add_f32 v55, v55, v1
	v_fma_f32 v62, v64, v2, -v0
	s_wait_dscnt 0x1
	v_dual_mul_f32 v64, v71, v59 :: v_dual_fmac_f32 v75, v65, v2
	ds_load_2addr_b64 v[0:3], v50 offset0:224 offset1:240
	v_dual_mul_f32 v77, v70, v61 :: v_dual_add_f32 v62, v63, v62
	v_fma_f32 v63, v70, v58, -v64
	v_dual_mul_f32 v64, v71, v61 :: v_dual_mul_f32 v65, v70, v59
	s_delay_alu instid0(VALU_DEP_3) | instskip(SKIP_1) | instid1(VALU_DEP_4)
	v_fmac_f32_e32 v77, v71, v60
	v_add_f32_e32 v33, v33, v81
	v_add_f32_e32 v63, v76, v63
	s_delay_alu instid0(VALU_DEP_4)
	v_fma_f32 v64, v70, v60, -v64
	s_wait_dscnt 0x1
	v_mul_f32_e32 v70, v67, v59
	v_mul_f32_e32 v59, v66, v59
	v_fmac_f32_e32 v65, v71, v58
	v_dual_add_f32 v71, v57, v77 :: v_dual_add_f32 v64, v54, v64
	v_mul_f32_e32 v54, v67, v61
	v_fma_f32 v57, v66, v58, -v70
	v_dual_fmac_f32 v59, v67, v58 :: v_dual_mul_f32 v70, v66, v61
	v_add_f32_e32 v65, v74, v65
	s_delay_alu instid0(VALU_DEP_4)
	v_fma_f32 v54, v66, v60, -v54
	s_wait_dscnt 0x0
	v_mul_f32_e32 v58, v73, v1
	v_add_f32_e32 v66, v56, v57
	v_add_f32_e32 v74, v55, v59
	v_dual_fmac_f32 v70, v67, v60 :: v_dual_add_f32 v67, v62, v54
	s_delay_alu instid0(VALU_DEP_4)
	v_fma_f32 v62, v72, v0, -v58
	ds_load_b128 v[54:57], v45 offset:192
	ds_load_2addr_b64 v[58:61], v51 offset1:16
	v_add_f32_e32 v33, v33, v75
	v_dual_mul_f32 v75, v72, v1 :: v_dual_mul_f32 v76, v73, v3
	v_add_f32_e32 v77, v63, v62
	v_mul_f32_e32 v63, v69, v1
	s_delay_alu instid0(VALU_DEP_4) | instskip(NEXT) | instid1(VALU_DEP_4)
	v_dual_add_f32 v33, v33, v70 :: v_dual_mul_f32 v70, v72, v3
	v_fmac_f32_e32 v75, v73, v0
	v_fma_f32 v62, v72, v2, -v76
	v_mul_f32_e32 v1, v68, v1
	v_fma_f32 v72, v68, v0, -v63
	v_fmac_f32_e32 v70, v73, v2
	v_mul_f32_e32 v73, v69, v3
	v_dual_add_f32 v75, v65, v75 :: v_dual_add_f32 v76, v64, v62
	v_fmac_f32_e32 v1, v69, v0
	ds_load_b128 v[62:65], v45 offset:4288
	v_add_f32_e32 v79, v66, v72
	v_fma_f32 v0, v68, v2, -v73
	v_mul_f32_e32 v66, v68, v3
	s_wait_dscnt 0x1
	v_dual_mul_f32 v3, v55, v59 :: v_dual_add_f32 v74, v74, v1
	v_mul_f32_e32 v68, v54, v59
	v_add_f32_e32 v80, v67, v0
	v_fmac_f32_e32 v66, v69, v2
	s_delay_alu instid0(VALU_DEP_4)
	v_fma_f32 v67, v54, v58, -v3
	ds_load_2addr_b64 v[0:3], v51 offset0:32 offset1:48
	v_mul_f32_e32 v69, v55, v61
	v_dual_mul_f32 v81, v54, v61 :: v_dual_add_f32 v78, v71, v70
	ds_load_b128 v[70:73], v45 offset:208
	v_fmac_f32_e32 v68, v55, v58
	v_fma_f32 v54, v54, v60, -v69
	v_fmac_f32_e32 v81, v55, v60
	v_add_f32_e32 v77, v77, v67
	s_wait_dscnt 0x2
	v_dual_add_f32 v33, v33, v66 :: v_dual_mul_f32 v82, v63, v59
	v_mul_f32_e32 v55, v62, v59
	v_dual_mul_f32 v59, v63, v61 :: v_dual_add_f32 v54, v76, v54
	v_add_f32_e32 v78, v78, v81
	s_delay_alu instid0(VALU_DEP_4) | instskip(NEXT) | instid1(VALU_DEP_4)
	v_fma_f32 v76, v62, v58, -v82
	v_fmac_f32_e32 v55, v63, v58
	v_mul_f32_e32 v81, v62, v61
	v_fma_f32 v58, v62, v60, -v59
	v_add_f32_e32 v75, v75, v68
	s_wait_dscnt 0x1
	v_dual_mul_f32 v59, v57, v1 :: v_dual_add_f32 v62, v79, v76
	v_fmac_f32_e32 v81, v63, v60
	v_add_f32_e32 v63, v80, v58
	v_add_f32_e32 v55, v74, v55
	s_delay_alu instid0(VALU_DEP_4)
	v_fma_f32 v76, v56, v0, -v59
	ds_load_2addr_b64 v[58:61], v51 offset0:64 offset1:80
	v_dual_mul_f32 v74, v56, v1 :: v_dual_mul_f32 v79, v57, v3
	ds_load_b128 v[66:69], v45 offset:4304
	v_dual_add_f32 v76, v77, v76 :: v_dual_mul_f32 v77, v56, v3
	v_fmac_f32_e32 v74, v57, v0
	v_fma_f32 v56, v56, v2, -v79
	v_mul_f32_e32 v79, v65, v1
	v_mul_f32_e32 v1, v64, v1
	v_fmac_f32_e32 v77, v57, v2
	v_add_f32_e32 v74, v75, v74
	v_add_f32_e32 v54, v54, v56
	v_fma_f32 v56, v64, v0, -v79
	v_fmac_f32_e32 v1, v65, v0
	v_mul_f32_e32 v0, v65, v3
	v_mul_f32_e32 v75, v64, v3
	v_add_f32_e32 v57, v78, v77
	s_delay_alu instid0(VALU_DEP_4) | instskip(NEXT) | instid1(VALU_DEP_4)
	v_dual_add_f32 v56, v62, v56 :: v_dual_add_f32 v55, v55, v1
	v_fma_f32 v62, v64, v2, -v0
	s_wait_dscnt 0x1
	v_dual_mul_f32 v64, v71, v59 :: v_dual_fmac_f32 v75, v65, v2
	ds_load_2addr_b64 v[0:3], v51 offset0:96 offset1:112
	v_dual_mul_f32 v77, v70, v61 :: v_dual_add_f32 v62, v63, v62
	v_fma_f32 v63, v70, v58, -v64
	v_dual_mul_f32 v64, v71, v61 :: v_dual_mul_f32 v65, v70, v59
	s_delay_alu instid0(VALU_DEP_3) | instskip(SKIP_1) | instid1(VALU_DEP_4)
	v_fmac_f32_e32 v77, v71, v60
	v_add_f32_e32 v33, v33, v81
	v_add_f32_e32 v63, v76, v63
	s_delay_alu instid0(VALU_DEP_4)
	v_fma_f32 v64, v70, v60, -v64
	s_wait_dscnt 0x1
	v_mul_f32_e32 v70, v67, v59
	v_mul_f32_e32 v59, v66, v59
	v_fmac_f32_e32 v65, v71, v58
	v_dual_add_f32 v71, v57, v77 :: v_dual_add_f32 v64, v54, v64
	v_mul_f32_e32 v54, v67, v61
	v_fma_f32 v57, v66, v58, -v70
	v_dual_fmac_f32 v59, v67, v58 :: v_dual_mul_f32 v70, v66, v61
	v_add_f32_e32 v33, v33, v75
	s_delay_alu instid0(VALU_DEP_4)
	v_fma_f32 v54, v66, v60, -v54
	s_wait_dscnt 0x0
	v_mul_f32_e32 v58, v73, v1
	v_add_f32_e32 v65, v74, v65
	v_add_f32_e32 v66, v56, v57
	;; [unrolled: 1-line block ×3, first 2 shown]
	v_dual_fmac_f32 v70, v67, v60 :: v_dual_add_f32 v67, v62, v54
	v_fma_f32 v62, v72, v0, -v58
	ds_load_b128 v[54:57], v45 offset:224
	ds_load_2addr_b64 v[58:61], v51 offset0:128 offset1:144
	v_dual_mul_f32 v75, v72, v1 :: v_dual_mul_f32 v76, v73, v3
	v_dual_add_f32 v33, v33, v70 :: v_dual_mul_f32 v70, v72, v3
	s_delay_alu instid0(VALU_DEP_2) | instskip(NEXT) | instid1(VALU_DEP_3)
	v_fmac_f32_e32 v75, v73, v0
	v_fma_f32 v72, v72, v2, -v76
	v_add_f32_e32 v76, v63, v62
	v_mul_f32_e32 v62, v69, v1
	v_fmac_f32_e32 v70, v73, v2
	v_add_f32_e32 v75, v65, v75
	v_add_f32_e32 v77, v64, v72
	v_mul_f32_e32 v1, v68, v1
	v_fma_f32 v72, v68, v0, -v62
	v_add_f32_e32 v78, v71, v70
	v_mul_f32_e32 v70, v69, v3
	ds_load_b128 v[62:65], v45 offset:4320
	v_fmac_f32_e32 v1, v69, v0
	v_dual_add_f32 v79, v66, v72 :: v_dual_mul_f32 v66, v68, v3
	v_fma_f32 v0, v68, v2, -v70
	s_wait_dscnt 0x1
	s_delay_alu instid0(VALU_DEP_3) | instskip(SKIP_3) | instid1(VALU_DEP_4)
	v_dual_mul_f32 v3, v55, v59 :: v_dual_add_f32 v74, v74, v1
	v_mul_f32_e32 v68, v55, v61
	v_fmac_f32_e32 v66, v69, v2
	v_add_f32_e32 v80, v67, v0
	v_fma_f32 v67, v54, v58, -v3
	ds_load_2addr_b64 v[0:3], v51 offset0:160 offset1:176
	ds_load_b128 v[70:73], v45 offset:240
	v_mul_f32_e32 v81, v54, v59
	v_mul_f32_e32 v82, v54, v61
	v_fma_f32 v54, v54, v60, -v68
	v_dual_add_f32 v76, v76, v67 :: v_dual_add_f32 v33, v33, v66
	s_delay_alu instid0(VALU_DEP_4) | instskip(NEXT) | instid1(VALU_DEP_4)
	v_fmac_f32_e32 v81, v55, v58
	v_fmac_f32_e32 v82, v55, v60
	s_wait_dscnt 0x2
	v_mul_f32_e32 v83, v63, v59
	v_dual_mul_f32 v55, v62, v59 :: v_dual_add_f32 v54, v77, v54
	v_mul_f32_e32 v77, v63, v61
	v_add_f32_e32 v75, v75, v81
	s_delay_alu instid0(VALU_DEP_4) | instskip(NEXT) | instid1(VALU_DEP_4)
	v_fma_f32 v59, v62, v58, -v83
	v_fmac_f32_e32 v55, v63, v58
	v_mul_f32_e32 v81, v62, v61
	v_fma_f32 v58, v62, v60, -v77
	ds_load_b128 v[66:69], v45 offset:4336
	v_add_f32_e32 v79, v79, v59
	s_wait_dscnt 0x2
	v_mul_f32_e32 v59, v57, v1
	v_add_f32_e32 v55, v74, v55
	v_dual_fmac_f32 v81, v63, v60 :: v_dual_mul_f32 v62, v56, v1
	v_add_f32_e32 v63, v80, v58
	s_delay_alu instid0(VALU_DEP_4)
	v_fma_f32 v74, v56, v0, -v59
	ds_load_2addr_b64 v[58:61], v51 offset0:192 offset1:208
	v_mul_f32_e32 v77, v57, v3
	v_fmac_f32_e32 v62, v57, v0
	v_add_f32_e32 v78, v78, v82
	v_add_f32_e32 v74, v76, v74
	v_mul_f32_e32 v76, v56, v3
	v_fma_f32 v56, v56, v2, -v77
	v_dual_add_f32 v62, v75, v62 :: v_dual_mul_f32 v75, v65, v1
	s_delay_alu instid0(VALU_DEP_3) | instskip(NEXT) | instid1(VALU_DEP_3)
	v_dual_mul_f32 v1, v64, v1 :: v_dual_fmac_f32 v76, v57, v2
	v_add_f32_e32 v54, v54, v56
	v_mul_f32_e32 v56, v65, v3
	s_delay_alu instid0(VALU_DEP_4) | instskip(NEXT) | instid1(VALU_DEP_4)
	v_fma_f32 v57, v64, v0, -v75
	v_fmac_f32_e32 v1, v65, v0
	v_dual_add_f32 v75, v78, v76 :: v_dual_mul_f32 v76, v64, v3
	s_delay_alu instid0(VALU_DEP_4) | instskip(NEXT) | instid1(VALU_DEP_4)
	v_fma_f32 v0, v64, v2, -v56
	v_add_f32_e32 v56, v79, v57
	s_delay_alu instid0(VALU_DEP_4)
	v_add_f32_e32 v55, v55, v1
	s_wait_dscnt 0x0
	v_dual_mul_f32 v57, v71, v59 :: v_dual_fmac_f32 v76, v65, v2
	v_add_f32_e32 v63, v63, v0
	ds_load_2addr_b64 v[0:3], v51 offset0:224 offset1:240
	v_mul_f32_e32 v64, v70, v59
	v_fma_f32 v57, v70, v58, -v57
	v_mul_f32_e32 v65, v71, v61
	v_add_f32_e32 v33, v33, v81
	s_wait_loadcnt_dscnt 0x0
	s_delay_alu instid0(VALU_DEP_3) | instskip(SKIP_3) | instid1(VALU_DEP_4)
	v_dual_fmac_f32 v64, v71, v58 :: v_dual_add_f32 v57, v74, v57
	v_mul_f32_e32 v74, v67, v59
	v_fma_f32 v65, v70, v60, -v65
	v_mul_f32_e32 v59, v66, v59
	v_add_f32_e32 v62, v62, v64
	v_add_f32_e32 v33, v33, v76
	v_fma_f32 v64, v66, v58, -v74
	v_add_f32_e32 v54, v54, v65
	v_mul_f32_e32 v65, v67, v61
	v_dual_mul_f32 v76, v70, v61 :: v_dual_fmac_f32 v59, v67, v58
	s_delay_alu instid0(VALU_DEP_4) | instskip(SKIP_1) | instid1(VALU_DEP_4)
	v_add_f32_e32 v56, v56, v64
	v_mul_f32_e32 v58, v66, v61
	v_fma_f32 v61, v66, v60, -v65
	v_mul_f32_e32 v64, v73, v1
	v_dual_mul_f32 v65, v72, v1 :: v_dual_add_f32 v66, v55, v59
	s_delay_alu instid0(VALU_DEP_4) | instskip(NEXT) | instid1(VALU_DEP_4)
	v_fmac_f32_e32 v58, v67, v60
	v_add_f32_e32 v61, v63, v61
	s_delay_alu instid0(VALU_DEP_4) | instskip(NEXT) | instid1(VALU_DEP_4)
	v_fma_f32 v55, v72, v0, -v64
	v_fmac_f32_e32 v65, v73, v0
	v_dual_mul_f32 v63, v73, v3 :: v_dual_fmac_f32 v76, v71, v60
	v_dual_mul_f32 v64, v72, v3 :: v_dual_add_f32 v33, v33, v58
	s_delay_alu instid0(VALU_DEP_3) | instskip(NEXT) | instid1(VALU_DEP_3)
	v_dual_add_f32 v59, v57, v55 :: v_dual_add_f32 v60, v62, v65
	v_fma_f32 v55, v72, v2, -v63
	v_mul_f32_e32 v58, v69, v1
	v_dual_mul_f32 v1, v68, v1 :: v_dual_mul_f32 v62, v69, v3
	v_dual_mul_f32 v3, v68, v3 :: v_dual_add_f32 v70, v75, v76
	s_delay_alu instid0(VALU_DEP_4) | instskip(NEXT) | instid1(VALU_DEP_4)
	v_dual_fmac_f32 v64, v73, v2 :: v_dual_add_f32 v57, v54, v55
	v_fma_f32 v54, v68, v0, -v58
	s_delay_alu instid0(VALU_DEP_4) | instskip(SKIP_1) | instid1(VALU_DEP_4)
	v_fmac_f32_e32 v1, v69, v0
	v_fma_f32 v0, v68, v2, -v62
	v_dual_fmac_f32 v3, v69, v2 :: v_dual_add_f32 v58, v70, v64
	s_delay_alu instid0(VALU_DEP_3) | instskip(NEXT) | instid1(VALU_DEP_3)
	v_dual_add_f32 v55, v56, v54 :: v_dual_add_f32 v56, v66, v1
	v_add_f32_e32 v54, v61, v0
	s_delay_alu instid0(VALU_DEP_3)
	v_add_f32_e32 v33, v33, v3
	s_barrier_signal -1
	s_barrier_wait -1
	global_inv scope:SCOPE_SE
	s_cbranch_scc1 .LBB73_58
.LBB73_10:                              ;   Parent Loop BB73_4 Depth=1
                                        ;     Parent Loop BB73_7 Depth=2
                                        ; =>    This Inner Loop Header: Depth=3
	s_wait_alu 0xfffe
	v_add_co_u32 v0, s5, v42, s28
	s_wait_alu 0xf1ff
	v_add_co_ci_u32_e64 v1, null, 0, s29, s5
	v_cmp_eq_u64_e64 s7, s[28:29], v[10:11]
	s_delay_alu instid0(VALU_DEP_2)
	v_cmp_le_i64_e64 s6, s[40:41], v[0:1]
	v_cmp_gt_i64_e64 s5, v[0:1], v[6:7]
	s_and_b32 s54, s49, s7
	v_add_co_u32 v2, s7, v38, v20
	s_wait_alu 0xf1ff
	v_add_co_ci_u32_e64 v3, null, v39, v21, s7
	s_or_b32 s8, s6, s5
	s_wait_alu 0xfffe
	s_or_b32 s7, s8, s54
	s_wait_alu 0xfffe
	s_nor_b32 s7, s0, s7
	s_wait_alu 0xfffe
	s_and_saveexec_b32 s8, s7
	s_wait_alu 0xfffe
	s_xor_b32 s7, exec_lo, s8
	s_cbranch_execz .LBB73_12
; %bb.11:                               ;   in Loop: Header=BB73_10 Depth=3
	global_load_b64 v[61:62], v[2:3], off
	s_wait_loadcnt 0x0
	ds_store_b64 v46, v[61:62]
.LBB73_12:                              ;   in Loop: Header=BB73_10 Depth=3
	s_wait_alu 0xfffe
	s_or_saveexec_b32 s7, s7
	s_xor_b32 s53, s54, -1
	s_wait_alu 0xfffe
	s_xor_b32 exec_lo, exec_lo, s7
	s_cbranch_execz .LBB73_18
; %bb.13:                               ;   in Loop: Header=BB73_10 Depth=3
	s_and_saveexec_b32 s8, s53
	s_wait_alu 0xfffe
	s_xor_b32 s8, exec_lo, s8
; %bb.14:                               ;   in Loop: Header=BB73_10 Depth=3
	v_dual_mov_b32 v61, v5 :: v_dual_mov_b32 v62, v5
	ds_store_b64 v46, v[61:62]
; %bb.15:                               ;   in Loop: Header=BB73_10 Depth=3
	s_wait_alu 0xfffe
	s_and_not1_saveexec_b32 s8, s8
; %bb.16:                               ;   in Loop: Header=BB73_10 Depth=3
	ds_store_b64 v46, v[4:5]
; %bb.17:                               ;   in Loop: Header=BB73_10 Depth=3
	s_wait_alu 0xfffe
	s_or_b32 exec_lo, exec_lo, s8
.LBB73_18:                              ;   in Loop: Header=BB73_10 Depth=3
	s_delay_alu instid0(SALU_CYCLE_1)
	s_or_b32 exec_lo, exec_lo, s7
	v_cmp_eq_u64_e64 s7, s[28:29], v[12:13]
	v_cmp_lt_i64_e64 s8, v[8:9], v[0:1]
	s_and_b32 s7, s49, s7
	s_or_b32 s6, s6, s8
	s_wait_alu 0xfffe
	s_or_b32 s6, s6, s7
	s_wait_alu 0xfffe
	s_nor_b32 s6, s3, s6
	s_wait_alu 0xfffe
	s_and_saveexec_b32 s8, s6
	s_wait_alu 0xfffe
	s_xor_b32 s6, exec_lo, s8
	s_cbranch_execz .LBB73_20
; %bb.19:                               ;   in Loop: Header=BB73_10 Depth=3
	global_load_b64 v[2:3], v[2:3], off offset:128
	s_wait_loadcnt 0x0
	ds_store_b64 v46, v[2:3] offset:128
.LBB73_20:                              ;   in Loop: Header=BB73_10 Depth=3
	s_wait_alu 0xfffe
	s_and_not1_saveexec_b32 s6, s6
	s_cbranch_execz .LBB73_26
; %bb.21:                               ;   in Loop: Header=BB73_10 Depth=3
	s_xor_b32 s7, s7, -1
	s_wait_alu 0xfffe
	s_and_saveexec_b32 s8, s7
	s_wait_alu 0xfffe
	s_xor_b32 s7, exec_lo, s8
; %bb.22:                               ;   in Loop: Header=BB73_10 Depth=3
	v_dual_mov_b32 v2, v5 :: v_dual_mov_b32 v3, v5
	ds_store_b64 v46, v[2:3] offset:128
; %bb.23:                               ;   in Loop: Header=BB73_10 Depth=3
	s_wait_alu 0xfffe
	s_and_not1_saveexec_b32 s7, s7
; %bb.24:                               ;   in Loop: Header=BB73_10 Depth=3
	ds_store_b64 v46, v[4:5] offset:128
; %bb.25:                               ;   in Loop: Header=BB73_10 Depth=3
	s_wait_alu 0xfffe
	s_or_b32 exec_lo, exec_lo, s7
.LBB73_26:                              ;   in Loop: Header=BB73_10 Depth=3
	s_wait_alu 0xfffe
	s_or_b32 exec_lo, exec_lo, s6
	v_add_co_u32 v0, s6, v0, 16
	s_wait_alu 0xf1ff
	v_add_co_ci_u32_e64 v1, null, 0, v1, s6
	v_cmp_eq_u64_e64 s7, s[28:29], v[16:17]
	s_delay_alu instid0(VALU_DEP_2)
	v_cmp_le_i64_e64 s6, s[40:41], v[0:1]
	v_cmp_gt_i64_e64 s8, v[0:1], v[6:7]
	s_and_b32 s55, s49, s7
	v_add_co_u32 v0, s7, v40, v20
	s_wait_alu 0xf1ff
	v_add_co_ci_u32_e64 v1, null, v41, v21, s7
	s_or_b32 s8, s6, s8
	s_wait_alu 0xfffe
	s_or_b32 s7, s8, s55
	s_wait_alu 0xfffe
	s_nor_b32 s7, s0, s7
	s_wait_alu 0xfffe
	s_and_saveexec_b32 s8, s7
	s_wait_alu 0xfffe
	s_xor_b32 s7, exec_lo, s8
	s_cbranch_execz .LBB73_28
; %bb.27:                               ;   in Loop: Header=BB73_10 Depth=3
	global_load_b64 v[2:3], v[0:1], off
	s_wait_loadcnt 0x0
	ds_store_b64 v46, v[2:3] offset:4096
.LBB73_28:                              ;   in Loop: Header=BB73_10 Depth=3
	s_wait_alu 0xfffe
	s_and_not1_saveexec_b32 s7, s7
	s_cbranch_execz .LBB73_34
; %bb.29:                               ;   in Loop: Header=BB73_10 Depth=3
	s_xor_b32 s8, s55, -1
	s_wait_alu 0xfffe
	s_and_saveexec_b32 s55, s8
	s_delay_alu instid0(SALU_CYCLE_1)
	s_xor_b32 s8, exec_lo, s55
; %bb.30:                               ;   in Loop: Header=BB73_10 Depth=3
	v_dual_mov_b32 v2, v5 :: v_dual_mov_b32 v3, v5
	ds_store_b64 v46, v[2:3] offset:4096
; %bb.31:                               ;   in Loop: Header=BB73_10 Depth=3
	s_wait_alu 0xfffe
	s_and_not1_saveexec_b32 s8, s8
; %bb.32:                               ;   in Loop: Header=BB73_10 Depth=3
	ds_store_b64 v46, v[4:5] offset:4096
; %bb.33:                               ;   in Loop: Header=BB73_10 Depth=3
	s_wait_alu 0xfffe
	s_or_b32 exec_lo, exec_lo, s8
.LBB73_34:                              ;   in Loop: Header=BB73_10 Depth=3
	s_wait_alu 0xfffe
	s_or_b32 exec_lo, exec_lo, s7
	s_or_b32 s5, s6, s5
	s_wait_alu 0xfffe
	s_or_b32 s5, s5, s54
	s_wait_alu 0xfffe
	s_nor_b32 s5, s3, s5
	s_wait_alu 0xfffe
	s_and_saveexec_b32 s6, s5
	s_wait_alu 0xfffe
	s_xor_b32 s5, exec_lo, s6
	s_cbranch_execz .LBB73_36
; %bb.35:                               ;   in Loop: Header=BB73_10 Depth=3
	global_load_b64 v[0:1], v[0:1], off offset:128
	s_wait_loadcnt 0x0
	ds_store_b64 v46, v[0:1] offset:4224
.LBB73_36:                              ;   in Loop: Header=BB73_10 Depth=3
	s_wait_alu 0xfffe
	s_and_not1_saveexec_b32 s5, s5
	s_cbranch_execz .LBB73_42
; %bb.37:                               ;   in Loop: Header=BB73_10 Depth=3
	s_and_saveexec_b32 s6, s53
	s_wait_alu 0xfffe
	s_xor_b32 s6, exec_lo, s6
; %bb.38:                               ;   in Loop: Header=BB73_10 Depth=3
	v_dual_mov_b32 v0, v5 :: v_dual_mov_b32 v1, v5
	ds_store_b64 v46, v[0:1] offset:4224
; %bb.39:                               ;   in Loop: Header=BB73_10 Depth=3
	s_wait_alu 0xfffe
	s_and_not1_saveexec_b32 s6, s6
; %bb.40:                               ;   in Loop: Header=BB73_10 Depth=3
	ds_store_b64 v46, v[4:5] offset:4224
; %bb.41:                               ;   in Loop: Header=BB73_10 Depth=3
	s_wait_alu 0xfffe
	s_or_b32 exec_lo, exec_lo, s6
.LBB73_42:                              ;   in Loop: Header=BB73_10 Depth=3
	s_wait_alu 0xfffe
	s_or_b32 exec_lo, exec_lo, s5
	v_add_co_u32 v0, s5, v43, s28
	s_wait_alu 0xf1ff
	v_add_co_ci_u32_e64 v1, null, 0, s29, s5
	s_delay_alu instid0(VALU_DEP_1)
	v_cmp_gt_i64_e64 s5, s[40:41], v[0:1]
	s_and_b32 s6, vcc_lo, s5
	s_wait_alu 0xfffe
	s_xor_b32 s6, s6, -1
	s_wait_alu 0xfffe
	s_and_saveexec_b32 s7, s6
	s_wait_alu 0xfffe
	s_xor_b32 s6, exec_lo, s7
; %bb.43:                               ;   in Loop: Header=BB73_10 Depth=3
	v_dual_mov_b32 v2, v5 :: v_dual_mov_b32 v3, v5
	ds_store_b64 v47, v[2:3]
; %bb.44:                               ;   in Loop: Header=BB73_10 Depth=3
	s_wait_alu 0xfffe
	s_and_not1_saveexec_b32 s6, s6
	s_cbranch_execz .LBB73_46
; %bb.45:                               ;   in Loop: Header=BB73_10 Depth=3
	global_load_b64 v[2:3], v[34:35], off offset:-128
	s_wait_loadcnt 0x0
	ds_store_b64 v47, v[2:3]
.LBB73_46:                              ;   in Loop: Header=BB73_10 Depth=3
	s_wait_alu 0xfffe
	s_or_b32 exec_lo, exec_lo, s6
	v_cmp_gt_i64_e64 s6, s[22:23], v[0:1]
	s_and_b32 s7, vcc_lo, s6
	s_wait_alu 0xfffe
	s_xor_b32 s7, s7, -1
	s_wait_alu 0xfffe
	s_and_saveexec_b32 s8, s7
	s_wait_alu 0xfffe
	s_xor_b32 s7, exec_lo, s8
; %bb.47:                               ;   in Loop: Header=BB73_10 Depth=3
	v_dual_mov_b32 v0, v5 :: v_dual_mov_b32 v1, v5
	ds_store_b64 v47, v[0:1] offset:128
; %bb.48:                               ;   in Loop: Header=BB73_10 Depth=3
	s_wait_alu 0xfffe
	s_and_not1_saveexec_b32 s7, s7
	s_cbranch_execz .LBB73_50
; %bb.49:                               ;   in Loop: Header=BB73_10 Depth=3
	global_load_b64 v[0:1], v[34:35], off
	s_wait_loadcnt 0x0
	ds_store_b64 v47, v[0:1] offset:128
.LBB73_50:                              ;   in Loop: Header=BB73_10 Depth=3
	s_wait_alu 0xfffe
	s_or_b32 exec_lo, exec_lo, s7
	s_and_b32 s5, s4, s5
	s_wait_alu 0xfffe
	s_xor_b32 s5, s5, -1
	s_wait_alu 0xfffe
	s_and_saveexec_b32 s7, s5
	s_wait_alu 0xfffe
	s_xor_b32 s5, exec_lo, s7
; %bb.51:                               ;   in Loop: Header=BB73_10 Depth=3
	v_dual_mov_b32 v0, v5 :: v_dual_mov_b32 v1, v5
	ds_store_b64 v47, v[0:1] offset:4096
; %bb.52:                               ;   in Loop: Header=BB73_10 Depth=3
	s_wait_alu 0xfffe
	s_and_not1_saveexec_b32 s5, s5
	s_cbranch_execz .LBB73_54
; %bb.53:                               ;   in Loop: Header=BB73_10 Depth=3
	global_load_b64 v[0:1], v[36:37], off offset:-128
	s_wait_loadcnt 0x0
	ds_store_b64 v47, v[0:1] offset:4096
.LBB73_54:                              ;   in Loop: Header=BB73_10 Depth=3
	s_wait_alu 0xfffe
	s_or_b32 exec_lo, exec_lo, s5
	s_and_b32 s5, s4, s6
	s_wait_alu 0xfffe
	s_xor_b32 s5, s5, -1
	s_wait_alu 0xfffe
	s_and_saveexec_b32 s6, s5
	s_wait_alu 0xfffe
	s_xor_b32 s5, exec_lo, s6
; %bb.55:                               ;   in Loop: Header=BB73_10 Depth=3
	v_dual_mov_b32 v0, v5 :: v_dual_mov_b32 v1, v5
	ds_store_b64 v47, v[0:1] offset:4224
; %bb.56:                               ;   in Loop: Header=BB73_10 Depth=3
	s_wait_alu 0xfffe
	s_and_not1_saveexec_b32 s5, s5
	s_cbranch_execz .LBB73_9
; %bb.57:                               ;   in Loop: Header=BB73_10 Depth=3
	global_load_b64 v[0:1], v[36:37], off
	s_wait_loadcnt 0x0
	ds_store_b64 v47, v[0:1] offset:4224
	s_branch .LBB73_9
.LBB73_58:                              ;   in Loop: Header=BB73_7 Depth=2
	v_mul_lo_u32 v2, s25, v52
	v_mul_lo_u32 v3, s24, v53
	v_mad_co_u64_u32 v[0:1], null, s24, v52, 0
	v_cmp_gt_i32_e32 vcc_lo, s30, v52
	s_delay_alu instid0(VALU_DEP_2) | instskip(NEXT) | instid1(VALU_DEP_1)
	v_add3_u32 v1, v1, v3, v2
	v_lshlrev_b64_e32 v[0:1], 3, v[0:1]
	s_delay_alu instid0(VALU_DEP_1) | instskip(SKIP_1) | instid1(VALU_DEP_2)
	v_add_co_u32 v0, s4, s18, v0
	s_wait_alu 0xf1ff
	v_add_co_ci_u32_e64 v1, null, s19, v1, s4
	s_and_b32 s4, s1, vcc_lo
	s_wait_alu 0xfffe
	s_and_saveexec_b32 s5, s4
	s_cbranch_execz .LBB73_60
; %bb.59:                               ;   in Loop: Header=BB73_7 Depth=2
	v_add_co_u32 v2, s4, v0, v20
	s_wait_alu 0xf1ff
	v_add_co_ci_u32_e64 v3, null, v1, v21, s4
	v_mul_f32_e32 v37, s36, v60
	v_mul_f32_e32 v36, s37, v60
	global_load_b64 v[34:35], v[2:3], off
	v_fmac_f32_e32 v37, s37, v59
	v_fma_f32 v36, v59, s36, -v36
	s_wait_loadcnt 0x0
	s_delay_alu instid0(VALU_DEP_1)
	v_dual_add_f32 v34, v34, v36 :: v_dual_add_f32 v35, v37, v35
	global_store_b64 v[2:3], v[34:35], off
.LBB73_60:                              ;   in Loop: Header=BB73_7 Depth=2
	s_wait_alu 0xfffe
	s_or_b32 exec_lo, exec_lo, s5
	s_and_b32 s5, s2, vcc_lo
	s_wait_alu 0xfffe
	s_and_saveexec_b32 s4, s5
	s_cbranch_execz .LBB73_62
; %bb.61:                               ;   in Loop: Header=BB73_7 Depth=2
	v_add_co_u32 v0, vcc_lo, v0, v24
	s_wait_alu 0xfffd
	v_add_co_ci_u32_e64 v1, null, v1, v25, vcc_lo
	v_mul_f32_e32 v35, s36, v58
	v_mul_f32_e32 v34, s37, v58
	global_load_b64 v[2:3], v[0:1], off
	v_fmac_f32_e32 v35, s37, v57
	v_fma_f32 v34, v57, s36, -v34
	s_wait_loadcnt 0x0
	s_delay_alu instid0(VALU_DEP_1)
	v_dual_add_f32 v2, v2, v34 :: v_dual_add_f32 v3, v35, v3
	global_store_b64 v[0:1], v[2:3], off
.LBB73_62:                              ;   in Loop: Header=BB73_7 Depth=2
	s_wait_alu 0xfffe
	s_or_b32 exec_lo, exec_lo, s4
	v_add_nc_u32_e32 v2, 16, v52
	s_delay_alu instid0(VALU_DEP_1) | instskip(SKIP_3) | instid1(VALU_DEP_4)
	v_ashrrev_i32_e32 v3, 31, v2
	v_mul_lo_u32 v34, s25, v2
	v_mad_co_u64_u32 v[0:1], null, s24, v2, 0
	v_cmp_gt_i32_e32 vcc_lo, s30, v2
	v_mul_lo_u32 v3, s24, v3
	s_delay_alu instid0(VALU_DEP_1) | instskip(NEXT) | instid1(VALU_DEP_1)
	v_add3_u32 v1, v1, v3, v34
	v_lshlrev_b64_e32 v[0:1], 3, v[0:1]
	s_delay_alu instid0(VALU_DEP_1) | instskip(SKIP_1) | instid1(VALU_DEP_2)
	v_add_co_u32 v0, s4, s18, v0
	s_wait_alu 0xf1ff
	v_add_co_ci_u32_e64 v1, null, s19, v1, s4
	s_and_b32 s4, s1, vcc_lo
	s_wait_alu 0xfffe
	s_and_saveexec_b32 s5, s4
	s_cbranch_execz .LBB73_64
; %bb.63:                               ;   in Loop: Header=BB73_7 Depth=2
	v_add_co_u32 v2, s4, v0, v20
	s_wait_alu 0xf1ff
	v_add_co_ci_u32_e64 v3, null, v1, v21, s4
	v_mul_f32_e32 v37, s36, v56
	v_mul_f32_e32 v36, s37, v56
	global_load_b64 v[34:35], v[2:3], off
	v_fmac_f32_e32 v37, s37, v55
	v_fma_f32 v36, v55, s36, -v36
	s_wait_loadcnt 0x0
	s_delay_alu instid0(VALU_DEP_1)
	v_dual_add_f32 v34, v34, v36 :: v_dual_add_f32 v35, v37, v35
	global_store_b64 v[2:3], v[34:35], off
.LBB73_64:                              ;   in Loop: Header=BB73_7 Depth=2
	s_wait_alu 0xfffe
	s_or_b32 exec_lo, exec_lo, s5
	s_and_b32 s5, s2, vcc_lo
	s_wait_alu 0xfffe
	s_and_saveexec_b32 s4, s5
	s_cbranch_execz .LBB73_6
; %bb.65:                               ;   in Loop: Header=BB73_7 Depth=2
	v_add_co_u32 v0, vcc_lo, v0, v24
	s_wait_alu 0xfffd
	v_add_co_ci_u32_e64 v1, null, v1, v25, vcc_lo
	v_mul_f32_e32 v34, s37, v33
	global_load_b64 v[2:3], v[0:1], off
	v_mul_f32_e32 v33, s36, v33
	s_delay_alu instid0(VALU_DEP_1) | instskip(SKIP_2) | instid1(VALU_DEP_1)
	v_fmac_f32_e32 v33, s37, v54
	v_fma_f32 v34, v54, s36, -v34
	s_wait_loadcnt 0x0
	v_dual_add_f32 v2, v2, v34 :: v_dual_add_f32 v3, v33, v3
	global_store_b64 v[0:1], v[2:3], off
	s_branch .LBB73_6
.LBB73_66:
	s_endpgm
	.section	.rodata,"a",@progbits
	.p2align	6, 0x0
	.amdhsa_kernel _ZL30rocblas_trmm_outofplace_kernelI19rocblas_complex_numIfELi32ELi2ELb1ELb0ELb0ELb0ES1_KS1_S1_Ev17rocblas_diagonal_iiT6_lPT7_lllS6_lllPT8_llli
		.amdhsa_group_segment_fixed_size 16384
		.amdhsa_private_segment_fixed_size 0
		.amdhsa_kernarg_size 392
		.amdhsa_user_sgpr_count 2
		.amdhsa_user_sgpr_dispatch_ptr 0
		.amdhsa_user_sgpr_queue_ptr 0
		.amdhsa_user_sgpr_kernarg_segment_ptr 1
		.amdhsa_user_sgpr_dispatch_id 0
		.amdhsa_user_sgpr_private_segment_size 0
		.amdhsa_wavefront_size32 1
		.amdhsa_uses_dynamic_stack 0
		.amdhsa_enable_private_segment 0
		.amdhsa_system_sgpr_workgroup_id_x 1
		.amdhsa_system_sgpr_workgroup_id_y 1
		.amdhsa_system_sgpr_workgroup_id_z 1
		.amdhsa_system_sgpr_workgroup_info 0
		.amdhsa_system_vgpr_workitem_id 1
		.amdhsa_next_free_vgpr 95
		.amdhsa_next_free_sgpr 56
		.amdhsa_reserve_vcc 1
		.amdhsa_float_round_mode_32 0
		.amdhsa_float_round_mode_16_64 0
		.amdhsa_float_denorm_mode_32 3
		.amdhsa_float_denorm_mode_16_64 3
		.amdhsa_fp16_overflow 0
		.amdhsa_workgroup_processor_mode 1
		.amdhsa_memory_ordered 1
		.amdhsa_forward_progress 1
		.amdhsa_inst_pref_size 60
		.amdhsa_round_robin_scheduling 0
		.amdhsa_exception_fp_ieee_invalid_op 0
		.amdhsa_exception_fp_denorm_src 0
		.amdhsa_exception_fp_ieee_div_zero 0
		.amdhsa_exception_fp_ieee_overflow 0
		.amdhsa_exception_fp_ieee_underflow 0
		.amdhsa_exception_fp_ieee_inexact 0
		.amdhsa_exception_int_div_zero 0
	.end_amdhsa_kernel
	.section	.text._ZL30rocblas_trmm_outofplace_kernelI19rocblas_complex_numIfELi32ELi2ELb1ELb0ELb0ELb0ES1_KS1_S1_Ev17rocblas_diagonal_iiT6_lPT7_lllS6_lllPT8_llli,"axG",@progbits,_ZL30rocblas_trmm_outofplace_kernelI19rocblas_complex_numIfELi32ELi2ELb1ELb0ELb0ELb0ES1_KS1_S1_Ev17rocblas_diagonal_iiT6_lPT7_lllS6_lllPT8_llli,comdat
.Lfunc_end73:
	.size	_ZL30rocblas_trmm_outofplace_kernelI19rocblas_complex_numIfELi32ELi2ELb1ELb0ELb0ELb0ES1_KS1_S1_Ev17rocblas_diagonal_iiT6_lPT7_lllS6_lllPT8_llli, .Lfunc_end73-_ZL30rocblas_trmm_outofplace_kernelI19rocblas_complex_numIfELi32ELi2ELb1ELb0ELb0ELb0ES1_KS1_S1_Ev17rocblas_diagonal_iiT6_lPT7_lllS6_lllPT8_llli
                                        ; -- End function
	.set _ZL30rocblas_trmm_outofplace_kernelI19rocblas_complex_numIfELi32ELi2ELb1ELb0ELb0ELb0ES1_KS1_S1_Ev17rocblas_diagonal_iiT6_lPT7_lllS6_lllPT8_llli.num_vgpr, 95
	.set _ZL30rocblas_trmm_outofplace_kernelI19rocblas_complex_numIfELi32ELi2ELb1ELb0ELb0ELb0ES1_KS1_S1_Ev17rocblas_diagonal_iiT6_lPT7_lllS6_lllPT8_llli.num_agpr, 0
	.set _ZL30rocblas_trmm_outofplace_kernelI19rocblas_complex_numIfELi32ELi2ELb1ELb0ELb0ELb0ES1_KS1_S1_Ev17rocblas_diagonal_iiT6_lPT7_lllS6_lllPT8_llli.numbered_sgpr, 56
	.set _ZL30rocblas_trmm_outofplace_kernelI19rocblas_complex_numIfELi32ELi2ELb1ELb0ELb0ELb0ES1_KS1_S1_Ev17rocblas_diagonal_iiT6_lPT7_lllS6_lllPT8_llli.num_named_barrier, 0
	.set _ZL30rocblas_trmm_outofplace_kernelI19rocblas_complex_numIfELi32ELi2ELb1ELb0ELb0ELb0ES1_KS1_S1_Ev17rocblas_diagonal_iiT6_lPT7_lllS6_lllPT8_llli.private_seg_size, 0
	.set _ZL30rocblas_trmm_outofplace_kernelI19rocblas_complex_numIfELi32ELi2ELb1ELb0ELb0ELb0ES1_KS1_S1_Ev17rocblas_diagonal_iiT6_lPT7_lllS6_lllPT8_llli.uses_vcc, 1
	.set _ZL30rocblas_trmm_outofplace_kernelI19rocblas_complex_numIfELi32ELi2ELb1ELb0ELb0ELb0ES1_KS1_S1_Ev17rocblas_diagonal_iiT6_lPT7_lllS6_lllPT8_llli.uses_flat_scratch, 0
	.set _ZL30rocblas_trmm_outofplace_kernelI19rocblas_complex_numIfELi32ELi2ELb1ELb0ELb0ELb0ES1_KS1_S1_Ev17rocblas_diagonal_iiT6_lPT7_lllS6_lllPT8_llli.has_dyn_sized_stack, 0
	.set _ZL30rocblas_trmm_outofplace_kernelI19rocblas_complex_numIfELi32ELi2ELb1ELb0ELb0ELb0ES1_KS1_S1_Ev17rocblas_diagonal_iiT6_lPT7_lllS6_lllPT8_llli.has_recursion, 0
	.set _ZL30rocblas_trmm_outofplace_kernelI19rocblas_complex_numIfELi32ELi2ELb1ELb0ELb0ELb0ES1_KS1_S1_Ev17rocblas_diagonal_iiT6_lPT7_lllS6_lllPT8_llli.has_indirect_call, 0
	.section	.AMDGPU.csdata,"",@progbits
; Kernel info:
; codeLenInByte = 7556
; TotalNumSgprs: 58
; NumVgprs: 95
; ScratchSize: 0
; MemoryBound: 1
; FloatMode: 240
; IeeeMode: 1
; LDSByteSize: 16384 bytes/workgroup (compile time only)
; SGPRBlocks: 0
; VGPRBlocks: 11
; NumSGPRsForWavesPerEU: 58
; NumVGPRsForWavesPerEU: 95
; Occupancy: 16
; WaveLimiterHint : 0
; COMPUTE_PGM_RSRC2:SCRATCH_EN: 0
; COMPUTE_PGM_RSRC2:USER_SGPR: 2
; COMPUTE_PGM_RSRC2:TRAP_HANDLER: 0
; COMPUTE_PGM_RSRC2:TGID_X_EN: 1
; COMPUTE_PGM_RSRC2:TGID_Y_EN: 1
; COMPUTE_PGM_RSRC2:TGID_Z_EN: 1
; COMPUTE_PGM_RSRC2:TIDIG_COMP_CNT: 1
	.section	.text._ZL30rocblas_trmm_outofplace_kernelI19rocblas_complex_numIfELi32ELi2ELb1ELb1ELb0ELb0EPKS1_S2_S1_Ev17rocblas_diagonal_iiT6_lPT7_lllS7_lllPT8_llli,"axG",@progbits,_ZL30rocblas_trmm_outofplace_kernelI19rocblas_complex_numIfELi32ELi2ELb1ELb1ELb0ELb0EPKS1_S2_S1_Ev17rocblas_diagonal_iiT6_lPT7_lllS7_lllPT8_llli,comdat
	.globl	_ZL30rocblas_trmm_outofplace_kernelI19rocblas_complex_numIfELi32ELi2ELb1ELb1ELb0ELb0EPKS1_S2_S1_Ev17rocblas_diagonal_iiT6_lPT7_lllS7_lllPT8_llli ; -- Begin function _ZL30rocblas_trmm_outofplace_kernelI19rocblas_complex_numIfELi32ELi2ELb1ELb1ELb0ELb0EPKS1_S2_S1_Ev17rocblas_diagonal_iiT6_lPT7_lllS7_lllPT8_llli
	.p2align	8
	.type	_ZL30rocblas_trmm_outofplace_kernelI19rocblas_complex_numIfELi32ELi2ELb1ELb1ELb0ELb0EPKS1_S2_S1_Ev17rocblas_diagonal_iiT6_lPT7_lllS7_lllPT8_llli,@function
_ZL30rocblas_trmm_outofplace_kernelI19rocblas_complex_numIfELi32ELi2ELb1ELb1ELb0ELb0EPKS1_S2_S1_Ev17rocblas_diagonal_iiT6_lPT7_lllS7_lllPT8_llli: ; @_ZL30rocblas_trmm_outofplace_kernelI19rocblas_complex_numIfELi32ELi2ELb1ELb1ELb0ELb0EPKS1_S2_S1_Ev17rocblas_diagonal_iiT6_lPT7_lllS7_lllPT8_llli
; %bb.0:
	s_load_b32 s11, s[0:1], 0x80
	s_lshr_b32 s34, ttmp7, 16
	s_wait_kmcnt 0x0
	s_cmp_ge_u32 s34, s11
	s_cbranch_scc1 .LBB74_68
; %bb.1:
	s_clause 0x3
	s_load_b96 s[8:10], s[0:1], 0x0
	s_load_b256 s[36:43], s[0:1], 0x50
	s_load_b512 s[12:27], s[0:1], 0x10
	s_load_b128 s[28:31], s[0:1], 0x70
	s_add_nc_u64 s[44:45], s[0:1], 0x88
	s_and_b32 s33, ttmp7, 0xffff
	v_bfe_u32 v42, v0, 10, 10
	v_dual_mov_b32 v25, 0 :: v_dual_and_b32 v0, 0x3ff, v0
	v_mov_b32_e32 v24, 1.0
	s_mov_b32 s35, 0
	s_delay_alu instid0(VALU_DEP_3) | instskip(NEXT) | instid1(VALU_DEP_3)
	v_lshlrev_b32_e32 v1, 8, v42
	v_lshlrev_b32_e32 v43, 3, v0
	s_delay_alu instid0(VALU_DEP_2) | instskip(NEXT) | instid1(VALU_DEP_2)
	v_add_nc_u32_e32 v44, 0x2000, v1
	v_add_nc_u32_e32 v45, v43, v1
	;; [unrolled: 1-line block ×4, first 2 shown]
	s_wait_kmcnt 0x0
	s_add_co_i32 s2, s10, -1
	v_add_nc_u32_e32 v46, v44, v43
	s_ashr_i32 s3, s2, 31
	v_add_nc_u32_e32 v49, 0x1800, v43
	s_lshr_b32 s0, s3, 27
	s_mov_b32 s52, s10
	s_add_co_i32 s2, s2, s0
	s_lshl_b64 s[0:1], s[42:43], 3
	s_ashr_i32 s50, s2, 5
	s_mov_b32 s42, s9
	s_cmp_le_i32 s33, s50
	s_add_nc_u64 s[40:41], s[40:41], s[0:1]
	s_cselect_b32 s51, -1, 0
	s_lshl_b32 s2, ttmp9, 5
	s_delay_alu instid0(SALU_CYCLE_1) | instskip(SKIP_2) | instid1(SALU_CYCLE_1)
	v_add_nc_u32_e32 v6, s2, v0
	v_add_nc_u32_e32 v4, s2, v42
	s_sub_co_i32 s53, s9, s2
	s_cmp_gt_i32 s53, 0
	s_delay_alu instid0(VALU_DEP_2) | instskip(NEXT) | instid1(VALU_DEP_2)
	v_ashrrev_i32_e32 v7, 31, v6
	v_ashrrev_i32_e32 v5, 31, v4
	v_add_co_u32 v10, vcc_lo, v6, 16
	v_mul_lo_u32 v19, s21, v4
	s_delay_alu instid0(VALU_DEP_4) | instskip(SKIP_4) | instid1(VALU_DEP_3)
	v_add_co_ci_u32_e64 v11, null, 0, v7, vcc_lo
	v_sub_co_u32 v12, vcc_lo, v6, v4
	v_lshlrev_b64_e32 v[0:1], 3, v[4:5]
	s_wait_alu 0xfffd
	v_sub_co_ci_u32_e64 v13, null, v7, v5, vcc_lo
	v_add_co_u32 v14, vcc_lo, v12, 16
	v_mul_lo_u32 v18, s20, v5
	s_wait_alu 0xfffd
	s_delay_alu instid0(VALU_DEP_3)
	v_add_co_ci_u32_e64 v15, null, 0, v13, vcc_lo
	v_add_co_u32 v2, vcc_lo, 0x80, v0
	s_wait_alu 0xfffd
	v_add_co_ci_u32_e64 v3, null, 0, v1, vcc_lo
	v_mad_co_u64_u32 v[0:1], null, s20, v4, 0
	s_cselect_b32 s54, -1, 0
	s_cmp_eq_u32 s8, 0x84
	v_mul_lo_u32 v3, s20, v3
	s_cselect_b32 s55, -1, 0
	s_lshl_b64 s[4:5], s[18:19], 3
	v_add_nc_u32_e32 v8, 16, v6
	v_add3_u32 v1, v1, v18, v19
	s_add_nc_u64 s[4:5], s[16:17], s[4:5]
	v_add_co_u32 v18, vcc_lo, v12, -16
	v_mad_co_u64_u32 v[16:17], null, s20, v2, s[4:5]
	v_mul_lo_u32 v2, s21, v2
	v_lshlrev_b64_e32 v[0:1], 3, v[0:1]
	s_ashr_i32 s43, s9, 31
	s_wait_alu 0xfffd
	v_add_co_ci_u32_e64 v19, null, -1, v13, vcc_lo
	v_cmp_le_i64_e64 s3, s[42:43], v[10:11]
	s_lshl_b64 s[6:7], s[26:27], 3
	v_add_co_u32 v22, vcc_lo, s4, v0
	v_lshlrev_b64_e32 v[20:21], 3, v[6:7]
	v_cmp_le_i32_e64 s0, s9, v6
	v_cmp_gt_i32_e64 s1, s9, v6
	v_cmp_gt_i32_e64 s2, s9, v8
	v_ashrrev_i32_e32 v9, 31, v8
	v_add3_u32 v17, v2, v17, v3
	s_wait_alu 0xfffd
	v_add_co_ci_u32_e64 v23, null, s5, v1, vcc_lo
	s_add_nc_u64 s[6:7], s[24:25], s[6:7]
	s_ashr_i32 s56, s10, 31
	s_lshl_b64 s[46:47], s[20:21], 8
	s_add_nc_u64 s[48:49], s[42:43], -16
	s_add_nc_u64 s[16:17], s[6:7], 0x80
	s_lshl_b64 s[18:19], s[38:39], 3
	s_lshl_b64 s[20:21], s[36:37], 3
	;; [unrolled: 1-line block ×3, first 2 shown]
	s_branch .LBB74_4
.LBB74_2:                               ;   in Loop: Header=BB74_4 Depth=1
	s_add_co_i32 s34, s34, 0x10000
	s_wait_alu 0xfffe
	s_cmp_ge_u32 s34, s11
	s_cselect_b32 s4, -1, 0
.LBB74_3:                               ;   in Loop: Header=BB74_4 Depth=1
	s_wait_alu 0xfffe
	s_and_b32 vcc_lo, exec_lo, s4
	s_wait_alu 0xfffe
	s_cbranch_vccnz .LBB74_68
.LBB74_4:                               ; =>This Loop Header: Depth=1
                                        ;     Child Loop BB74_8 Depth 2
                                        ;       Child Loop BB74_11 Depth 3
	s_mul_u64 s[4:5], s[14:15], s[34:35]
	s_wait_alu 0xfffe
	s_lshl_b64 s[4:5], s[4:5], 3
	s_wait_alu 0xfffe
	s_add_nc_u64 s[4:5], s[12:13], s[4:5]
	global_load_b64 v[26:27], v25, s[4:5]
	s_mov_b32 s4, -1
	s_wait_loadcnt 0x0
	v_or_b32_e32 v0, v26, v27
	s_delay_alu instid0(VALU_DEP_1) | instskip(NEXT) | instid1(VALU_DEP_1)
	v_and_b32_e32 v0, 0x7fffffff, v0
	v_cmp_eq_u32_e32 vcc_lo, 0, v0
	s_cbranch_vccnz .LBB74_3
; %bb.5:                                ;   in Loop: Header=BB74_4 Depth=1
	s_and_not1_b32 vcc_lo, exec_lo, s51
	s_wait_alu 0xfffe
	s_cbranch_vccnz .LBB74_2
; %bb.6:                                ;   in Loop: Header=BB74_4 Depth=1
	s_load_b32 s9, s[44:45], 0x4
	v_mad_co_u64_u32 v[28:29], null, s22, s34, v[16:17]
	v_mad_co_u64_u32 v[30:31], null, s22, s34, v[22:23]
	s_mul_i32 s8, s23, s34
	s_mul_u64 s[6:7], s[30:31], s[34:35]
	v_lshl_add_u32 v32, s33, 5, v42
	s_mul_u64 s[4:5], s[18:19], s[34:35]
	s_wait_alu 0xfffe
	v_add_nc_u32_e32 v29, s8, v29
	s_lshl_b64 s[6:7], s[6:7], 3
	v_add_nc_u32_e32 v31, s8, v31
	s_add_nc_u64 s[24:25], s[16:17], s[4:5]
	s_wait_alu 0xfffe
	s_add_nc_u64 s[26:27], s[40:41], s[6:7]
	s_mov_b32 s58, s33
	s_wait_kmcnt 0x0
	s_lshl_b32 s57, s9, 5
	s_branch .LBB74_8
.LBB74_7:                               ;   in Loop: Header=BB74_8 Depth=2
	s_wait_alu 0xfffe
	s_or_b32 exec_lo, exec_lo, s4
	v_add_nc_u32_e32 v32, s57, v32
	s_add_co_i32 s58, s9, s58
	s_wait_alu 0xfffe
	s_cmp_gt_i32 s58, s50
	s_cbranch_scc1 .LBB74_2
.LBB74_8:                               ;   Parent Loop BB74_4 Depth=1
                                        ; =>  This Loop Header: Depth=2
                                        ;       Child Loop BB74_11 Depth 3
	s_wait_alu 0xfffe
	v_lshl_add_u32 v50, s58, 5, v42
	s_and_not1_b32 vcc_lo, exec_lo, s54
	s_delay_alu instid0(VALU_DEP_1)
	v_ashrrev_i32_e32 v51, 31, v50
	s_wait_alu 0xfffe
	s_cbranch_vccnz .LBB74_59
; %bb.9:                                ;   in Loop: Header=BB74_8 Depth=2
	v_ashrrev_i32_e32 v33, 31, v32
	v_mad_co_u64_u32 v[34:35], null, s20, v32, s[24:25]
	v_mul_lo_u32 v2, s21, v32
	v_mov_b32_e32 v39, v31
	s_delay_alu instid0(VALU_DEP_4)
	v_lshlrev_b64_e32 v[0:1], 3, v[32:33]
	v_mul_lo_u32 v52, s20, v33
	v_mov_b32_e32 v41, v29
	v_dual_mov_b32 v33, 0 :: v_dual_mov_b32 v38, v30
	v_mov_b32_e32 v40, v28
	v_add_co_u32 v3, vcc_lo, 0x80, v0
	s_wait_alu 0xfffd
	v_add_co_ci_u32_e64 v36, null, 0, v1, vcc_lo
	v_sub_co_u32 v0, vcc_lo, s52, v50
	s_delay_alu instid0(VALU_DEP_3) | instskip(NEXT) | instid1(VALU_DEP_3)
	v_mul_lo_u32 v54, s37, v3
	v_mul_lo_u32 v53, s36, v36
	v_mad_co_u64_u32 v[36:37], null, s36, v3, s[24:25]
	s_wait_alu 0xfffd
	v_sub_co_ci_u32_e64 v1, null, s56, v51, vcc_lo
	v_add3_u32 v35, v2, v35, v52
	v_mov_b32_e32 v52, 0
	v_dual_mov_b32 v56, 0 :: v_dual_mov_b32 v55, 0
	s_delay_alu instid0(VALU_DEP_4)
	v_cmp_lt_i64_e64 s4, 16, v[0:1]
	v_add3_u32 v37, v54, v37, v53
	v_dual_mov_b32 v54, 0 :: v_dual_mov_b32 v53, 0
	v_dual_mov_b32 v58, 0 :: v_dual_mov_b32 v57, 0
	s_mov_b64 s[38:39], 0
	v_cmp_lt_i64_e32 vcc_lo, 0, v[0:1]
	s_branch .LBB74_11
.LBB74_10:                              ;   in Loop: Header=BB74_11 Depth=3
	s_wait_alu 0xfffe
	s_or_b32 exec_lo, exec_lo, s5
	s_wait_dscnt 0x0
	s_barrier_signal -1
	s_barrier_wait -1
	global_inv scope:SCOPE_SE
	ds_load_b128 v[59:62], v44
	ds_load_2addr_b64 v[63:66], v43 offset1:16
	ds_load_b128 v[67:70], v44 offset:4096
	ds_load_b128 v[71:74], v44 offset:16
	;; [unrolled: 1-line block ×4, first 2 shown]
	ds_load_2addr_b64 v[79:82], v43 offset0:32 offset1:48
	ds_load_b128 v[83:86], v44 offset:4112
	v_add_co_u32 v34, s5, 0x100, v34
	s_wait_alu 0xf1ff
	v_add_co_ci_u32_e64 v35, null, 0, v35, s5
	v_add_co_u32 v40, s5, v40, s46
	s_wait_alu 0xf1ff
	v_add_co_ci_u32_e64 v41, null, s47, v41, s5
	;; [unrolled: 3-line block ×3, first 2 shown]
	v_add_co_u32 v38, s5, v38, s46
	s_wait_dscnt 0x6
	v_dual_mul_f32 v87, v60, v64 :: v_dual_mul_f32 v90, v59, v66
	v_dual_mul_f32 v88, v59, v64 :: v_dual_mul_f32 v89, v60, v66
	s_wait_dscnt 0x5
	v_mul_f32_e32 v91, v68, v64
	s_delay_alu instid0(VALU_DEP_3)
	v_fma_f32 v87, v59, v63, -v87
	v_mul_f32_e32 v64, v67, v64
	v_fmac_f32_e32 v88, v60, v63
	v_fma_f32 v59, v59, v65, -v89
	v_mul_f32_e32 v92, v68, v66
	v_mul_f32_e32 v66, v67, v66
	v_fmac_f32_e32 v90, v60, v65
	v_fma_f32 v60, v67, v63, -v91
	v_add_f32_e32 v57, v57, v87
	s_delay_alu instid0(VALU_DEP_4)
	v_dual_add_f32 v59, v55, v59 :: v_dual_fmac_f32 v66, v68, v65
	v_fmac_f32_e32 v64, v68, v63
	v_fma_f32 v63, v67, v65, -v92
	s_wait_dscnt 0x1
	v_mul_f32_e32 v67, v62, v80
	v_mul_f32_e32 v65, v61, v80
	v_add_f32_e32 v58, v58, v88
	v_add_f32_e32 v56, v56, v90
	;; [unrolled: 1-line block ×3, first 2 shown]
	v_fma_f32 v67, v61, v79, -v67
	v_dual_add_f32 v33, v33, v66 :: v_dual_add_f32 v64, v54, v64
	v_dual_fmac_f32 v65, v62, v79 :: v_dual_add_f32 v60, v53, v60
	ds_load_2addr_b64 v[52:55], v43 offset0:64 offset1:80
	v_mul_f32_e32 v68, v62, v82
	v_mul_f32_e32 v66, v61, v82
	v_add_f32_e32 v67, v57, v67
	v_dual_add_f32 v65, v58, v65 :: v_dual_mul_f32 v58, v69, v80
	s_delay_alu instid0(VALU_DEP_4)
	v_fma_f32 v57, v61, v81, -v68
	v_mul_f32_e32 v61, v70, v80
	v_fmac_f32_e32 v66, v62, v81
	s_wait_alu 0xf1ff
	v_add_co_ci_u32_e64 v39, null, s47, v39, s5
	v_add_f32_e32 v62, v59, v57
	v_fma_f32 v57, v69, v79, -v61
	v_mul_f32_e32 v59, v70, v82
	v_add_f32_e32 v61, v56, v66
	v_mul_f32_e32 v66, v69, v82
	s_add_nc_u64 s[38:39], s[38:39], 32
	s_delay_alu instid0(VALU_DEP_3)
	v_fma_f32 v56, v69, v81, -v59
	s_wait_alu 0xfffe
	s_cmp_ge_i32 s38, s53
	s_wait_dscnt 0x0
	v_mul_f32_e32 v68, v71, v53
	v_add_f32_e32 v63, v63, v56
	s_delay_alu instid0(VALU_DEP_2) | instskip(SKIP_2) | instid1(VALU_DEP_3)
	v_fmac_f32_e32 v68, v72, v52
	v_add_f32_e32 v60, v60, v57
	v_mul_f32_e32 v57, v72, v53
	v_dual_add_f32 v65, v65, v68 :: v_dual_mul_f32 v68, v84, v53
	s_delay_alu instid0(VALU_DEP_2) | instskip(SKIP_2) | instid1(VALU_DEP_2)
	v_fma_f32 v69, v71, v52, -v57
	v_mul_f32_e32 v53, v83, v53
	v_fmac_f32_e32 v66, v70, v81
	v_dual_fmac_f32 v58, v70, v79 :: v_dual_fmac_f32 v53, v84, v52
	s_delay_alu instid0(VALU_DEP_2) | instskip(SKIP_1) | instid1(VALU_DEP_1)
	v_dual_add_f32 v33, v33, v66 :: v_dual_add_f32 v66, v67, v69
	v_mul_f32_e32 v67, v71, v55
	v_fmac_f32_e32 v67, v72, v54
	s_delay_alu instid0(VALU_DEP_4) | instskip(SKIP_3) | instid1(VALU_DEP_2)
	v_add_f32_e32 v64, v64, v58
	ds_load_2addr_b64 v[56:59], v43 offset0:96 offset1:112
	v_mul_f32_e32 v70, v72, v55
	v_add_f32_e32 v61, v61, v67
	v_fma_f32 v69, v71, v54, -v70
	v_mul_f32_e32 v70, v83, v55
	s_delay_alu instid0(VALU_DEP_1) | instskip(NEXT) | instid1(VALU_DEP_1)
	v_fmac_f32_e32 v70, v84, v54
	v_add_f32_e32 v33, v33, v70
	v_fma_f32 v68, v83, v52, -v68
	v_dual_add_f32 v62, v62, v69 :: v_dual_mul_f32 v69, v84, v55
	s_wait_dscnt 0x0
	s_delay_alu instid0(VALU_DEP_2) | instskip(NEXT) | instid1(VALU_DEP_2)
	v_dual_add_f32 v67, v60, v68 :: v_dual_mul_f32 v60, v74, v57
	v_fma_f32 v52, v83, v54, -v69
	v_mul_f32_e32 v69, v74, v59
	s_delay_alu instid0(VALU_DEP_3) | instskip(NEXT) | instid1(VALU_DEP_3)
	v_fma_f32 v60, v73, v56, -v60
	v_dual_add_f32 v68, v63, v52 :: v_dual_mul_f32 v63, v73, v57
	s_delay_alu instid0(VALU_DEP_3) | instskip(NEXT) | instid1(VALU_DEP_3)
	v_fma_f32 v69, v73, v58, -v69
	v_add_f32_e32 v66, v66, v60
	v_mul_f32_e32 v60, v86, v57
	s_delay_alu instid0(VALU_DEP_4)
	v_dual_fmac_f32 v63, v74, v56 :: v_dual_add_f32 v64, v64, v53
	ds_load_2addr_b64 v[52:55], v43 offset0:128 offset1:144
	v_mul_f32_e32 v57, v85, v57
	v_mul_f32_e32 v70, v73, v59
	v_fma_f32 v71, v85, v56, -v60
	v_mul_f32_e32 v72, v86, v59
	v_add_f32_e32 v65, v65, v63
	v_fmac_f32_e32 v57, v86, v56
	s_delay_alu instid0(VALU_DEP_4) | instskip(SKIP_3) | instid1(VALU_DEP_3)
	v_dual_fmac_f32 v70, v74, v58 :: v_dual_add_f32 v71, v67, v71
	v_mul_f32_e32 v67, v85, v59
	v_add_f32_e32 v69, v62, v69
	v_fma_f32 v56, v85, v58, -v72
	v_dual_add_f32 v72, v64, v57 :: v_dual_fmac_f32 v67, v86, v58
	s_delay_alu instid0(VALU_DEP_1) | instskip(SKIP_4) | instid1(VALU_DEP_3)
	v_dual_add_f32 v68, v68, v56 :: v_dual_add_f32 v33, v33, v67
	s_wait_dscnt 0x0
	v_mul_f32_e32 v59, v76, v53
	v_mul_f32_e32 v79, v75, v55
	v_mul_f32_e32 v64, v75, v53
	v_fma_f32 v73, v75, v52, -v59
	v_add_f32_e32 v70, v61, v70
	ds_load_b128 v[60:63], v44 offset:4128
	ds_load_2addr_b64 v[56:59], v43 offset0:160 offset1:176
	v_mul_f32_e32 v74, v76, v55
	v_fmac_f32_e32 v79, v76, v54
	v_add_f32_e32 v73, v66, v73
	s_delay_alu instid0(VALU_DEP_3) | instskip(NEXT) | instid1(VALU_DEP_1)
	v_fma_f32 v74, v75, v54, -v74
	v_dual_fmac_f32 v64, v76, v52 :: v_dual_add_f32 v69, v69, v74
	s_delay_alu instid0(VALU_DEP_1)
	v_add_f32_e32 v80, v65, v64
	ds_load_b128 v[64:67], v44 offset:4144
	s_wait_dscnt 0x2
	v_mul_f32_e32 v75, v61, v53
	v_dual_mul_f32 v53, v60, v53 :: v_dual_mul_f32 v74, v61, v55
	s_wait_dscnt 0x1
	v_dual_mul_f32 v76, v60, v55 :: v_dual_mul_f32 v55, v78, v57
	s_delay_alu instid0(VALU_DEP_3) | instskip(NEXT) | instid1(VALU_DEP_3)
	v_fma_f32 v75, v60, v52, -v75
	v_fmac_f32_e32 v53, v61, v52
	v_fma_f32 v52, v60, v54, -v74
	v_add_f32_e32 v70, v70, v79
	s_delay_alu instid0(VALU_DEP_3)
	v_dual_add_f32 v60, v71, v75 :: v_dual_add_f32 v71, v72, v53
	v_fma_f32 v72, v77, v56, -v55
	v_dual_mul_f32 v75, v63, v57 :: v_dual_fmac_f32 v76, v61, v54
	v_add_f32_e32 v61, v68, v52
	ds_load_2addr_b64 v[52:55], v43 offset0:192 offset1:208
	v_add_f32_e32 v72, v73, v72
	v_mul_f32_e32 v73, v77, v59
	v_mul_f32_e32 v68, v77, v57
	v_mul_f32_e32 v57, v62, v57
	v_dual_mul_f32 v74, v78, v59 :: v_dual_add_f32 v33, v33, v76
	s_delay_alu instid0(VALU_DEP_4) | instskip(NEXT) | instid1(VALU_DEP_3)
	v_fmac_f32_e32 v73, v78, v58
	v_fmac_f32_e32 v57, v63, v56
	s_delay_alu instid0(VALU_DEP_3) | instskip(SKIP_1) | instid1(VALU_DEP_4)
	v_fma_f32 v74, v77, v58, -v74
	v_fmac_f32_e32 v68, v78, v56
	v_add_f32_e32 v70, v70, v73
	v_mul_f32_e32 v73, v62, v59
	v_add_f32_e32 v71, v71, v57
	v_add_f32_e32 v69, v69, v74
	v_fma_f32 v74, v62, v56, -v75
	v_mul_f32_e32 v56, v63, v59
	v_dual_fmac_f32 v73, v63, v58 :: v_dual_add_f32 v68, v80, v68
	s_wait_dscnt 0x0
	v_mul_f32_e32 v63, v0, v53
	v_add_f32_e32 v60, v60, v74
	v_fma_f32 v62, v62, v58, -v56
	v_mul_f32_e32 v74, v1, v53
	ds_load_2addr_b64 v[56:59], v43 offset0:224 offset1:240
	v_fmac_f32_e32 v63, v1, v52
	v_mul_f32_e32 v75, v0, v55
	v_add_f32_e32 v61, v61, v62
	v_fma_f32 v62, v0, v52, -v74
	v_mul_f32_e32 v74, v1, v55
	v_add_f32_e32 v33, v33, v73
	v_fmac_f32_e32 v75, v1, v54
	v_mul_f32_e32 v1, v65, v53
	v_mul_f32_e32 v53, v64, v53
	v_fma_f32 v0, v0, v54, -v74
	v_add_f32_e32 v72, v72, v62
	v_mul_f32_e32 v62, v65, v55
	s_delay_alu instid0(VALU_DEP_4) | instskip(NEXT) | instid1(VALU_DEP_4)
	v_dual_add_f32 v68, v68, v63 :: v_dual_fmac_f32 v53, v65, v52
	v_dual_add_f32 v0, v69, v0 :: v_dual_add_f32 v69, v70, v75
	s_wait_dscnt 0x0
	v_dual_mul_f32 v70, v64, v55 :: v_dual_mul_f32 v55, v3, v57
	v_mul_f32_e32 v74, v3, v59
	v_fma_f32 v1, v64, v52, -v1
	v_fma_f32 v52, v64, v54, -v62
	s_delay_alu instid0(VALU_DEP_4) | instskip(NEXT) | instid1(VALU_DEP_3)
	v_fmac_f32_e32 v70, v65, v54
	v_add_f32_e32 v64, v60, v1
	v_fma_f32 v1, v2, v56, -v55
	s_delay_alu instid0(VALU_DEP_4) | instskip(NEXT) | instid1(VALU_DEP_4)
	v_add_f32_e32 v65, v61, v52
	v_dual_add_f32 v33, v33, v70 :: v_dual_mul_f32 v70, v2, v59
	v_add_f32_e32 v73, v71, v53
	v_mul_f32_e32 v71, v2, v57
	ds_load_b128 v[52:55], v44 offset:64
	ds_load_2addr_b64 v[60:63], v47 offset1:16
	v_add_f32_e32 v72, v72, v1
	v_fma_f32 v1, v2, v58, -v74
	v_mul_f32_e32 v2, v67, v57
	v_fmac_f32_e32 v70, v3, v58
	v_fmac_f32_e32 v71, v3, v56
	s_delay_alu instid0(VALU_DEP_2) | instskip(NEXT) | instid1(VALU_DEP_2)
	v_dual_add_f32 v75, v0, v1 :: v_dual_add_f32 v76, v69, v70
	v_add_f32_e32 v74, v68, v71
	v_fma_f32 v68, v66, v56, -v2
	v_mul_f32_e32 v71, v67, v59
	ds_load_b128 v[0:3], v44 offset:4160
	v_dual_add_f32 v77, v64, v68 :: v_dual_mul_f32 v64, v66, v59
	v_mul_f32_e32 v57, v66, v57
	s_wait_dscnt 0x1
	v_mul_f32_e32 v59, v53, v61
	s_delay_alu instid0(VALU_DEP_3) | instskip(NEXT) | instid1(VALU_DEP_3)
	v_dual_mul_f32 v79, v52, v63 :: v_dual_fmac_f32 v64, v67, v58
	v_fmac_f32_e32 v57, v67, v56
	v_fma_f32 v56, v66, v58, -v71
	s_delay_alu instid0(VALU_DEP_3)
	v_dual_mul_f32 v66, v52, v61 :: v_dual_fmac_f32 v79, v53, v62
	ds_load_b128 v[68:71], v44 offset:80
	v_add_f32_e32 v78, v65, v56
	v_fma_f32 v65, v52, v60, -v59
	v_fmac_f32_e32 v66, v53, v60
	v_add_f32_e32 v76, v76, v79
	s_wait_dscnt 0x1
	v_dual_mul_f32 v80, v1, v61 :: v_dual_mul_f32 v79, v0, v63
	v_add_f32_e32 v72, v72, v65
	v_add_f32_e32 v73, v73, v57
	ds_load_2addr_b64 v[56:59], v47 offset0:32 offset1:48
	v_mul_f32_e32 v67, v53, v63
	v_mul_f32_e32 v53, v0, v61
	;; [unrolled: 1-line block ×3, first 2 shown]
	v_fmac_f32_e32 v79, v1, v62
	v_add_f32_e32 v33, v33, v64
	v_fma_f32 v52, v52, v62, -v67
	v_add_f32_e32 v74, v74, v66
	ds_load_b128 v[64:67], v44 offset:4176
	v_add_f32_e32 v52, v75, v52
	v_fma_f32 v75, v0, v60, -v80
	v_fmac_f32_e32 v53, v1, v60
	s_delay_alu instid0(VALU_DEP_1) | instskip(SKIP_2) | instid1(VALU_DEP_1)
	v_add_f32_e32 v53, v73, v53
	s_wait_dscnt 0x1
	v_mul_f32_e32 v60, v55, v57
	v_fma_f32 v1, v54, v56, -v60
	s_delay_alu instid0(VALU_DEP_1) | instskip(SKIP_4) | instid1(VALU_DEP_1)
	v_add_f32_e32 v72, v72, v1
	v_fma_f32 v0, v0, v62, -v61
	ds_load_2addr_b64 v[60:63], v47 offset0:64 offset1:80
	v_add_f32_e32 v73, v78, v0
	v_mul_f32_e32 v0, v54, v57
	v_dual_mul_f32 v1, v54, v59 :: v_dual_fmac_f32 v0, v55, v56
	v_add_f32_e32 v75, v77, v75
	s_delay_alu instid0(VALU_DEP_2) | instskip(NEXT) | instid1(VALU_DEP_1)
	v_dual_mul_f32 v77, v55, v59 :: v_dual_add_f32 v74, v74, v0
	v_fma_f32 v54, v54, v58, -v77
	v_mul_f32_e32 v77, v3, v57
	s_delay_alu instid0(VALU_DEP_2) | instskip(SKIP_1) | instid1(VALU_DEP_3)
	v_dual_mul_f32 v57, v2, v57 :: v_dual_add_f32 v52, v52, v54
	v_mul_f32_e32 v54, v3, v59
	v_fma_f32 v0, v2, v56, -v77
	s_delay_alu instid0(VALU_DEP_3) | instskip(NEXT) | instid1(VALU_DEP_3)
	v_dual_fmac_f32 v57, v3, v56 :: v_dual_mul_f32 v56, v2, v59
	v_fma_f32 v54, v2, v58, -v54
	s_delay_alu instid0(VALU_DEP_3) | instskip(NEXT) | instid1(VALU_DEP_3)
	v_add_f32_e32 v59, v75, v0
	v_add_f32_e32 v53, v53, v57
	s_wait_dscnt 0x0
	v_dual_mul_f32 v57, v69, v61 :: v_dual_fmac_f32 v56, v3, v58
	v_add_f32_e32 v54, v73, v54
	v_dual_fmac_f32 v1, v55, v58 :: v_dual_mul_f32 v58, v68, v61
	s_delay_alu instid0(VALU_DEP_3) | instskip(SKIP_2) | instid1(VALU_DEP_4)
	v_fma_f32 v57, v68, v60, -v57
	v_add_f32_e32 v33, v33, v79
	v_mul_f32_e32 v73, v69, v63
	v_dual_mul_f32 v75, v68, v63 :: v_dual_fmac_f32 v58, v69, v60
	s_delay_alu instid0(VALU_DEP_3) | instskip(NEXT) | instid1(VALU_DEP_3)
	v_dual_add_f32 v72, v72, v57 :: v_dual_add_f32 v33, v33, v56
	v_fma_f32 v56, v68, v62, -v73
	s_delay_alu instid0(VALU_DEP_3) | instskip(SKIP_4) | instid1(VALU_DEP_1)
	v_dual_mul_f32 v57, v65, v61 :: v_dual_add_f32 v68, v74, v58
	v_mul_f32_e32 v58, v64, v61
	v_add_f32_e32 v55, v76, v1
	ds_load_2addr_b64 v[0:3], v47 offset0:96 offset1:112
	v_fmac_f32_e32 v75, v69, v62
	v_dual_fmac_f32 v58, v65, v60 :: v_dual_add_f32 v69, v55, v75
	v_fma_f32 v55, v64, v60, -v57
	v_mul_f32_e32 v60, v64, v63
	s_delay_alu instid0(VALU_DEP_1) | instskip(SKIP_1) | instid1(VALU_DEP_1)
	v_fmac_f32_e32 v60, v65, v62
	s_wait_dscnt 0x0
	v_dual_add_f32 v33, v33, v60 :: v_dual_mul_f32 v60, v70, v3
	v_dual_add_f32 v61, v52, v56 :: v_dual_mul_f32 v52, v65, v63
	v_mul_f32_e32 v56, v71, v1
	v_mul_f32_e32 v74, v71, v3
	s_delay_alu instid0(VALU_DEP_4) | instskip(NEXT) | instid1(VALU_DEP_4)
	v_dual_fmac_f32 v60, v71, v2 :: v_dual_mul_f32 v63, v70, v1
	v_fma_f32 v52, v64, v62, -v52
	s_delay_alu instid0(VALU_DEP_4) | instskip(NEXT) | instid1(VALU_DEP_2)
	v_fma_f32 v62, v70, v0, -v56
	v_dual_add_f32 v64, v59, v55 :: v_dual_add_f32 v65, v54, v52
	s_delay_alu instid0(VALU_DEP_2)
	v_dual_add_f32 v72, v72, v62 :: v_dual_fmac_f32 v63, v71, v0
	v_add_f32_e32 v73, v53, v58
	ds_load_b128 v[52:55], v44 offset:96
	ds_load_2addr_b64 v[56:59], v47 offset0:128 offset1:144
	v_fma_f32 v62, v70, v2, -v74
	v_mul_f32_e32 v70, v67, v1
	v_add_f32_e32 v74, v68, v63
	s_delay_alu instid0(VALU_DEP_2) | instskip(NEXT) | instid1(VALU_DEP_1)
	v_fma_f32 v68, v66, v0, -v70
	v_dual_mul_f32 v70, v67, v3 :: v_dual_add_f32 v77, v64, v68
	v_mul_f32_e32 v64, v66, v3
	s_delay_alu instid0(VALU_DEP_1) | instskip(NEXT) | instid1(VALU_DEP_1)
	v_dual_mul_f32 v1, v66, v1 :: v_dual_fmac_f32 v64, v67, v2
	v_fmac_f32_e32 v1, v67, v0
	s_delay_alu instid0(VALU_DEP_4)
	v_fma_f32 v0, v66, v2, -v70
	s_wait_dscnt 0x0
	v_mul_f32_e32 v79, v52, v59
	v_mul_f32_e32 v66, v52, v57
	v_add_f32_e32 v76, v69, v60
	ds_load_b128 v[68:71], v44 offset:112
	v_add_f32_e32 v78, v65, v0
	v_fmac_f32_e32 v79, v53, v58
	v_add_f32_e32 v75, v61, v62
	ds_load_b128 v[60:63], v44 offset:4192
	v_fmac_f32_e32 v66, v53, v56
	v_mul_f32_e32 v67, v53, v59
	v_dual_add_f32 v76, v76, v79 :: v_dual_mul_f32 v3, v53, v57
	s_delay_alu instid0(VALU_DEP_1) | instskip(NEXT) | instid1(VALU_DEP_3)
	v_fma_f32 v65, v52, v56, -v3
	v_fma_f32 v52, v52, v58, -v67
	s_delay_alu instid0(VALU_DEP_2) | instskip(SKIP_1) | instid1(VALU_DEP_2)
	v_add_f32_e32 v72, v72, v65
	s_wait_dscnt 0x0
	v_dual_add_f32 v52, v75, v52 :: v_dual_mul_f32 v53, v60, v57
	v_dual_add_f32 v74, v74, v66 :: v_dual_add_f32 v73, v73, v1
	ds_load_2addr_b64 v[0:3], v47 offset0:160 offset1:176
	v_mul_f32_e32 v80, v61, v57
	v_mul_f32_e32 v57, v61, v59
	v_fmac_f32_e32 v53, v61, v56
	v_mul_f32_e32 v79, v60, v59
	v_add_f32_e32 v33, v33, v64
	v_fma_f32 v75, v60, v56, -v80
	v_fma_f32 v56, v60, v58, -v57
	ds_load_b128 v[64:67], v44 offset:4208
	v_fmac_f32_e32 v79, v61, v58
	v_dual_add_f32 v60, v77, v75 :: v_dual_add_f32 v61, v78, v56
	s_wait_dscnt 0x1
	v_mul_f32_e32 v57, v55, v1
	s_delay_alu instid0(VALU_DEP_1)
	v_fma_f32 v75, v54, v0, -v57
	ds_load_2addr_b64 v[56:59], v47 offset0:192 offset1:208
	v_mul_f32_e32 v77, v55, v3
	v_dual_add_f32 v72, v72, v75 :: v_dual_add_f32 v53, v73, v53
	v_mul_f32_e32 v73, v54, v1
	v_mul_f32_e32 v75, v54, v3
	s_delay_alu instid0(VALU_DEP_4)
	v_fma_f32 v54, v54, v2, -v77
	v_mul_f32_e32 v77, v63, v1
	v_mul_f32_e32 v1, v62, v1
	v_fmac_f32_e32 v73, v55, v0
	v_fmac_f32_e32 v75, v55, v2
	v_add_f32_e32 v52, v52, v54
	v_fma_f32 v54, v62, v0, -v77
	v_fmac_f32_e32 v1, v63, v0
	v_dual_mul_f32 v0, v63, v3 :: v_dual_add_f32 v73, v74, v73
	v_mul_f32_e32 v74, v62, v3
	s_delay_alu instid0(VALU_DEP_4) | instskip(NEXT) | instid1(VALU_DEP_3)
	v_add_f32_e32 v54, v60, v54
	v_fma_f32 v60, v62, v2, -v0
	s_wait_dscnt 0x0
	v_mul_f32_e32 v62, v69, v57
	v_dual_fmac_f32 v74, v63, v2 :: v_dual_mul_f32 v63, v68, v57
	s_delay_alu instid0(VALU_DEP_3) | instskip(NEXT) | instid1(VALU_DEP_3)
	v_add_f32_e32 v60, v61, v60
	v_fma_f32 v61, v68, v56, -v62
	v_mul_f32_e32 v62, v69, v59
	s_delay_alu instid0(VALU_DEP_4) | instskip(NEXT) | instid1(VALU_DEP_2)
	v_fmac_f32_e32 v63, v69, v56
	v_fma_f32 v62, v68, v58, -v62
	s_delay_alu instid0(VALU_DEP_1) | instskip(SKIP_4) | instid1(VALU_DEP_2)
	v_dual_add_f32 v62, v52, v62 :: v_dual_add_f32 v53, v53, v1
	ds_load_2addr_b64 v[0:3], v47 offset0:224 offset1:240
	v_add_f32_e32 v55, v76, v75
	v_dual_mul_f32 v75, v68, v59 :: v_dual_mul_f32 v68, v65, v57
	v_dual_mul_f32 v57, v64, v57 :: v_dual_mul_f32 v52, v65, v59
	v_fmac_f32_e32 v75, v69, v58
	s_delay_alu instid0(VALU_DEP_2) | instskip(NEXT) | instid1(VALU_DEP_3)
	v_fmac_f32_e32 v57, v65, v56
	v_fma_f32 v52, v64, v58, -v52
	s_delay_alu instid0(VALU_DEP_3) | instskip(SKIP_3) | instid1(VALU_DEP_3)
	v_add_f32_e32 v69, v55, v75
	v_fma_f32 v55, v64, v56, -v68
	v_mul_f32_e32 v68, v64, v59
	v_add_f32_e32 v33, v33, v79
	v_add_f32_e32 v64, v54, v55
	s_delay_alu instid0(VALU_DEP_3) | instskip(SKIP_1) | instid1(VALU_DEP_3)
	v_fmac_f32_e32 v68, v65, v58
	s_wait_dscnt 0x0
	v_dual_mul_f32 v56, v71, v1 :: v_dual_add_f32 v33, v33, v74
	v_add_f32_e32 v65, v60, v52
	v_dual_add_f32 v61, v72, v61 :: v_dual_mul_f32 v74, v71, v3
	s_delay_alu instid0(VALU_DEP_3) | instskip(NEXT) | instid1(VALU_DEP_4)
	v_fma_f32 v60, v70, v0, -v56
	v_dual_add_f32 v33, v33, v68 :: v_dual_mul_f32 v68, v70, v3
	s_delay_alu instid0(VALU_DEP_2) | instskip(NEXT) | instid1(VALU_DEP_4)
	v_add_f32_e32 v75, v61, v60
	v_fma_f32 v60, v70, v2, -v74
	v_mul_f32_e32 v61, v67, v1
	s_delay_alu instid0(VALU_DEP_4) | instskip(NEXT) | instid1(VALU_DEP_3)
	v_fmac_f32_e32 v68, v71, v2
	v_add_f32_e32 v74, v62, v60
	v_add_f32_e32 v72, v53, v57
	ds_load_b128 v[52:55], v44 offset:128
	ds_load_2addr_b64 v[56:59], v48 offset1:16
	v_add_f32_e32 v63, v73, v63
	v_mul_f32_e32 v73, v70, v1
	v_fma_f32 v70, v66, v0, -v61
	v_dual_mul_f32 v1, v66, v1 :: v_dual_add_f32 v76, v69, v68
	s_delay_alu instid0(VALU_DEP_3) | instskip(SKIP_1) | instid1(VALU_DEP_4)
	v_fmac_f32_e32 v73, v71, v0
	v_mul_f32_e32 v71, v67, v3
	v_dual_add_f32 v77, v64, v70 :: v_dual_mul_f32 v64, v66, v3
	s_delay_alu instid0(VALU_DEP_4) | instskip(NEXT) | instid1(VALU_DEP_3)
	v_fmac_f32_e32 v1, v67, v0
	v_fma_f32 v0, v66, v2, -v71
	ds_load_b128 v[68:71], v44 offset:144
	v_fmac_f32_e32 v64, v67, v2
	v_add_f32_e32 v72, v72, v1
	v_add_f32_e32 v78, v65, v0
	s_wait_dscnt 0x1
	v_mul_f32_e32 v3, v53, v57
	v_dual_mul_f32 v67, v53, v59 :: v_dual_mul_f32 v66, v52, v57
	v_mul_f32_e32 v79, v52, v59
	s_delay_alu instid0(VALU_DEP_3) | instskip(NEXT) | instid1(VALU_DEP_3)
	v_fma_f32 v65, v52, v56, -v3
	v_fma_f32 v52, v52, v58, -v67
	ds_load_2addr_b64 v[0:3], v48 offset0:32 offset1:48
	v_fmac_f32_e32 v66, v53, v56
	v_dual_fmac_f32 v79, v53, v58 :: v_dual_add_f32 v52, v74, v52
	v_add_f32_e32 v73, v63, v73
	ds_load_b128 v[60:63], v44 offset:4224
	v_add_f32_e32 v76, v76, v79
	s_wait_dscnt 0x0
	v_mul_f32_e32 v80, v61, v57
	v_mul_f32_e32 v53, v60, v57
	v_mul_f32_e32 v57, v61, v59
	v_mul_f32_e32 v79, v60, v59
	s_delay_alu instid0(VALU_DEP_4) | instskip(NEXT) | instid1(VALU_DEP_4)
	v_fma_f32 v74, v60, v56, -v80
	v_fmac_f32_e32 v53, v61, v56
	s_delay_alu instid0(VALU_DEP_4) | instskip(SKIP_3) | instid1(VALU_DEP_4)
	v_fma_f32 v56, v60, v58, -v57
	v_mul_f32_e32 v57, v55, v1
	v_fmac_f32_e32 v79, v61, v58
	v_dual_add_f32 v60, v77, v74 :: v_dual_mul_f32 v77, v55, v3
	v_add_f32_e32 v61, v78, v56
	s_delay_alu instid0(VALU_DEP_4) | instskip(SKIP_4) | instid1(VALU_DEP_3)
	v_fma_f32 v74, v54, v0, -v57
	ds_load_2addr_b64 v[56:59], v48 offset0:64 offset1:80
	v_add_f32_e32 v75, v75, v65
	v_add_f32_e32 v53, v72, v53
	v_mul_f32_e32 v72, v54, v1
	v_dual_add_f32 v74, v75, v74 :: v_dual_mul_f32 v75, v54, v3
	v_fma_f32 v54, v54, v2, -v77
	v_mul_f32_e32 v77, v63, v1
	s_delay_alu instid0(VALU_DEP_4) | instskip(NEXT) | instid1(VALU_DEP_3)
	v_dual_fmac_f32 v72, v55, v0 :: v_dual_mul_f32 v1, v62, v1
	v_dual_add_f32 v33, v33, v64 :: v_dual_add_f32 v52, v52, v54
	s_delay_alu instid0(VALU_DEP_3) | instskip(SKIP_1) | instid1(VALU_DEP_4)
	v_fma_f32 v54, v62, v0, -v77
	v_fmac_f32_e32 v75, v55, v2
	v_fmac_f32_e32 v1, v63, v0
	v_mul_f32_e32 v0, v63, v3
	s_delay_alu instid0(VALU_DEP_4)
	v_add_f32_e32 v54, v60, v54
	v_add_f32_e32 v73, v73, v66
	ds_load_b128 v[64:67], v44 offset:4240
	v_add_f32_e32 v53, v53, v1
	v_fma_f32 v60, v62, v2, -v0
	v_dual_add_f32 v55, v76, v75 :: v_dual_add_f32 v72, v73, v72
	s_wait_dscnt 0x1
	v_dual_mul_f32 v73, v62, v3 :: v_dual_mul_f32 v62, v69, v57
	s_delay_alu instid0(VALU_DEP_3) | instskip(NEXT) | instid1(VALU_DEP_2)
	v_dual_add_f32 v60, v61, v60 :: v_dual_mul_f32 v75, v68, v59
	v_fmac_f32_e32 v73, v63, v2
	ds_load_2addr_b64 v[0:3], v48 offset0:96 offset1:112
	v_fma_f32 v61, v68, v56, -v62
	v_dual_mul_f32 v62, v69, v59 :: v_dual_mul_f32 v63, v68, v57
	v_fmac_f32_e32 v75, v69, v58
	s_delay_alu instid0(VALU_DEP_3) | instskip(NEXT) | instid1(VALU_DEP_3)
	v_add_f32_e32 v61, v74, v61
	v_fma_f32 v62, v68, v58, -v62
	s_delay_alu instid0(VALU_DEP_4)
	v_fmac_f32_e32 v63, v69, v56
	s_wait_dscnt 0x1
	v_mul_f32_e32 v68, v65, v57
	v_mul_f32_e32 v57, v64, v57
	v_dual_add_f32 v69, v55, v75 :: v_dual_add_f32 v62, v52, v62
	v_mul_f32_e32 v52, v65, v59
	s_delay_alu instid0(VALU_DEP_4) | instskip(NEXT) | instid1(VALU_DEP_4)
	v_fma_f32 v55, v64, v56, -v68
	v_dual_fmac_f32 v57, v65, v56 :: v_dual_mul_f32 v68, v64, v59
	v_add_f32_e32 v33, v33, v79
	s_delay_alu instid0(VALU_DEP_4)
	v_fma_f32 v52, v64, v58, -v52
	s_wait_dscnt 0x0
	v_dual_add_f32 v63, v72, v63 :: v_dual_mul_f32 v56, v71, v1
	v_add_f32_e32 v64, v54, v55
	v_add_f32_e32 v72, v53, v57
	v_dual_fmac_f32 v68, v65, v58 :: v_dual_add_f32 v65, v60, v52
	s_delay_alu instid0(VALU_DEP_4)
	v_fma_f32 v60, v70, v0, -v56
	ds_load_b128 v[52:55], v44 offset:160
	ds_load_2addr_b64 v[56:59], v48 offset0:128 offset1:144
	v_add_f32_e32 v33, v33, v73
	v_dual_mul_f32 v73, v70, v1 :: v_dual_mul_f32 v74, v71, v3
	v_add_f32_e32 v75, v61, v60
	v_mul_f32_e32 v61, v67, v1
	s_delay_alu instid0(VALU_DEP_4) | instskip(NEXT) | instid1(VALU_DEP_4)
	v_dual_add_f32 v33, v33, v68 :: v_dual_mul_f32 v68, v70, v3
	v_fmac_f32_e32 v73, v71, v0
	v_fma_f32 v60, v70, v2, -v74
	v_mul_f32_e32 v1, v66, v1
	v_fma_f32 v70, v66, v0, -v61
	v_fmac_f32_e32 v68, v71, v2
	v_mul_f32_e32 v71, v67, v3
	v_dual_add_f32 v73, v63, v73 :: v_dual_add_f32 v74, v62, v60
	v_fmac_f32_e32 v1, v67, v0
	ds_load_b128 v[60:63], v44 offset:4256
	v_add_f32_e32 v77, v64, v70
	v_fma_f32 v0, v66, v2, -v71
	s_wait_dscnt 0x1
	v_dual_mul_f32 v64, v66, v3 :: v_dual_mul_f32 v3, v53, v57
	v_add_f32_e32 v72, v72, v1
	v_mul_f32_e32 v66, v52, v57
	v_add_f32_e32 v78, v65, v0
	s_delay_alu instid0(VALU_DEP_4)
	v_fmac_f32_e32 v64, v67, v2
	v_fma_f32 v65, v52, v56, -v3
	ds_load_2addr_b64 v[0:3], v48 offset0:160 offset1:176
	v_mul_f32_e32 v67, v53, v59
	v_dual_mul_f32 v79, v52, v59 :: v_dual_add_f32 v76, v69, v68
	ds_load_b128 v[68:71], v44 offset:176
	v_fmac_f32_e32 v66, v53, v56
	v_fma_f32 v52, v52, v58, -v67
	v_fmac_f32_e32 v79, v53, v58
	v_add_f32_e32 v75, v75, v65
	s_wait_dscnt 0x2
	v_mul_f32_e32 v80, v61, v57
	v_mul_f32_e32 v53, v60, v57
	v_dual_mul_f32 v57, v61, v59 :: v_dual_add_f32 v52, v74, v52
	v_add_f32_e32 v76, v76, v79
	s_delay_alu instid0(VALU_DEP_4) | instskip(NEXT) | instid1(VALU_DEP_4)
	v_fma_f32 v74, v60, v56, -v80
	v_fmac_f32_e32 v53, v61, v56
	s_delay_alu instid0(VALU_DEP_4)
	v_fma_f32 v56, v60, v58, -v57
	v_mul_f32_e32 v79, v60, v59
	v_add_f32_e32 v73, v73, v66
	s_wait_dscnt 0x1
	v_dual_mul_f32 v57, v55, v1 :: v_dual_add_f32 v60, v77, v74
	v_add_f32_e32 v53, v72, v53
	v_dual_mul_f32 v72, v54, v1 :: v_dual_mul_f32 v77, v55, v3
	s_delay_alu instid0(VALU_DEP_3)
	v_fma_f32 v74, v54, v0, -v57
	v_fmac_f32_e32 v79, v61, v58
	v_add_f32_e32 v61, v78, v56
	ds_load_2addr_b64 v[56:59], v48 offset0:192 offset1:208
	v_fmac_f32_e32 v72, v55, v0
	v_dual_add_f32 v74, v75, v74 :: v_dual_mul_f32 v75, v54, v3
	v_fma_f32 v54, v54, v2, -v77
	v_mul_f32_e32 v77, v63, v1
	s_delay_alu instid0(VALU_DEP_4) | instskip(NEXT) | instid1(VALU_DEP_3)
	v_dual_mul_f32 v1, v62, v1 :: v_dual_add_f32 v72, v73, v72
	v_dual_mul_f32 v73, v62, v3 :: v_dual_add_f32 v52, v52, v54
	s_delay_alu instid0(VALU_DEP_3) | instskip(NEXT) | instid1(VALU_DEP_3)
	v_fma_f32 v54, v62, v0, -v77
	v_fmac_f32_e32 v1, v63, v0
	v_mul_f32_e32 v0, v63, v3
	v_fmac_f32_e32 v75, v55, v2
	v_fmac_f32_e32 v73, v63, v2
	s_delay_alu instid0(VALU_DEP_4) | instskip(NEXT) | instid1(VALU_DEP_4)
	v_dual_add_f32 v54, v60, v54 :: v_dual_add_f32 v53, v53, v1
	v_fma_f32 v60, v62, v2, -v0
	ds_load_2addr_b64 v[0:3], v48 offset0:224 offset1:240
	s_wait_dscnt 0x1
	v_dual_add_f32 v55, v76, v75 :: v_dual_mul_f32 v62, v69, v57
	v_dual_mul_f32 v75, v68, v59 :: v_dual_add_f32 v60, v61, v60
	v_mul_f32_e32 v63, v68, v57
	s_delay_alu instid0(VALU_DEP_3) | instskip(SKIP_1) | instid1(VALU_DEP_4)
	v_fma_f32 v61, v68, v56, -v62
	v_mul_f32_e32 v62, v69, v59
	v_fmac_f32_e32 v75, v69, v58
	s_delay_alu instid0(VALU_DEP_4) | instskip(NEXT) | instid1(VALU_DEP_4)
	v_fmac_f32_e32 v63, v69, v56
	v_add_f32_e32 v61, v74, v61
	s_delay_alu instid0(VALU_DEP_4) | instskip(NEXT) | instid1(VALU_DEP_4)
	v_fma_f32 v62, v68, v58, -v62
	v_add_f32_e32 v69, v55, v75
	s_delay_alu instid0(VALU_DEP_4) | instskip(NEXT) | instid1(VALU_DEP_3)
	v_add_f32_e32 v63, v72, v63
	v_add_f32_e32 v62, v52, v62
	s_wait_dscnt 0x0
	v_dual_mul_f32 v74, v71, v3 :: v_dual_add_f32 v33, v33, v64
	ds_load_b128 v[64:67], v44 offset:4272
	v_add_f32_e32 v33, v33, v79
	s_delay_alu instid0(VALU_DEP_1) | instskip(SKIP_2) | instid1(VALU_DEP_1)
	v_add_f32_e32 v33, v33, v73
	v_mul_f32_e32 v73, v70, v1
	s_wait_dscnt 0x0
	v_dual_fmac_f32 v73, v71, v0 :: v_dual_mul_f32 v68, v65, v57
	v_dual_mul_f32 v57, v64, v57 :: v_dual_mul_f32 v52, v65, v59
	s_delay_alu instid0(VALU_DEP_2) | instskip(NEXT) | instid1(VALU_DEP_3)
	v_add_f32_e32 v73, v63, v73
	v_fma_f32 v55, v64, v56, -v68
	s_delay_alu instid0(VALU_DEP_3) | instskip(NEXT) | instid1(VALU_DEP_4)
	v_dual_fmac_f32 v57, v65, v56 :: v_dual_mul_f32 v68, v64, v59
	v_fma_f32 v52, v64, v58, -v52
	v_mul_f32_e32 v56, v71, v1
	s_delay_alu instid0(VALU_DEP_4) | instskip(NEXT) | instid1(VALU_DEP_4)
	v_add_f32_e32 v64, v54, v55
	v_add_f32_e32 v72, v53, v57
	s_delay_alu instid0(VALU_DEP_4) | instskip(NEXT) | instid1(VALU_DEP_4)
	v_dual_fmac_f32 v68, v65, v58 :: v_dual_add_f32 v65, v60, v52
	v_fma_f32 v60, v70, v0, -v56
	ds_load_b128 v[52:55], v44 offset:192
	ds_load_2addr_b64 v[56:59], v49 offset1:16
	v_dual_add_f32 v33, v33, v68 :: v_dual_mul_f32 v68, v70, v3
	v_add_f32_e32 v75, v61, v60
	v_mul_f32_e32 v61, v67, v1
	v_fma_f32 v60, v70, v2, -v74
	s_delay_alu instid0(VALU_DEP_4) | instskip(SKIP_1) | instid1(VALU_DEP_4)
	v_dual_mul_f32 v1, v66, v1 :: v_dual_fmac_f32 v68, v71, v2
	v_mul_f32_e32 v71, v67, v3
	v_fma_f32 v70, v66, v0, -v61
	s_delay_alu instid0(VALU_DEP_4) | instskip(NEXT) | instid1(VALU_DEP_4)
	v_add_f32_e32 v74, v62, v60
	v_fmac_f32_e32 v1, v67, v0
	ds_load_b128 v[60:63], v44 offset:4288
	v_fma_f32 v0, v66, v2, -v71
	v_dual_add_f32 v77, v64, v70 :: v_dual_mul_f32 v64, v66, v3
	v_add_f32_e32 v72, v72, v1
	v_add_f32_e32 v76, v69, v68
	s_delay_alu instid0(VALU_DEP_4) | instskip(SKIP_4) | instid1(VALU_DEP_3)
	v_add_f32_e32 v78, v65, v0
	s_wait_dscnt 0x1
	v_dual_mul_f32 v3, v53, v57 :: v_dual_fmac_f32 v64, v67, v2
	v_dual_mul_f32 v66, v52, v57 :: v_dual_mul_f32 v67, v53, v59
	v_mul_f32_e32 v79, v52, v59
	v_fma_f32 v65, v52, v56, -v3
	ds_load_2addr_b64 v[0:3], v49 offset0:32 offset1:48
	ds_load_b128 v[68:71], v44 offset:208
	v_fmac_f32_e32 v66, v53, v56
	v_fma_f32 v52, v52, v58, -v67
	v_fmac_f32_e32 v79, v53, v58
	v_add_f32_e32 v75, v75, v65
	v_add_f32_e32 v33, v33, v64
	s_wait_dscnt 0x2
	v_mul_f32_e32 v80, v61, v57
	v_mul_f32_e32 v53, v60, v57
	v_dual_mul_f32 v57, v61, v59 :: v_dual_add_f32 v52, v74, v52
	v_add_f32_e32 v76, v76, v79
	s_delay_alu instid0(VALU_DEP_4) | instskip(NEXT) | instid1(VALU_DEP_4)
	v_fma_f32 v74, v60, v56, -v80
	v_fmac_f32_e32 v53, v61, v56
	v_mul_f32_e32 v79, v60, v59
	v_fma_f32 v56, v60, v58, -v57
	v_add_f32_e32 v73, v73, v66
	s_delay_alu instid0(VALU_DEP_4) | instskip(NEXT) | instid1(VALU_DEP_4)
	v_dual_add_f32 v60, v77, v74 :: v_dual_add_f32 v53, v72, v53
	v_fmac_f32_e32 v79, v61, v58
	s_wait_dscnt 0x1
	v_mul_f32_e32 v57, v55, v1
	v_add_f32_e32 v61, v78, v56
	v_dual_mul_f32 v72, v54, v1 :: v_dual_mul_f32 v77, v55, v3
	ds_load_b128 v[64:67], v44 offset:4304
	v_fma_f32 v74, v54, v0, -v57
	ds_load_2addr_b64 v[56:59], v49 offset0:64 offset1:80
	v_dual_fmac_f32 v72, v55, v0 :: v_dual_add_f32 v33, v33, v79
	v_dual_add_f32 v74, v75, v74 :: v_dual_mul_f32 v75, v54, v3
	v_fma_f32 v54, v54, v2, -v77
	v_mul_f32_e32 v77, v63, v1
	s_delay_alu instid0(VALU_DEP_4) | instskip(NEXT) | instid1(VALU_DEP_3)
	v_dual_mul_f32 v1, v62, v1 :: v_dual_add_f32 v72, v73, v72
	v_dual_mul_f32 v73, v62, v3 :: v_dual_add_f32 v52, v52, v54
	s_delay_alu instid0(VALU_DEP_3) | instskip(NEXT) | instid1(VALU_DEP_3)
	v_fma_f32 v54, v62, v0, -v77
	v_fmac_f32_e32 v1, v63, v0
	v_mul_f32_e32 v0, v63, v3
	v_fmac_f32_e32 v75, v55, v2
	v_fmac_f32_e32 v73, v63, v2
	s_delay_alu instid0(VALU_DEP_4) | instskip(NEXT) | instid1(VALU_DEP_4)
	v_dual_add_f32 v54, v60, v54 :: v_dual_add_f32 v53, v53, v1
	v_fma_f32 v60, v62, v2, -v0
	s_wait_dscnt 0x0
	v_mul_f32_e32 v62, v69, v57
	ds_load_2addr_b64 v[0:3], v49 offset0:96 offset1:112
	v_add_f32_e32 v55, v76, v75
	v_dual_mul_f32 v75, v68, v59 :: v_dual_add_f32 v60, v61, v60
	v_fma_f32 v61, v68, v56, -v62
	v_dual_mul_f32 v62, v69, v59 :: v_dual_mul_f32 v63, v68, v57
	s_delay_alu instid0(VALU_DEP_3) | instskip(SKIP_1) | instid1(VALU_DEP_4)
	v_fmac_f32_e32 v75, v69, v58
	v_add_f32_e32 v33, v33, v73
	v_add_f32_e32 v61, v74, v61
	s_delay_alu instid0(VALU_DEP_4) | instskip(SKIP_3) | instid1(VALU_DEP_4)
	v_fma_f32 v62, v68, v58, -v62
	v_mul_f32_e32 v68, v65, v57
	v_mul_f32_e32 v57, v64, v57
	v_fmac_f32_e32 v63, v69, v56
	v_dual_add_f32 v69, v55, v75 :: v_dual_add_f32 v62, v52, v62
	v_mul_f32_e32 v52, v65, v59
	v_fma_f32 v55, v64, v56, -v68
	v_dual_fmac_f32 v57, v65, v56 :: v_dual_mul_f32 v68, v64, v59
	s_wait_dscnt 0x0
	v_mul_f32_e32 v56, v71, v1
	v_fma_f32 v52, v64, v58, -v52
	v_add_f32_e32 v63, v72, v63
	v_add_f32_e32 v64, v54, v55
	v_add_f32_e32 v72, v53, v57
	s_delay_alu instid0(VALU_DEP_4)
	v_dual_fmac_f32 v68, v65, v58 :: v_dual_add_f32 v65, v60, v52
	v_fma_f32 v60, v70, v0, -v56
	ds_load_b128 v[52:55], v44 offset:224
	ds_load_2addr_b64 v[56:59], v49 offset0:128 offset1:144
	v_dual_mul_f32 v73, v70, v1 :: v_dual_mul_f32 v74, v71, v3
	v_dual_add_f32 v33, v33, v68 :: v_dual_mul_f32 v68, v70, v3
	s_delay_alu instid0(VALU_DEP_2) | instskip(NEXT) | instid1(VALU_DEP_3)
	v_fmac_f32_e32 v73, v71, v0
	v_fma_f32 v70, v70, v2, -v74
	v_add_f32_e32 v74, v61, v60
	v_mul_f32_e32 v60, v67, v1
	v_fmac_f32_e32 v68, v71, v2
	v_add_f32_e32 v73, v63, v73
	v_add_f32_e32 v75, v62, v70
	v_mul_f32_e32 v1, v66, v1
	v_fma_f32 v70, v66, v0, -v60
	v_add_f32_e32 v76, v69, v68
	v_mul_f32_e32 v68, v67, v3
	ds_load_b128 v[60:63], v44 offset:4320
	v_fmac_f32_e32 v1, v67, v0
	v_dual_add_f32 v77, v64, v70 :: v_dual_mul_f32 v64, v66, v3
	v_fma_f32 v0, v66, v2, -v68
	s_wait_dscnt 0x1
	v_mul_f32_e32 v3, v53, v57
	v_add_f32_e32 v72, v72, v1
	v_mul_f32_e32 v66, v53, v59
	v_fmac_f32_e32 v64, v67, v2
	v_add_f32_e32 v78, v65, v0
	v_fma_f32 v65, v52, v56, -v3
	ds_load_2addr_b64 v[0:3], v49 offset0:160 offset1:176
	ds_load_b128 v[68:71], v44 offset:240
	v_mul_f32_e32 v79, v52, v57
	v_mul_f32_e32 v80, v52, v59
	v_fma_f32 v52, v52, v58, -v66
	v_dual_add_f32 v74, v74, v65 :: v_dual_add_f32 v33, v33, v64
	s_delay_alu instid0(VALU_DEP_4) | instskip(NEXT) | instid1(VALU_DEP_4)
	v_fmac_f32_e32 v79, v53, v56
	v_fmac_f32_e32 v80, v53, v58
	s_wait_dscnt 0x2
	v_mul_f32_e32 v81, v61, v57
	v_dual_mul_f32 v53, v60, v57 :: v_dual_add_f32 v52, v75, v52
	v_mul_f32_e32 v75, v61, v59
	v_add_f32_e32 v73, v73, v79
	s_delay_alu instid0(VALU_DEP_4) | instskip(NEXT) | instid1(VALU_DEP_4)
	v_fma_f32 v57, v60, v56, -v81
	v_fmac_f32_e32 v53, v61, v56
	v_mul_f32_e32 v79, v60, v59
	v_fma_f32 v56, v60, v58, -v75
	ds_load_b128 v[64:67], v44 offset:4336
	v_add_f32_e32 v77, v77, v57
	s_wait_dscnt 0x2
	v_mul_f32_e32 v57, v55, v1
	v_add_f32_e32 v53, v72, v53
	v_dual_fmac_f32 v79, v61, v58 :: v_dual_mul_f32 v60, v54, v1
	v_add_f32_e32 v61, v78, v56
	s_delay_alu instid0(VALU_DEP_4)
	v_fma_f32 v72, v54, v0, -v57
	ds_load_2addr_b64 v[56:59], v49 offset0:192 offset1:208
	v_mul_f32_e32 v75, v55, v3
	v_fmac_f32_e32 v60, v55, v0
	v_add_f32_e32 v76, v76, v80
	v_add_f32_e32 v72, v74, v72
	v_mul_f32_e32 v74, v54, v3
	v_fma_f32 v54, v54, v2, -v75
	v_dual_add_f32 v60, v73, v60 :: v_dual_mul_f32 v73, v63, v1
	s_delay_alu instid0(VALU_DEP_3) | instskip(NEXT) | instid1(VALU_DEP_3)
	v_dual_mul_f32 v1, v62, v1 :: v_dual_fmac_f32 v74, v55, v2
	v_add_f32_e32 v52, v52, v54
	v_mul_f32_e32 v54, v63, v3
	s_delay_alu instid0(VALU_DEP_4) | instskip(NEXT) | instid1(VALU_DEP_4)
	v_fma_f32 v55, v62, v0, -v73
	v_fmac_f32_e32 v1, v63, v0
	v_dual_add_f32 v73, v76, v74 :: v_dual_mul_f32 v74, v62, v3
	s_delay_alu instid0(VALU_DEP_4) | instskip(NEXT) | instid1(VALU_DEP_4)
	v_fma_f32 v0, v62, v2, -v54
	v_add_f32_e32 v54, v77, v55
	s_delay_alu instid0(VALU_DEP_4)
	v_add_f32_e32 v53, v53, v1
	s_wait_dscnt 0x0
	v_dual_mul_f32 v55, v69, v57 :: v_dual_fmac_f32 v74, v63, v2
	v_add_f32_e32 v61, v61, v0
	ds_load_2addr_b64 v[0:3], v49 offset0:224 offset1:240
	v_mul_f32_e32 v62, v68, v57
	v_fma_f32 v55, v68, v56, -v55
	v_mul_f32_e32 v63, v69, v59
	v_add_f32_e32 v33, v33, v79
	s_wait_loadcnt_dscnt 0x0
	s_delay_alu instid0(VALU_DEP_3) | instskip(SKIP_3) | instid1(VALU_DEP_4)
	v_dual_fmac_f32 v62, v69, v56 :: v_dual_add_f32 v55, v72, v55
	v_mul_f32_e32 v72, v65, v57
	v_fma_f32 v63, v68, v58, -v63
	v_mul_f32_e32 v57, v64, v57
	v_add_f32_e32 v60, v60, v62
	v_add_f32_e32 v33, v33, v74
	v_fma_f32 v62, v64, v56, -v72
	v_add_f32_e32 v52, v52, v63
	v_mul_f32_e32 v63, v65, v59
	v_dual_mul_f32 v74, v68, v59 :: v_dual_fmac_f32 v57, v65, v56
	s_delay_alu instid0(VALU_DEP_4) | instskip(SKIP_1) | instid1(VALU_DEP_4)
	v_add_f32_e32 v54, v54, v62
	v_mul_f32_e32 v56, v64, v59
	v_fma_f32 v59, v64, v58, -v63
	v_mul_f32_e32 v62, v71, v1
	v_mul_f32_e32 v63, v70, v1
	v_add_f32_e32 v64, v53, v57
	v_fmac_f32_e32 v56, v65, v58
	v_add_f32_e32 v59, v61, v59
	v_fma_f32 v53, v70, v0, -v62
	v_fmac_f32_e32 v63, v71, v0
	v_dual_mul_f32 v61, v71, v3 :: v_dual_fmac_f32 v74, v69, v58
	v_dual_mul_f32 v62, v70, v3 :: v_dual_add_f32 v33, v33, v56
	s_delay_alu instid0(VALU_DEP_3) | instskip(NEXT) | instid1(VALU_DEP_3)
	v_dual_add_f32 v57, v55, v53 :: v_dual_add_f32 v58, v60, v63
	v_fma_f32 v53, v70, v2, -v61
	v_mul_f32_e32 v56, v67, v1
	v_dual_mul_f32 v1, v66, v1 :: v_dual_mul_f32 v60, v67, v3
	v_dual_mul_f32 v3, v66, v3 :: v_dual_add_f32 v68, v73, v74
	s_delay_alu instid0(VALU_DEP_4) | instskip(NEXT) | instid1(VALU_DEP_4)
	v_dual_fmac_f32 v62, v71, v2 :: v_dual_add_f32 v55, v52, v53
	v_fma_f32 v52, v66, v0, -v56
	s_delay_alu instid0(VALU_DEP_4) | instskip(SKIP_2) | instid1(VALU_DEP_4)
	v_fmac_f32_e32 v1, v67, v0
	v_fma_f32 v0, v66, v2, -v60
	v_fmac_f32_e32 v3, v67, v2
	v_dual_add_f32 v56, v68, v62 :: v_dual_add_f32 v53, v54, v52
	s_delay_alu instid0(VALU_DEP_4) | instskip(NEXT) | instid1(VALU_DEP_3)
	v_add_f32_e32 v54, v64, v1
	v_dual_add_f32 v52, v59, v0 :: v_dual_add_f32 v33, v33, v3
	s_barrier_signal -1
	s_barrier_wait -1
	global_inv scope:SCOPE_SE
	s_cbranch_scc1 .LBB74_60
.LBB74_11:                              ;   Parent Loop BB74_4 Depth=1
                                        ;     Parent Loop BB74_8 Depth=2
                                        ; =>    This Inner Loop Header: Depth=3
	s_wait_alu 0xfffe
	v_add_co_u32 v0, s5, v4, s38
	s_wait_alu 0xf1ff
	v_add_co_ci_u32_e64 v1, null, s39, v5, s5
	v_cmp_eq_u64_e64 s7, s[38:39], v[12:13]
	s_delay_alu instid0(VALU_DEP_2)
	v_cmp_le_i64_e64 s6, s[42:43], v[0:1]
	v_cmp_lt_i64_e64 s5, v[0:1], v[6:7]
	s_and_b32 s60, s55, s7
	v_add_co_u32 v2, s7, v38, v20
	s_wait_alu 0xf1ff
	v_add_co_ci_u32_e64 v3, null, v39, v21, s7
	s_or_b32 s8, s6, s5
	s_wait_alu 0xfffe
	s_or_b32 s7, s8, s60
	s_wait_alu 0xfffe
	s_nor_b32 s7, s0, s7
	s_wait_alu 0xfffe
	s_and_saveexec_b32 s8, s7
	s_wait_alu 0xfffe
	s_xor_b32 s7, exec_lo, s8
	s_cbranch_execz .LBB74_13
; %bb.12:                               ;   in Loop: Header=BB74_11 Depth=3
	global_load_b64 v[59:60], v[2:3], off
	s_wait_loadcnt 0x0
	ds_store_b64 v45, v[59:60]
.LBB74_13:                              ;   in Loop: Header=BB74_11 Depth=3
	s_wait_alu 0xfffe
	s_or_saveexec_b32 s7, s7
	s_xor_b32 s59, s60, -1
	s_wait_alu 0xfffe
	s_xor_b32 exec_lo, exec_lo, s7
	s_cbranch_execz .LBB74_19
; %bb.14:                               ;   in Loop: Header=BB74_11 Depth=3
	s_and_saveexec_b32 s8, s59
	s_wait_alu 0xfffe
	s_xor_b32 s8, exec_lo, s8
; %bb.15:                               ;   in Loop: Header=BB74_11 Depth=3
	v_dual_mov_b32 v59, v25 :: v_dual_mov_b32 v60, v25
	ds_store_b64 v45, v[59:60]
; %bb.16:                               ;   in Loop: Header=BB74_11 Depth=3
	s_wait_alu 0xfffe
	s_and_not1_saveexec_b32 s8, s8
; %bb.17:                               ;   in Loop: Header=BB74_11 Depth=3
	ds_store_b64 v45, v[24:25]
; %bb.18:                               ;   in Loop: Header=BB74_11 Depth=3
	s_wait_alu 0xfffe
	s_or_b32 exec_lo, exec_lo, s8
.LBB74_19:                              ;   in Loop: Header=BB74_11 Depth=3
	s_delay_alu instid0(SALU_CYCLE_1)
	s_or_b32 exec_lo, exec_lo, s7
	v_cmp_eq_u64_e64 s7, s[38:39], v[14:15]
	v_cmp_gt_i64_e64 s8, v[10:11], v[0:1]
	s_and_b32 s7, s55, s7
	s_or_b32 s6, s6, s8
	s_wait_alu 0xfffe
	s_or_b32 s6, s6, s7
	s_wait_alu 0xfffe
	s_nor_b32 s6, s3, s6
	s_wait_alu 0xfffe
	s_and_saveexec_b32 s8, s6
	s_wait_alu 0xfffe
	s_xor_b32 s6, exec_lo, s8
	s_cbranch_execz .LBB74_21
; %bb.20:                               ;   in Loop: Header=BB74_11 Depth=3
	global_load_b64 v[2:3], v[2:3], off offset:128
	s_wait_loadcnt 0x0
	ds_store_b64 v45, v[2:3] offset:128
.LBB74_21:                              ;   in Loop: Header=BB74_11 Depth=3
	s_wait_alu 0xfffe
	s_and_not1_saveexec_b32 s6, s6
	s_cbranch_execz .LBB74_27
; %bb.22:                               ;   in Loop: Header=BB74_11 Depth=3
	s_xor_b32 s7, s7, -1
	s_wait_alu 0xfffe
	s_and_saveexec_b32 s8, s7
	s_wait_alu 0xfffe
	s_xor_b32 s7, exec_lo, s8
; %bb.23:                               ;   in Loop: Header=BB74_11 Depth=3
	v_dual_mov_b32 v2, v25 :: v_dual_mov_b32 v3, v25
	ds_store_b64 v45, v[2:3] offset:128
; %bb.24:                               ;   in Loop: Header=BB74_11 Depth=3
	s_wait_alu 0xfffe
	s_and_not1_saveexec_b32 s7, s7
; %bb.25:                               ;   in Loop: Header=BB74_11 Depth=3
	ds_store_b64 v45, v[24:25] offset:128
; %bb.26:                               ;   in Loop: Header=BB74_11 Depth=3
	s_wait_alu 0xfffe
	s_or_b32 exec_lo, exec_lo, s7
.LBB74_27:                              ;   in Loop: Header=BB74_11 Depth=3
	s_wait_alu 0xfffe
	s_or_b32 exec_lo, exec_lo, s6
	v_add_co_u32 v0, s6, v0, 16
	s_wait_alu 0xf1ff
	v_add_co_ci_u32_e64 v1, null, 0, v1, s6
	v_cmp_eq_u64_e64 s7, s[38:39], v[18:19]
	s_delay_alu instid0(VALU_DEP_2)
	v_cmp_le_i64_e64 s6, s[42:43], v[0:1]
	v_cmp_lt_i64_e64 s8, v[0:1], v[6:7]
	s_and_b32 s61, s55, s7
	v_add_co_u32 v0, s7, v40, v20
	s_wait_alu 0xf1ff
	v_add_co_ci_u32_e64 v1, null, v41, v21, s7
	s_or_b32 s8, s6, s8
	s_wait_alu 0xfffe
	s_or_b32 s7, s8, s61
	s_wait_alu 0xfffe
	s_nor_b32 s7, s0, s7
	s_wait_alu 0xfffe
	s_and_saveexec_b32 s8, s7
	s_wait_alu 0xfffe
	s_xor_b32 s7, exec_lo, s8
	s_cbranch_execz .LBB74_29
; %bb.28:                               ;   in Loop: Header=BB74_11 Depth=3
	global_load_b64 v[2:3], v[0:1], off
	s_wait_loadcnt 0x0
	ds_store_b64 v45, v[2:3] offset:4096
.LBB74_29:                              ;   in Loop: Header=BB74_11 Depth=3
	s_wait_alu 0xfffe
	s_and_not1_saveexec_b32 s7, s7
	s_cbranch_execz .LBB74_35
; %bb.30:                               ;   in Loop: Header=BB74_11 Depth=3
	s_xor_b32 s8, s61, -1
	s_wait_alu 0xfffe
	s_and_saveexec_b32 s61, s8
	s_delay_alu instid0(SALU_CYCLE_1)
	s_xor_b32 s8, exec_lo, s61
; %bb.31:                               ;   in Loop: Header=BB74_11 Depth=3
	v_dual_mov_b32 v2, v25 :: v_dual_mov_b32 v3, v25
	ds_store_b64 v45, v[2:3] offset:4096
; %bb.32:                               ;   in Loop: Header=BB74_11 Depth=3
	s_wait_alu 0xfffe
	s_and_not1_saveexec_b32 s8, s8
; %bb.33:                               ;   in Loop: Header=BB74_11 Depth=3
	ds_store_b64 v45, v[24:25] offset:4096
; %bb.34:                               ;   in Loop: Header=BB74_11 Depth=3
	s_wait_alu 0xfffe
	s_or_b32 exec_lo, exec_lo, s8
.LBB74_35:                              ;   in Loop: Header=BB74_11 Depth=3
	s_wait_alu 0xfffe
	s_or_b32 exec_lo, exec_lo, s7
	s_or_b32 s5, s6, s5
	s_wait_alu 0xfffe
	s_or_b32 s5, s5, s60
	s_wait_alu 0xfffe
	s_nor_b32 s5, s3, s5
	s_wait_alu 0xfffe
	s_and_saveexec_b32 s6, s5
	s_wait_alu 0xfffe
	s_xor_b32 s5, exec_lo, s6
	s_cbranch_execz .LBB74_37
; %bb.36:                               ;   in Loop: Header=BB74_11 Depth=3
	global_load_b64 v[0:1], v[0:1], off offset:128
	s_wait_loadcnt 0x0
	ds_store_b64 v45, v[0:1] offset:4224
.LBB74_37:                              ;   in Loop: Header=BB74_11 Depth=3
	s_wait_alu 0xfffe
	s_and_not1_saveexec_b32 s5, s5
	s_cbranch_execz .LBB74_43
; %bb.38:                               ;   in Loop: Header=BB74_11 Depth=3
	s_and_saveexec_b32 s6, s59
	s_wait_alu 0xfffe
	s_xor_b32 s6, exec_lo, s6
; %bb.39:                               ;   in Loop: Header=BB74_11 Depth=3
	v_dual_mov_b32 v0, v25 :: v_dual_mov_b32 v1, v25
	ds_store_b64 v45, v[0:1] offset:4224
; %bb.40:                               ;   in Loop: Header=BB74_11 Depth=3
	s_wait_alu 0xfffe
	s_and_not1_saveexec_b32 s6, s6
; %bb.41:                               ;   in Loop: Header=BB74_11 Depth=3
	ds_store_b64 v45, v[24:25] offset:4224
; %bb.42:                               ;   in Loop: Header=BB74_11 Depth=3
	s_wait_alu 0xfffe
	s_or_b32 exec_lo, exec_lo, s6
.LBB74_43:                              ;   in Loop: Header=BB74_11 Depth=3
	s_wait_alu 0xfffe
	s_or_b32 exec_lo, exec_lo, s5
	v_add_co_u32 v0, s5, v6, s38
	s_wait_alu 0xf1ff
	v_add_co_ci_u32_e64 v1, null, s39, v7, s5
	s_delay_alu instid0(VALU_DEP_1)
	v_cmp_gt_i64_e64 s5, s[42:43], v[0:1]
	s_and_b32 s6, vcc_lo, s5
	s_wait_alu 0xfffe
	s_xor_b32 s6, s6, -1
	s_wait_alu 0xfffe
	s_and_saveexec_b32 s7, s6
	s_wait_alu 0xfffe
	s_xor_b32 s6, exec_lo, s7
; %bb.44:                               ;   in Loop: Header=BB74_11 Depth=3
	v_dual_mov_b32 v2, v25 :: v_dual_mov_b32 v3, v25
	ds_store_b64 v46, v[2:3]
; %bb.45:                               ;   in Loop: Header=BB74_11 Depth=3
	s_wait_alu 0xfffe
	s_or_saveexec_b32 s7, s6
	v_add_co_u32 v2, s6, v34, v20
	s_wait_alu 0xf1ff
	v_add_co_ci_u32_e64 v3, null, v35, v21, s6
	s_wait_alu 0xfffe
	s_xor_b32 exec_lo, exec_lo, s7
	s_cbranch_execz .LBB74_47
; %bb.46:                               ;   in Loop: Header=BB74_11 Depth=3
	global_load_b64 v[59:60], v[2:3], off offset:-128
	s_wait_loadcnt 0x0
	ds_store_b64 v46, v[59:60]
.LBB74_47:                              ;   in Loop: Header=BB74_11 Depth=3
	s_or_b32 exec_lo, exec_lo, s7
	v_cmp_gt_i64_e64 s6, s[48:49], v[0:1]
	s_and_b32 s7, vcc_lo, s6
	s_wait_alu 0xfffe
	s_xor_b32 s7, s7, -1
	s_wait_alu 0xfffe
	s_and_saveexec_b32 s8, s7
	s_wait_alu 0xfffe
	s_xor_b32 s7, exec_lo, s8
; %bb.48:                               ;   in Loop: Header=BB74_11 Depth=3
	v_dual_mov_b32 v0, v25 :: v_dual_mov_b32 v1, v25
                                        ; implicit-def: $vgpr2_vgpr3
	ds_store_b64 v46, v[0:1] offset:128
; %bb.49:                               ;   in Loop: Header=BB74_11 Depth=3
	s_wait_alu 0xfffe
	s_and_not1_saveexec_b32 s7, s7
	s_cbranch_execz .LBB74_51
; %bb.50:                               ;   in Loop: Header=BB74_11 Depth=3
	global_load_b64 v[0:1], v[2:3], off
	s_wait_loadcnt 0x0
	ds_store_b64 v46, v[0:1] offset:128
.LBB74_51:                              ;   in Loop: Header=BB74_11 Depth=3
	s_wait_alu 0xfffe
	s_or_b32 exec_lo, exec_lo, s7
	s_and_b32 s5, s4, s5
	s_wait_alu 0xfffe
	s_xor_b32 s5, s5, -1
	s_wait_alu 0xfffe
	s_and_saveexec_b32 s7, s5
	s_wait_alu 0xfffe
	s_xor_b32 s5, exec_lo, s7
; %bb.52:                               ;   in Loop: Header=BB74_11 Depth=3
	v_dual_mov_b32 v0, v25 :: v_dual_mov_b32 v1, v25
	ds_store_b64 v46, v[0:1] offset:4096
; %bb.53:                               ;   in Loop: Header=BB74_11 Depth=3
	s_wait_alu 0xfffe
	s_or_saveexec_b32 s7, s5
	v_add_co_u32 v0, s5, v36, v20
	s_wait_alu 0xf1ff
	v_add_co_ci_u32_e64 v1, null, v37, v21, s5
	s_wait_alu 0xfffe
	s_xor_b32 exec_lo, exec_lo, s7
	s_cbranch_execz .LBB74_55
; %bb.54:                               ;   in Loop: Header=BB74_11 Depth=3
	global_load_b64 v[2:3], v[0:1], off offset:-128
	s_wait_loadcnt 0x0
	ds_store_b64 v46, v[2:3] offset:4096
.LBB74_55:                              ;   in Loop: Header=BB74_11 Depth=3
	s_or_b32 exec_lo, exec_lo, s7
	s_and_b32 s5, s4, s6
	s_wait_alu 0xfffe
	s_xor_b32 s5, s5, -1
	s_wait_alu 0xfffe
	s_and_saveexec_b32 s6, s5
	s_wait_alu 0xfffe
	s_xor_b32 s5, exec_lo, s6
; %bb.56:                               ;   in Loop: Header=BB74_11 Depth=3
	v_dual_mov_b32 v0, v25 :: v_dual_mov_b32 v1, v25
	ds_store_b64 v46, v[0:1] offset:4224
                                        ; implicit-def: $vgpr0_vgpr1
; %bb.57:                               ;   in Loop: Header=BB74_11 Depth=3
	s_wait_alu 0xfffe
	s_and_not1_saveexec_b32 s5, s5
	s_cbranch_execz .LBB74_10
; %bb.58:                               ;   in Loop: Header=BB74_11 Depth=3
	global_load_b64 v[0:1], v[0:1], off
	s_wait_loadcnt 0x0
	ds_store_b64 v46, v[0:1] offset:4224
	s_branch .LBB74_10
.LBB74_59:                              ;   in Loop: Header=BB74_8 Depth=2
	v_dual_mov_b32 v57, 0 :: v_dual_mov_b32 v58, 0
	v_dual_mov_b32 v55, 0 :: v_dual_mov_b32 v56, 0
	;; [unrolled: 1-line block ×4, first 2 shown]
.LBB74_60:                              ;   in Loop: Header=BB74_8 Depth=2
	v_mul_lo_u32 v2, s29, v50
	v_mul_lo_u32 v3, s28, v51
	v_mad_co_u64_u32 v[0:1], null, s28, v50, 0
	v_cmp_gt_i32_e32 vcc_lo, s10, v50
	s_delay_alu instid0(VALU_DEP_2) | instskip(NEXT) | instid1(VALU_DEP_1)
	v_add3_u32 v1, v1, v3, v2
	v_lshlrev_b64_e32 v[0:1], 3, v[0:1]
	s_delay_alu instid0(VALU_DEP_1) | instskip(SKIP_1) | instid1(VALU_DEP_2)
	v_add_co_u32 v0, s4, s26, v0
	s_wait_alu 0xf1ff
	v_add_co_ci_u32_e64 v1, null, s27, v1, s4
	s_and_b32 s4, s1, vcc_lo
	s_wait_alu 0xfffe
	s_and_saveexec_b32 s5, s4
	s_cbranch_execz .LBB74_62
; %bb.61:                               ;   in Loop: Header=BB74_8 Depth=2
	v_add_co_u32 v2, s4, v0, v20
	s_wait_alu 0xf1ff
	v_add_co_ci_u32_e64 v3, null, v1, v21, s4
	v_mul_f32_e32 v36, v58, v27
	v_mul_f32_e32 v37, v58, v26
	global_load_b64 v[34:35], v[2:3], off
	v_fma_f32 v36, v57, v26, -v36
	s_wait_loadcnt 0x0
	s_delay_alu instid0(VALU_DEP_1) | instskip(NEXT) | instid1(VALU_DEP_1)
	v_dual_fmac_f32 v37, v57, v27 :: v_dual_add_f32 v34, v34, v36
	v_add_f32_e32 v35, v37, v35
	global_store_b64 v[2:3], v[34:35], off
.LBB74_62:                              ;   in Loop: Header=BB74_8 Depth=2
	s_wait_alu 0xfffe
	s_or_b32 exec_lo, exec_lo, s5
	s_and_b32 s5, s2, vcc_lo
	s_wait_alu 0xfffe
	s_and_saveexec_b32 s4, s5
	s_cbranch_execz .LBB74_64
; %bb.63:                               ;   in Loop: Header=BB74_8 Depth=2
	v_lshlrev_b64_e32 v[2:3], 3, v[8:9]
	v_mul_f32_e32 v34, v56, v27
	v_mul_f32_e32 v35, v56, v26
	s_delay_alu instid0(VALU_DEP_2) | instskip(NEXT) | instid1(VALU_DEP_4)
	v_fma_f32 v34, v55, v26, -v34
	v_add_co_u32 v0, vcc_lo, v0, v2
	s_wait_alu 0xfffd
	v_add_co_ci_u32_e64 v1, null, v1, v3, vcc_lo
	global_load_b64 v[2:3], v[0:1], off
	s_wait_loadcnt 0x0
	v_dual_fmac_f32 v35, v55, v27 :: v_dual_add_f32 v2, v2, v34
	s_delay_alu instid0(VALU_DEP_1)
	v_add_f32_e32 v3, v35, v3
	global_store_b64 v[0:1], v[2:3], off
.LBB74_64:                              ;   in Loop: Header=BB74_8 Depth=2
	s_wait_alu 0xfffe
	s_or_b32 exec_lo, exec_lo, s4
	v_add_nc_u32_e32 v2, 16, v50
	s_delay_alu instid0(VALU_DEP_1) | instskip(SKIP_3) | instid1(VALU_DEP_4)
	v_ashrrev_i32_e32 v3, 31, v2
	v_mul_lo_u32 v34, s29, v2
	v_mad_co_u64_u32 v[0:1], null, s28, v2, 0
	v_cmp_gt_i32_e32 vcc_lo, s10, v2
	v_mul_lo_u32 v3, s28, v3
	s_delay_alu instid0(VALU_DEP_1) | instskip(NEXT) | instid1(VALU_DEP_1)
	v_add3_u32 v1, v1, v3, v34
	v_lshlrev_b64_e32 v[0:1], 3, v[0:1]
	s_delay_alu instid0(VALU_DEP_1) | instskip(SKIP_1) | instid1(VALU_DEP_2)
	v_add_co_u32 v0, s4, s26, v0
	s_wait_alu 0xf1ff
	v_add_co_ci_u32_e64 v1, null, s27, v1, s4
	s_and_b32 s4, s1, vcc_lo
	s_wait_alu 0xfffe
	s_and_saveexec_b32 s5, s4
	s_cbranch_execz .LBB74_66
; %bb.65:                               ;   in Loop: Header=BB74_8 Depth=2
	v_add_co_u32 v2, s4, v0, v20
	s_wait_alu 0xf1ff
	v_add_co_ci_u32_e64 v3, null, v1, v21, s4
	v_mul_f32_e32 v36, v54, v27
	v_mul_f32_e32 v37, v54, v26
	global_load_b64 v[34:35], v[2:3], off
	v_fma_f32 v36, v53, v26, -v36
	s_wait_loadcnt 0x0
	s_delay_alu instid0(VALU_DEP_1) | instskip(NEXT) | instid1(VALU_DEP_1)
	v_dual_fmac_f32 v37, v53, v27 :: v_dual_add_f32 v34, v34, v36
	v_add_f32_e32 v35, v37, v35
	global_store_b64 v[2:3], v[34:35], off
.LBB74_66:                              ;   in Loop: Header=BB74_8 Depth=2
	s_wait_alu 0xfffe
	s_or_b32 exec_lo, exec_lo, s5
	s_and_b32 s5, s2, vcc_lo
	s_wait_alu 0xfffe
	s_and_saveexec_b32 s4, s5
	s_cbranch_execz .LBB74_7
; %bb.67:                               ;   in Loop: Header=BB74_8 Depth=2
	v_lshlrev_b64_e32 v[2:3], 3, v[8:9]
	v_mul_f32_e32 v34, v33, v27
	v_mul_f32_e32 v33, v33, v26
	s_delay_alu instid0(VALU_DEP_2) | instskip(NEXT) | instid1(VALU_DEP_4)
	v_fma_f32 v34, v52, v26, -v34
	v_add_co_u32 v0, vcc_lo, v0, v2
	s_wait_alu 0xfffd
	v_add_co_ci_u32_e64 v1, null, v1, v3, vcc_lo
	global_load_b64 v[2:3], v[0:1], off
	s_wait_loadcnt 0x0
	v_dual_fmac_f32 v33, v52, v27 :: v_dual_add_f32 v2, v2, v34
	s_delay_alu instid0(VALU_DEP_1)
	v_add_f32_e32 v3, v33, v3
	global_store_b64 v[0:1], v[2:3], off
	s_branch .LBB74_7
.LBB74_68:
	s_endpgm
	.section	.rodata,"a",@progbits
	.p2align	6, 0x0
	.amdhsa_kernel _ZL30rocblas_trmm_outofplace_kernelI19rocblas_complex_numIfELi32ELi2ELb1ELb1ELb0ELb0EPKS1_S2_S1_Ev17rocblas_diagonal_iiT6_lPT7_lllS7_lllPT8_llli
		.amdhsa_group_segment_fixed_size 16384
		.amdhsa_private_segment_fixed_size 0
		.amdhsa_kernarg_size 392
		.amdhsa_user_sgpr_count 2
		.amdhsa_user_sgpr_dispatch_ptr 0
		.amdhsa_user_sgpr_queue_ptr 0
		.amdhsa_user_sgpr_kernarg_segment_ptr 1
		.amdhsa_user_sgpr_dispatch_id 0
		.amdhsa_user_sgpr_private_segment_size 0
		.amdhsa_wavefront_size32 1
		.amdhsa_uses_dynamic_stack 0
		.amdhsa_enable_private_segment 0
		.amdhsa_system_sgpr_workgroup_id_x 1
		.amdhsa_system_sgpr_workgroup_id_y 1
		.amdhsa_system_sgpr_workgroup_id_z 1
		.amdhsa_system_sgpr_workgroup_info 0
		.amdhsa_system_vgpr_workitem_id 1
		.amdhsa_next_free_vgpr 93
		.amdhsa_next_free_sgpr 62
		.amdhsa_reserve_vcc 1
		.amdhsa_float_round_mode_32 0
		.amdhsa_float_round_mode_16_64 0
		.amdhsa_float_denorm_mode_32 3
		.amdhsa_float_denorm_mode_16_64 3
		.amdhsa_fp16_overflow 0
		.amdhsa_workgroup_processor_mode 1
		.amdhsa_memory_ordered 1
		.amdhsa_forward_progress 1
		.amdhsa_inst_pref_size 60
		.amdhsa_round_robin_scheduling 0
		.amdhsa_exception_fp_ieee_invalid_op 0
		.amdhsa_exception_fp_denorm_src 0
		.amdhsa_exception_fp_ieee_div_zero 0
		.amdhsa_exception_fp_ieee_overflow 0
		.amdhsa_exception_fp_ieee_underflow 0
		.amdhsa_exception_fp_ieee_inexact 0
		.amdhsa_exception_int_div_zero 0
	.end_amdhsa_kernel
	.section	.text._ZL30rocblas_trmm_outofplace_kernelI19rocblas_complex_numIfELi32ELi2ELb1ELb1ELb0ELb0EPKS1_S2_S1_Ev17rocblas_diagonal_iiT6_lPT7_lllS7_lllPT8_llli,"axG",@progbits,_ZL30rocblas_trmm_outofplace_kernelI19rocblas_complex_numIfELi32ELi2ELb1ELb1ELb0ELb0EPKS1_S2_S1_Ev17rocblas_diagonal_iiT6_lPT7_lllS7_lllPT8_llli,comdat
.Lfunc_end74:
	.size	_ZL30rocblas_trmm_outofplace_kernelI19rocblas_complex_numIfELi32ELi2ELb1ELb1ELb0ELb0EPKS1_S2_S1_Ev17rocblas_diagonal_iiT6_lPT7_lllS7_lllPT8_llli, .Lfunc_end74-_ZL30rocblas_trmm_outofplace_kernelI19rocblas_complex_numIfELi32ELi2ELb1ELb1ELb0ELb0EPKS1_S2_S1_Ev17rocblas_diagonal_iiT6_lPT7_lllS7_lllPT8_llli
                                        ; -- End function
	.set _ZL30rocblas_trmm_outofplace_kernelI19rocblas_complex_numIfELi32ELi2ELb1ELb1ELb0ELb0EPKS1_S2_S1_Ev17rocblas_diagonal_iiT6_lPT7_lllS7_lllPT8_llli.num_vgpr, 93
	.set _ZL30rocblas_trmm_outofplace_kernelI19rocblas_complex_numIfELi32ELi2ELb1ELb1ELb0ELb0EPKS1_S2_S1_Ev17rocblas_diagonal_iiT6_lPT7_lllS7_lllPT8_llli.num_agpr, 0
	.set _ZL30rocblas_trmm_outofplace_kernelI19rocblas_complex_numIfELi32ELi2ELb1ELb1ELb0ELb0EPKS1_S2_S1_Ev17rocblas_diagonal_iiT6_lPT7_lllS7_lllPT8_llli.numbered_sgpr, 62
	.set _ZL30rocblas_trmm_outofplace_kernelI19rocblas_complex_numIfELi32ELi2ELb1ELb1ELb0ELb0EPKS1_S2_S1_Ev17rocblas_diagonal_iiT6_lPT7_lllS7_lllPT8_llli.num_named_barrier, 0
	.set _ZL30rocblas_trmm_outofplace_kernelI19rocblas_complex_numIfELi32ELi2ELb1ELb1ELb0ELb0EPKS1_S2_S1_Ev17rocblas_diagonal_iiT6_lPT7_lllS7_lllPT8_llli.private_seg_size, 0
	.set _ZL30rocblas_trmm_outofplace_kernelI19rocblas_complex_numIfELi32ELi2ELb1ELb1ELb0ELb0EPKS1_S2_S1_Ev17rocblas_diagonal_iiT6_lPT7_lllS7_lllPT8_llli.uses_vcc, 1
	.set _ZL30rocblas_trmm_outofplace_kernelI19rocblas_complex_numIfELi32ELi2ELb1ELb1ELb0ELb0EPKS1_S2_S1_Ev17rocblas_diagonal_iiT6_lPT7_lllS7_lllPT8_llli.uses_flat_scratch, 0
	.set _ZL30rocblas_trmm_outofplace_kernelI19rocblas_complex_numIfELi32ELi2ELb1ELb1ELb0ELb0EPKS1_S2_S1_Ev17rocblas_diagonal_iiT6_lPT7_lllS7_lllPT8_llli.has_dyn_sized_stack, 0
	.set _ZL30rocblas_trmm_outofplace_kernelI19rocblas_complex_numIfELi32ELi2ELb1ELb1ELb0ELb0EPKS1_S2_S1_Ev17rocblas_diagonal_iiT6_lPT7_lllS7_lllPT8_llli.has_recursion, 0
	.set _ZL30rocblas_trmm_outofplace_kernelI19rocblas_complex_numIfELi32ELi2ELb1ELb1ELb0ELb0EPKS1_S2_S1_Ev17rocblas_diagonal_iiT6_lPT7_lllS7_lllPT8_llli.has_indirect_call, 0
	.section	.AMDGPU.csdata,"",@progbits
; Kernel info:
; codeLenInByte = 7676
; TotalNumSgprs: 64
; NumVgprs: 93
; ScratchSize: 0
; MemoryBound: 1
; FloatMode: 240
; IeeeMode: 1
; LDSByteSize: 16384 bytes/workgroup (compile time only)
; SGPRBlocks: 0
; VGPRBlocks: 11
; NumSGPRsForWavesPerEU: 64
; NumVGPRsForWavesPerEU: 93
; Occupancy: 16
; WaveLimiterHint : 0
; COMPUTE_PGM_RSRC2:SCRATCH_EN: 0
; COMPUTE_PGM_RSRC2:USER_SGPR: 2
; COMPUTE_PGM_RSRC2:TRAP_HANDLER: 0
; COMPUTE_PGM_RSRC2:TGID_X_EN: 1
; COMPUTE_PGM_RSRC2:TGID_Y_EN: 1
; COMPUTE_PGM_RSRC2:TGID_Z_EN: 1
; COMPUTE_PGM_RSRC2:TIDIG_COMP_CNT: 1
	.section	.text._ZL30rocblas_trmm_outofplace_kernelI19rocblas_complex_numIfELi32ELi2ELb1ELb1ELb0ELb0ES1_KS1_S1_Ev17rocblas_diagonal_iiT6_lPT7_lllS6_lllPT8_llli,"axG",@progbits,_ZL30rocblas_trmm_outofplace_kernelI19rocblas_complex_numIfELi32ELi2ELb1ELb1ELb0ELb0ES1_KS1_S1_Ev17rocblas_diagonal_iiT6_lPT7_lllS6_lllPT8_llli,comdat
	.globl	_ZL30rocblas_trmm_outofplace_kernelI19rocblas_complex_numIfELi32ELi2ELb1ELb1ELb0ELb0ES1_KS1_S1_Ev17rocblas_diagonal_iiT6_lPT7_lllS6_lllPT8_llli ; -- Begin function _ZL30rocblas_trmm_outofplace_kernelI19rocblas_complex_numIfELi32ELi2ELb1ELb1ELb0ELb0ES1_KS1_S1_Ev17rocblas_diagonal_iiT6_lPT7_lllS6_lllPT8_llli
	.p2align	8
	.type	_ZL30rocblas_trmm_outofplace_kernelI19rocblas_complex_numIfELi32ELi2ELb1ELb1ELb0ELb0ES1_KS1_S1_Ev17rocblas_diagonal_iiT6_lPT7_lllS6_lllPT8_llli,@function
_ZL30rocblas_trmm_outofplace_kernelI19rocblas_complex_numIfELi32ELi2ELb1ELb1ELb0ELb0ES1_KS1_S1_Ev17rocblas_diagonal_iiT6_lPT7_lllS6_lllPT8_llli: ; @_ZL30rocblas_trmm_outofplace_kernelI19rocblas_complex_numIfELi32ELi2ELb1ELb1ELb0ELb0ES1_KS1_S1_Ev17rocblas_diagonal_iiT6_lPT7_lllS6_lllPT8_llli
; %bb.0:
	s_load_b32 s31, s[0:1], 0x80
	s_lshr_b32 s34, ttmp7, 16
	s_wait_kmcnt 0x0
	s_cmp_ge_u32 s34, s31
	s_cbranch_scc1 .LBB75_67
; %bb.1:
	s_load_b64 s[36:37], s[0:1], 0xc
	s_mov_b32 s35, 0
	s_wait_kmcnt 0x0
	s_or_b32 s2, s36, s37
	s_delay_alu instid0(SALU_CYCLE_1) | instskip(NEXT) | instid1(SALU_CYCLE_1)
	s_bitset0_b32 s2, 31
	s_cmp_eq_u32 s2, 0
	s_cbranch_scc1 .LBB75_67
; %bb.2:
	s_load_b96 s[28:30], s[0:1], 0x0
	s_and_b32 s33, ttmp7, 0xffff
	v_bfe_u32 v40, v0, 10, 10
	v_dual_mov_b32 v25, 0 :: v_dual_and_b32 v0, 0x3ff, v0
	s_load_b512 s[4:19], s[0:1], 0x20
	s_add_nc_u64 s[38:39], s[0:1], 0x88
	s_load_b256 s[20:27], s[0:1], 0x60
	v_dual_mov_b32 v24, 1.0 :: v_dual_lshlrev_b32 v1, 8, v40
	v_lshlrev_b32_e32 v41, 3, v0
	v_lshl_add_u32 v45, s33, 5, v40
	s_delay_alu instid0(VALU_DEP_3) | instskip(NEXT) | instid1(VALU_DEP_3)
	v_add_nc_u32_e32 v42, 0x2000, v1
	v_add_nc_u32_e32 v43, v41, v1
	;; [unrolled: 1-line block ×4, first 2 shown]
	s_delay_alu instid0(VALU_DEP_4)
	v_add_nc_u32_e32 v44, v42, v41
	v_add_nc_u32_e32 v48, 0x1800, v41
	s_wait_kmcnt 0x0
	s_add_co_i32 s2, s30, -1
	s_mov_b32 s40, s29
	s_ashr_i32 s3, s2, 31
	s_mov_b32 s51, s30
	s_lshr_b32 s3, s3, 27
	s_delay_alu instid0(SALU_CYCLE_1) | instskip(NEXT) | instid1(SALU_CYCLE_1)
	s_add_co_i32 s2, s2, s3
	s_ashr_i32 s48, s2, 5
	s_delay_alu instid0(SALU_CYCLE_1) | instskip(SKIP_2) | instid1(SALU_CYCLE_1)
	s_cmp_le_i32 s33, s48
	s_cselect_b32 s49, -1, 0
	s_lshl_b32 s0, ttmp9, 5
	v_add_nc_u32_e32 v6, s0, v0
	v_add_nc_u32_e32 v4, s0, v40
	s_sub_co_i32 s50, s29, s0
	s_delay_alu instid0(SALU_CYCLE_1) | instskip(NEXT) | instid1(VALU_DEP_2)
	s_cmp_gt_i32 s50, 0
	v_ashrrev_i32_e32 v7, 31, v6
	s_delay_alu instid0(VALU_DEP_2) | instskip(SKIP_2) | instid1(VALU_DEP_4)
	v_ashrrev_i32_e32 v5, 31, v4
	v_add_co_u32 v10, vcc_lo, v6, 16
	v_mul_lo_u32 v19, s9, v4
	v_add_co_ci_u32_e64 v11, null, 0, v7, vcc_lo
	v_sub_co_u32 v12, vcc_lo, v6, v4
	v_lshlrev_b64_e32 v[0:1], 3, v[4:5]
	s_wait_alu 0xfffd
	v_sub_co_ci_u32_e64 v13, null, v7, v5, vcc_lo
	s_delay_alu instid0(VALU_DEP_3) | instskip(SKIP_2) | instid1(VALU_DEP_3)
	v_add_co_u32 v14, vcc_lo, v12, 16
	v_mul_lo_u32 v18, s8, v5
	s_wait_alu 0xfffd
	v_add_co_ci_u32_e64 v15, null, 0, v13, vcc_lo
	v_add_co_u32 v2, vcc_lo, 0x80, v0
	s_wait_alu 0xfffd
	v_add_co_ci_u32_e64 v3, null, 0, v1, vcc_lo
	v_mad_co_u64_u32 v[0:1], null, s8, v4, 0
	s_cselect_b32 s52, -1, 0
	s_cmp_eq_u32 s28, 0x84
	v_mul_lo_u32 v3, s8, v3
	s_cselect_b32 s53, -1, 0
	s_lshl_b64 s[6:7], s[6:7], 3
	v_add_nc_u32_e32 v8, 16, v6
	v_add3_u32 v1, v1, v18, v19
	s_add_nc_u64 s[4:5], s[4:5], s[6:7]
	v_add_co_u32 v18, vcc_lo, v12, -16
	v_mad_co_u64_u32 v[16:17], null, s8, v2, s[4:5]
	v_mul_lo_u32 v2, s9, v2
	v_lshlrev_b64_e32 v[0:1], 3, v[0:1]
	s_ashr_i32 s41, s29, 31
	s_lshl_b64 s[2:3], s[22:23], 3
	s_wait_alu 0xfffd
	v_add_co_ci_u32_e64 v19, null, -1, v13, vcc_lo
	s_add_nc_u64 s[20:21], s[20:21], s[2:3]
	v_add_co_u32 v22, vcc_lo, s4, v0
	v_cmp_le_i64_e64 s3, s[40:41], v[10:11]
	s_lshl_b64 s[14:15], s[14:15], 3
	v_lshlrev_b64_e32 v[20:21], 3, v[6:7]
	v_cmp_le_i32_e64 s0, s29, v6
	v_cmp_gt_i32_e64 s1, s29, v6
	v_cmp_gt_i32_e64 s2, s29, v8
	v_ashrrev_i32_e32 v9, 31, v8
	v_add3_u32 v17, v2, v17, v3
	s_wait_alu 0xfffd
	v_add_co_ci_u32_e64 v23, null, s5, v1, vcc_lo
	s_add_nc_u64 s[6:7], s[12:13], s[14:15]
	s_ashr_i32 s54, s30, 31
	s_lshl_b64 s[42:43], s[8:9], 8
	s_add_nc_u64 s[22:23], s[40:41], -16
	s_add_nc_u64 s[12:13], s[6:7], 0x80
	s_lshl_b64 s[14:15], s[18:19], 3
	s_lshl_b64 s[18:19], s[16:17], 3
	;; [unrolled: 1-line block ×3, first 2 shown]
	s_branch .LBB75_4
.LBB75_3:                               ;   in Loop: Header=BB75_4 Depth=1
	s_add_co_i32 s34, s34, 0x10000
	s_wait_alu 0xfffe
	s_cmp_ge_u32 s34, s31
	s_cbranch_scc1 .LBB75_67
.LBB75_4:                               ; =>This Loop Header: Depth=1
                                        ;     Child Loop BB75_7 Depth 2
                                        ;       Child Loop BB75_10 Depth 3
	s_and_not1_b32 vcc_lo, exec_lo, s49
	s_wait_alu 0xfffe
	s_cbranch_vccnz .LBB75_3
; %bb.5:                                ;   in Loop: Header=BB75_4 Depth=1
	s_load_b32 s9, s[38:39], 0x4
	v_mad_co_u64_u32 v[26:27], null, s10, s34, v[16:17]
	v_mad_co_u64_u32 v[28:29], null, s10, s34, v[22:23]
	s_mul_i32 s8, s11, s34
	s_mul_u64 s[6:7], s[26:27], s[34:35]
	v_mov_b32_e32 v30, v45
	s_mul_u64 s[4:5], s[14:15], s[34:35]
	s_wait_alu 0xfffe
	v_add_nc_u32_e32 v27, s8, v27
	s_lshl_b64 s[6:7], s[6:7], 3
	v_add_nc_u32_e32 v29, s8, v29
	s_add_nc_u64 s[28:29], s[12:13], s[4:5]
	s_wait_alu 0xfffe
	s_add_nc_u64 s[44:45], s[20:21], s[6:7]
	s_mov_b32 s56, s33
	s_wait_kmcnt 0x0
	s_lshl_b32 s55, s9, 5
	s_branch .LBB75_7
.LBB75_6:                               ;   in Loop: Header=BB75_7 Depth=2
	s_wait_alu 0xfffe
	s_or_b32 exec_lo, exec_lo, s4
	v_add_nc_u32_e32 v30, s55, v30
	s_add_co_i32 s56, s9, s56
	s_wait_alu 0xfffe
	s_cmp_gt_i32 s56, s48
	s_cbranch_scc1 .LBB75_3
.LBB75_7:                               ;   Parent Loop BB75_4 Depth=1
                                        ; =>  This Loop Header: Depth=2
                                        ;       Child Loop BB75_10 Depth 3
	s_wait_alu 0xfffe
	v_lshl_add_u32 v49, s56, 5, v40
	s_and_not1_b32 vcc_lo, exec_lo, s52
	s_delay_alu instid0(VALU_DEP_1)
	v_ashrrev_i32_e32 v50, 31, v49
	s_wait_alu 0xfffe
	s_cbranch_vccnz .LBB75_58
; %bb.8:                                ;   in Loop: Header=BB75_7 Depth=2
	v_ashrrev_i32_e32 v31, 31, v30
	v_mad_co_u64_u32 v[32:33], null, s18, v30, s[28:29]
	v_mul_lo_u32 v2, s19, v30
	v_mov_b32_e32 v37, v29
	s_delay_alu instid0(VALU_DEP_4)
	v_lshlrev_b64_e32 v[0:1], 3, v[30:31]
	v_mul_lo_u32 v51, s18, v31
	v_mov_b32_e32 v39, v27
	v_dual_mov_b32 v31, 0 :: v_dual_mov_b32 v36, v28
	v_mov_b32_e32 v38, v26
	v_add_co_u32 v3, vcc_lo, 0x80, v0
	s_wait_alu 0xfffd
	v_add_co_ci_u32_e64 v34, null, 0, v1, vcc_lo
	v_sub_co_u32 v0, vcc_lo, s51, v49
	s_delay_alu instid0(VALU_DEP_3) | instskip(NEXT) | instid1(VALU_DEP_3)
	v_mul_lo_u32 v53, s17, v3
	v_mul_lo_u32 v52, s16, v34
	v_mad_co_u64_u32 v[34:35], null, s16, v3, s[28:29]
	s_wait_alu 0xfffd
	v_sub_co_ci_u32_e64 v1, null, s54, v50, vcc_lo
	v_add3_u32 v33, v2, v33, v51
	v_dual_mov_b32 v51, 0 :: v_dual_mov_b32 v54, 0
	s_delay_alu instid0(VALU_DEP_3)
	v_cmp_lt_i64_e64 s4, 16, v[0:1]
	v_add3_u32 v35, v53, v35, v52
	v_dual_mov_b32 v53, 0 :: v_dual_mov_b32 v56, 0
	v_dual_mov_b32 v52, 0 :: v_dual_mov_b32 v55, 0
	v_mov_b32_e32 v57, 0
	s_mov_b64 s[46:47], 0
	v_cmp_lt_i64_e32 vcc_lo, 0, v[0:1]
	s_branch .LBB75_10
.LBB75_9:                               ;   in Loop: Header=BB75_10 Depth=3
	s_wait_alu 0xfffe
	s_or_b32 exec_lo, exec_lo, s5
	s_wait_dscnt 0x0
	s_barrier_signal -1
	s_barrier_wait -1
	global_inv scope:SCOPE_SE
	ds_load_b128 v[58:61], v42
	ds_load_2addr_b64 v[62:65], v41 offset1:16
	ds_load_b128 v[66:69], v42 offset:4096
	ds_load_b128 v[70:73], v42 offset:16
	;; [unrolled: 1-line block ×4, first 2 shown]
	ds_load_2addr_b64 v[78:81], v41 offset0:32 offset1:48
	ds_load_b128 v[82:85], v42 offset:4112
	v_add_co_u32 v32, s5, 0x100, v32
	s_wait_alu 0xf1ff
	v_add_co_ci_u32_e64 v33, null, 0, v33, s5
	v_add_co_u32 v38, s5, v38, s42
	s_wait_alu 0xf1ff
	v_add_co_ci_u32_e64 v39, null, s43, v39, s5
	;; [unrolled: 3-line block ×3, first 2 shown]
	v_add_co_u32 v36, s5, v36, s42
	s_wait_dscnt 0x6
	v_dual_mul_f32 v86, v59, v63 :: v_dual_mul_f32 v89, v58, v65
	v_dual_mul_f32 v87, v58, v63 :: v_dual_mul_f32 v88, v59, v65
	s_wait_dscnt 0x5
	v_mul_f32_e32 v90, v67, v63
	s_delay_alu instid0(VALU_DEP_3)
	v_fma_f32 v86, v58, v62, -v86
	v_mul_f32_e32 v63, v66, v63
	v_fmac_f32_e32 v87, v59, v62
	v_fma_f32 v58, v58, v64, -v88
	v_mul_f32_e32 v91, v67, v65
	v_mul_f32_e32 v65, v66, v65
	v_fmac_f32_e32 v89, v59, v64
	v_fma_f32 v59, v66, v62, -v90
	v_add_f32_e32 v56, v56, v86
	v_fmac_f32_e32 v63, v67, v62
	v_add_f32_e32 v58, v54, v58
	v_fma_f32 v62, v66, v64, -v91
	s_wait_dscnt 0x1
	v_mul_f32_e32 v66, v61, v79
	v_add_f32_e32 v57, v57, v87
	s_wait_alu 0xf1ff
	v_add_co_ci_u32_e64 v37, null, s43, v37, s5
	v_add_f32_e32 v62, v51, v62
	v_fma_f32 v66, v60, v78, -v66
	v_dual_fmac_f32 v65, v67, v64 :: v_dual_mul_f32 v64, v60, v79
	v_add_f32_e32 v55, v55, v89
	s_delay_alu instid0(VALU_DEP_3) | instskip(NEXT) | instid1(VALU_DEP_3)
	v_dual_mul_f32 v67, v61, v81 :: v_dual_add_f32 v66, v56, v66
	v_dual_add_f32 v31, v31, v65 :: v_dual_fmac_f32 v64, v61, v78
	v_mul_f32_e32 v65, v60, v81
	v_add_f32_e32 v59, v52, v59
	s_delay_alu instid0(VALU_DEP_4)
	v_fma_f32 v56, v60, v80, -v67
	v_mul_f32_e32 v60, v69, v79
	v_add_f32_e32 v64, v57, v64
	v_fmac_f32_e32 v65, v61, v80
	v_add_f32_e32 v63, v53, v63
	ds_load_2addr_b64 v[51:54], v41 offset0:64 offset1:80
	v_mul_f32_e32 v57, v68, v79
	v_add_f32_e32 v61, v58, v56
	v_fma_f32 v56, v68, v78, -v60
	v_mul_f32_e32 v58, v69, v81
	s_add_nc_u64 s[46:47], s[46:47], 32
	v_fmac_f32_e32 v57, v69, v78
	s_wait_alu 0xfffe
	s_cmp_ge_i32 s46, s50
	s_wait_dscnt 0x0
	v_mul_f32_e32 v67, v70, v52
	s_delay_alu instid0(VALU_DEP_1) | instskip(NEXT) | instid1(VALU_DEP_1)
	v_fmac_f32_e32 v67, v71, v51
	v_add_f32_e32 v64, v64, v67
	v_add_f32_e32 v60, v55, v65
	;; [unrolled: 1-line block ×3, first 2 shown]
	v_fma_f32 v55, v68, v80, -v58
	v_dual_mul_f32 v56, v71, v52 :: v_dual_mul_f32 v65, v68, v81
	v_mul_f32_e32 v67, v83, v52
	v_dual_mul_f32 v52, v82, v52 :: v_dual_add_f32 v63, v63, v57
	s_delay_alu instid0(VALU_DEP_4) | instskip(NEXT) | instid1(VALU_DEP_4)
	v_add_f32_e32 v62, v62, v55
	v_fma_f32 v68, v70, v51, -v56
	ds_load_2addr_b64 v[55:58], v41 offset0:96 offset1:112
	v_dual_fmac_f32 v65, v69, v80 :: v_dual_fmac_f32 v52, v83, v51
	v_fma_f32 v67, v82, v51, -v67
	v_mul_f32_e32 v69, v71, v54
	s_delay_alu instid0(VALU_DEP_3) | instskip(SKIP_2) | instid1(VALU_DEP_4)
	v_add_f32_e32 v31, v31, v65
	v_add_f32_e32 v65, v66, v68
	v_mul_f32_e32 v66, v70, v54
	v_fma_f32 v68, v70, v53, -v69
	s_delay_alu instid0(VALU_DEP_2) | instskip(NEXT) | instid1(VALU_DEP_1)
	v_dual_mul_f32 v69, v82, v54 :: v_dual_fmac_f32 v66, v71, v53
	v_add_f32_e32 v60, v60, v66
	s_wait_dscnt 0x0
	v_dual_add_f32 v66, v59, v67 :: v_dual_mul_f32 v59, v73, v56
	s_delay_alu instid0(VALU_DEP_1) | instskip(NEXT) | instid1(VALU_DEP_1)
	v_fma_f32 v59, v72, v55, -v59
	v_add_f32_e32 v65, v65, v59
	v_mul_f32_e32 v59, v85, v56
	s_delay_alu instid0(VALU_DEP_1) | instskip(SKIP_1) | instid1(VALU_DEP_2)
	v_fma_f32 v70, v84, v55, -v59
	v_dual_add_f32 v61, v61, v68 :: v_dual_mul_f32 v68, v83, v54
	v_add_f32_e32 v70, v66, v70
	v_mul_f32_e32 v66, v84, v58
	s_delay_alu instid0(VALU_DEP_3) | instskip(SKIP_1) | instid1(VALU_DEP_2)
	v_fma_f32 v51, v82, v53, -v68
	v_mul_f32_e32 v68, v73, v58
	v_dual_fmac_f32 v66, v85, v57 :: v_dual_add_f32 v67, v62, v51
	v_mul_f32_e32 v62, v72, v56
	v_add_f32_e32 v63, v63, v52
	v_dual_mul_f32 v56, v84, v56 :: v_dual_fmac_f32 v69, v83, v53
	ds_load_2addr_b64 v[51:54], v41 offset0:128 offset1:144
	v_fma_f32 v68, v72, v57, -v68
	v_mul_f32_e32 v71, v85, v58
	v_fmac_f32_e32 v62, v73, v55
	v_fmac_f32_e32 v56, v85, v55
	s_delay_alu instid0(VALU_DEP_4) | instskip(SKIP_2) | instid1(VALU_DEP_4)
	v_dual_add_f32 v68, v61, v68 :: v_dual_add_f32 v31, v31, v69
	v_mul_f32_e32 v69, v72, v58
	v_fma_f32 v55, v84, v57, -v71
	v_dual_add_f32 v64, v64, v62 :: v_dual_add_f32 v71, v63, v56
	s_wait_dscnt 0x0
	s_delay_alu instid0(VALU_DEP_3) | instskip(NEXT) | instid1(VALU_DEP_3)
	v_dual_fmac_f32 v69, v73, v57 :: v_dual_mul_f32 v58, v75, v52
	v_add_f32_e32 v67, v67, v55
	v_mul_f32_e32 v63, v74, v52
	v_mul_f32_e32 v78, v74, v54
	s_delay_alu instid0(VALU_DEP_4)
	v_fma_f32 v72, v74, v51, -v58
	ds_load_2addr_b64 v[55:58], v41 offset0:160 offset1:176
	v_add_f32_e32 v69, v60, v69
	ds_load_b128 v[59:62], v42 offset:4128
	v_mul_f32_e32 v73, v75, v54
	v_fmac_f32_e32 v63, v75, v51
	v_fmac_f32_e32 v78, v75, v53
	v_add_f32_e32 v72, v65, v72
	s_delay_alu instid0(VALU_DEP_4) | instskip(NEXT) | instid1(VALU_DEP_4)
	v_fma_f32 v73, v74, v53, -v73
	v_add_f32_e32 v79, v64, v63
	s_delay_alu instid0(VALU_DEP_2)
	v_dual_add_f32 v68, v68, v73 :: v_dual_add_f32 v31, v31, v66
	ds_load_b128 v[63:66], v42 offset:4144
	s_wait_dscnt 0x1
	v_mul_f32_e32 v74, v60, v52
	v_dual_mul_f32 v52, v59, v52 :: v_dual_mul_f32 v73, v60, v54
	v_dual_mul_f32 v75, v59, v54 :: v_dual_mul_f32 v54, v77, v56
	s_delay_alu instid0(VALU_DEP_3) | instskip(NEXT) | instid1(VALU_DEP_3)
	v_fma_f32 v74, v59, v51, -v74
	v_fmac_f32_e32 v52, v60, v51
	s_delay_alu instid0(VALU_DEP_4) | instskip(NEXT) | instid1(VALU_DEP_4)
	v_fma_f32 v51, v59, v53, -v73
	v_fmac_f32_e32 v75, v60, v53
	s_delay_alu instid0(VALU_DEP_3)
	v_dual_add_f32 v59, v70, v74 :: v_dual_add_f32 v70, v71, v52
	v_fma_f32 v71, v76, v55, -v54
	v_mul_f32_e32 v74, v62, v56
	v_add_f32_e32 v60, v67, v51
	ds_load_2addr_b64 v[51:54], v41 offset0:192 offset1:208
	v_mul_f32_e32 v67, v76, v56
	v_mul_f32_e32 v73, v77, v58
	v_add_f32_e32 v71, v72, v71
	v_mul_f32_e32 v72, v76, v58
	v_mul_f32_e32 v56, v61, v56
	v_fmac_f32_e32 v67, v77, v55
	v_fma_f32 v73, v76, v57, -v73
	s_delay_alu instid0(VALU_DEP_4) | instskip(NEXT) | instid1(VALU_DEP_4)
	v_fmac_f32_e32 v72, v77, v57
	v_dual_fmac_f32 v56, v62, v55 :: v_dual_add_f32 v69, v69, v78
	s_delay_alu instid0(VALU_DEP_3) | instskip(SKIP_2) | instid1(VALU_DEP_4)
	v_add_f32_e32 v68, v68, v73
	v_fma_f32 v73, v61, v55, -v74
	v_mul_f32_e32 v55, v62, v58
	v_add_f32_e32 v70, v70, v56
	v_add_f32_e32 v69, v69, v72
	v_dual_mul_f32 v72, v61, v58 :: v_dual_add_f32 v31, v31, v75
	s_delay_alu instid0(VALU_DEP_4) | instskip(SKIP_2) | instid1(VALU_DEP_3)
	v_fma_f32 v61, v61, v57, -v55
	s_wait_dscnt 0x0
	v_mul_f32_e32 v74, v0, v54
	v_fmac_f32_e32 v72, v62, v57
	ds_load_2addr_b64 v[55:58], v41 offset0:224 offset1:240
	v_mul_f32_e32 v62, v0, v52
	v_fmac_f32_e32 v74, v1, v53
	v_add_f32_e32 v59, v59, v73
	v_dual_mul_f32 v73, v1, v52 :: v_dual_add_f32 v60, v60, v61
	s_delay_alu instid0(VALU_DEP_4) | instskip(NEXT) | instid1(VALU_DEP_2)
	v_fmac_f32_e32 v62, v1, v51
	v_fma_f32 v61, v0, v51, -v73
	v_mul_f32_e32 v73, v1, v54
	v_mul_f32_e32 v1, v64, v52
	;; [unrolled: 1-line block ×3, first 2 shown]
	s_delay_alu instid0(VALU_DEP_3) | instskip(SKIP_1) | instid1(VALU_DEP_4)
	v_fma_f32 v0, v0, v53, -v73
	v_add_f32_e32 v67, v79, v67
	v_fma_f32 v1, v63, v51, -v1
	s_delay_alu instid0(VALU_DEP_4) | instskip(NEXT) | instid1(VALU_DEP_4)
	v_dual_fmac_f32 v52, v64, v51 :: v_dual_add_f32 v71, v71, v61
	v_add_f32_e32 v0, v68, v0
	v_mul_f32_e32 v61, v64, v54
	v_add_f32_e32 v68, v69, v74
	v_mul_f32_e32 v69, v63, v54
	s_wait_dscnt 0x0
	v_mul_f32_e32 v54, v3, v56
	v_mul_f32_e32 v73, v3, v58
	v_fma_f32 v51, v63, v53, -v61
	v_add_f32_e32 v63, v59, v1
	v_add_f32_e32 v67, v67, v62
	v_fma_f32 v1, v2, v55, -v54
	v_fmac_f32_e32 v69, v64, v53
	s_delay_alu instid0(VALU_DEP_2)
	v_dual_add_f32 v64, v60, v51 :: v_dual_add_f32 v71, v71, v1
	v_fma_f32 v1, v2, v57, -v73
	v_add_f32_e32 v31, v31, v72
	v_add_f32_e32 v72, v70, v52
	ds_load_b128 v[51:54], v42 offset:64
	ds_load_2addr_b64 v[59:62], v46 offset1:16
	v_mul_f32_e32 v70, v2, v56
	v_add_f32_e32 v74, v0, v1
	v_add_f32_e32 v31, v31, v69
	s_delay_alu instid0(VALU_DEP_3) | instskip(NEXT) | instid1(VALU_DEP_1)
	v_fmac_f32_e32 v70, v3, v55
	v_add_f32_e32 v73, v67, v70
	v_mul_f32_e32 v70, v66, v58
	s_wait_dscnt 0x0
	v_mul_f32_e32 v78, v51, v62
	v_mul_f32_e32 v69, v2, v58
	;; [unrolled: 1-line block ×4, first 2 shown]
	s_delay_alu instid0(VALU_DEP_4) | instskip(NEXT) | instid1(VALU_DEP_4)
	v_fmac_f32_e32 v78, v52, v61
	v_fmac_f32_e32 v69, v3, v57
	s_delay_alu instid0(VALU_DEP_4)
	v_fma_f32 v67, v65, v55, -v2
	ds_load_b128 v[0:3], v42 offset:4160
	v_fmac_f32_e32 v56, v66, v55
	v_fma_f32 v55, v65, v57, -v70
	v_dual_add_f32 v75, v68, v69 :: v_dual_add_f32 v76, v63, v67
	ds_load_b128 v[67:70], v42 offset:80
	v_dual_add_f32 v72, v72, v56 :: v_dual_mul_f32 v63, v65, v58
	v_mul_f32_e32 v65, v51, v60
	s_delay_alu instid0(VALU_DEP_2) | instskip(NEXT) | instid1(VALU_DEP_2)
	v_dual_mul_f32 v58, v52, v60 :: v_dual_fmac_f32 v63, v66, v57
	v_fmac_f32_e32 v65, v52, v59
	v_mul_f32_e32 v66, v52, v62
	s_wait_dscnt 0x1
	v_mul_f32_e32 v52, v0, v60
	s_delay_alu instid0(VALU_DEP_1)
	v_dual_fmac_f32 v52, v1, v59 :: v_dual_add_f32 v75, v75, v78
	v_mul_f32_e32 v78, v0, v62
	v_add_f32_e32 v77, v64, v55
	v_fma_f32 v64, v51, v59, -v58
	ds_load_2addr_b64 v[55:58], v46 offset0:32 offset1:48
	v_fma_f32 v51, v51, v61, -v66
	v_mul_f32_e32 v79, v1, v60
	v_dual_mul_f32 v60, v1, v62 :: v_dual_add_f32 v71, v71, v64
	s_delay_alu instid0(VALU_DEP_3) | instskip(NEXT) | instid1(VALU_DEP_3)
	v_dual_fmac_f32 v78, v1, v61 :: v_dual_add_f32 v51, v74, v51
	v_fma_f32 v74, v0, v59, -v79
	s_delay_alu instid0(VALU_DEP_3) | instskip(SKIP_1) | instid1(VALU_DEP_3)
	v_fma_f32 v0, v0, v61, -v60
	v_add_f32_e32 v52, v72, v52
	v_dual_add_f32 v74, v76, v74 :: v_dual_add_f32 v31, v31, v63
	s_delay_alu instid0(VALU_DEP_3)
	v_add_f32_e32 v72, v77, v0
	v_add_f32_e32 v73, v73, v65
	ds_load_b128 v[63:66], v42 offset:4176
	s_wait_dscnt 0x1
	v_mul_f32_e32 v59, v54, v56
	v_mul_f32_e32 v76, v54, v58
	;; [unrolled: 1-line block ×3, first 2 shown]
	s_delay_alu instid0(VALU_DEP_3)
	v_fma_f32 v1, v53, v55, -v59
	ds_load_2addr_b64 v[59:62], v46 offset0:64 offset1:80
	v_dual_fmac_f32 v0, v54, v55 :: v_dual_add_f32 v71, v71, v1
	v_mul_f32_e32 v1, v53, v58
	v_fma_f32 v53, v53, v57, -v76
	v_mul_f32_e32 v76, v3, v56
	s_delay_alu instid0(VALU_DEP_2) | instskip(SKIP_1) | instid1(VALU_DEP_2)
	v_dual_mul_f32 v56, v2, v56 :: v_dual_add_f32 v51, v51, v53
	v_mul_f32_e32 v53, v3, v58
	v_fmac_f32_e32 v56, v3, v55
	s_delay_alu instid0(VALU_DEP_2) | instskip(NEXT) | instid1(VALU_DEP_2)
	v_fma_f32 v53, v2, v57, -v53
	v_add_f32_e32 v52, v52, v56
	s_wait_dscnt 0x0
	v_dual_mul_f32 v56, v68, v60 :: v_dual_fmac_f32 v1, v54, v57
	s_delay_alu instid0(VALU_DEP_3)
	v_add_f32_e32 v53, v72, v53
	v_dual_mul_f32 v72, v68, v62 :: v_dual_add_f32 v73, v73, v0
	v_fma_f32 v0, v2, v55, -v76
	v_add_f32_e32 v31, v31, v78
	v_dual_mul_f32 v55, v2, v58 :: v_dual_add_f32 v54, v75, v1
	v_fma_f32 v56, v67, v59, -v56
	s_delay_alu instid0(VALU_DEP_4) | instskip(SKIP_1) | instid1(VALU_DEP_3)
	v_add_f32_e32 v58, v74, v0
	v_mul_f32_e32 v74, v67, v62
	v_add_f32_e32 v71, v71, v56
	v_mul_f32_e32 v56, v64, v60
	s_delay_alu instid0(VALU_DEP_3)
	v_fmac_f32_e32 v74, v68, v61
	v_fmac_f32_e32 v55, v3, v57
	v_mul_f32_e32 v57, v67, v60
	ds_load_2addr_b64 v[0:3], v46 offset0:96 offset1:112
	v_dual_fmac_f32 v57, v68, v59 :: v_dual_add_f32 v68, v54, v74
	v_add_f32_e32 v31, v31, v55
	v_fma_f32 v55, v67, v61, -v72
	v_fma_f32 v54, v63, v59, -v56
	s_delay_alu instid0(VALU_DEP_4) | instskip(SKIP_1) | instid1(VALU_DEP_4)
	v_add_f32_e32 v67, v73, v57
	v_mul_f32_e32 v57, v63, v60
	v_dual_add_f32 v60, v51, v55 :: v_dual_mul_f32 v51, v64, v62
	s_delay_alu instid0(VALU_DEP_2) | instskip(SKIP_1) | instid1(VALU_DEP_3)
	v_fmac_f32_e32 v57, v64, v59
	v_mul_f32_e32 v59, v63, v62
	v_fma_f32 v51, v63, v61, -v51
	v_add_f32_e32 v63, v58, v54
	s_wait_dscnt 0x0
	v_mul_f32_e32 v55, v70, v1
	v_fmac_f32_e32 v59, v64, v61
	v_mul_f32_e32 v62, v69, v1
	v_add_f32_e32 v72, v52, v57
	v_add_f32_e32 v64, v53, v51
	v_fma_f32 v61, v69, v0, -v55
	ds_load_b128 v[51:54], v42 offset:96
	ds_load_2addr_b64 v[55:58], v46 offset0:128 offset1:144
	v_mul_f32_e32 v73, v70, v3
	v_dual_fmac_f32 v62, v70, v0 :: v_dual_add_f32 v31, v31, v59
	v_mul_f32_e32 v59, v69, v3
	v_add_f32_e32 v71, v71, v61
	s_delay_alu instid0(VALU_DEP_4) | instskip(NEXT) | instid1(VALU_DEP_4)
	v_fma_f32 v61, v69, v2, -v73
	v_add_f32_e32 v73, v67, v62
	s_delay_alu instid0(VALU_DEP_2) | instskip(NEXT) | instid1(VALU_DEP_1)
	v_dual_fmac_f32 v59, v70, v2 :: v_dual_add_f32 v74, v60, v61
	v_add_f32_e32 v75, v68, v59
	ds_load_b128 v[59:62], v42 offset:4192
	v_mul_f32_e32 v69, v66, v1
	s_wait_dscnt 0x1
	v_dual_mul_f32 v1, v65, v1 :: v_dual_mul_f32 v78, v51, v58
	s_delay_alu instid0(VALU_DEP_2) | instskip(SKIP_1) | instid1(VALU_DEP_3)
	v_fma_f32 v67, v65, v0, -v69
	v_mul_f32_e32 v69, v66, v3
	v_dual_fmac_f32 v1, v66, v0 :: v_dual_fmac_f32 v78, v52, v57
	s_delay_alu instid0(VALU_DEP_3) | instskip(NEXT) | instid1(VALU_DEP_3)
	v_add_f32_e32 v76, v63, v67
	v_fma_f32 v0, v65, v2, -v69
	ds_load_b128 v[67:70], v42 offset:112
	v_mul_f32_e32 v63, v65, v3
	v_mul_f32_e32 v3, v52, v56
	v_add_f32_e32 v72, v72, v1
	v_add_f32_e32 v77, v64, v0
	s_delay_alu instid0(VALU_DEP_4) | instskip(NEXT) | instid1(VALU_DEP_4)
	v_fmac_f32_e32 v63, v66, v2
	v_fma_f32 v64, v51, v55, -v3
	ds_load_2addr_b64 v[0:3], v46 offset0:160 offset1:176
	v_dual_mul_f32 v65, v51, v56 :: v_dual_mul_f32 v66, v52, v58
	s_wait_dscnt 0x2
	v_mul_f32_e32 v79, v60, v56
	s_delay_alu instid0(VALU_DEP_2) | instskip(NEXT) | instid1(VALU_DEP_3)
	v_dual_fmac_f32 v65, v52, v55 :: v_dual_mul_f32 v52, v59, v56
	v_fma_f32 v51, v51, v57, -v66
	v_mul_f32_e32 v56, v60, v58
	s_delay_alu instid0(VALU_DEP_3) | instskip(NEXT) | instid1(VALU_DEP_3)
	v_fmac_f32_e32 v52, v60, v55
	v_add_f32_e32 v51, v74, v51
	v_fma_f32 v74, v59, v55, -v79
	s_delay_alu instid0(VALU_DEP_4)
	v_fma_f32 v55, v59, v57, -v56
	v_add_f32_e32 v71, v71, v64
	v_add_f32_e32 v52, v72, v52
	s_wait_dscnt 0x0
	v_mul_f32_e32 v56, v54, v1
	v_mul_f32_e32 v72, v53, v1
	s_delay_alu instid0(VALU_DEP_1) | instskip(SKIP_4) | instid1(VALU_DEP_2)
	v_dual_fmac_f32 v72, v54, v0 :: v_dual_add_f32 v75, v75, v78
	v_mul_f32_e32 v78, v59, v58
	v_add_f32_e32 v59, v76, v74
	v_fma_f32 v74, v53, v0, -v56
	v_mul_f32_e32 v76, v54, v3
	v_dual_fmac_f32 v78, v60, v57 :: v_dual_add_f32 v71, v71, v74
	v_mul_f32_e32 v74, v53, v3
	s_delay_alu instid0(VALU_DEP_3) | instskip(SKIP_1) | instid1(VALU_DEP_3)
	v_fma_f32 v53, v53, v2, -v76
	v_mul_f32_e32 v76, v62, v1
	v_dual_mul_f32 v1, v61, v1 :: v_dual_fmac_f32 v74, v54, v2
	s_delay_alu instid0(VALU_DEP_3) | instskip(NEXT) | instid1(VALU_DEP_3)
	v_add_f32_e32 v51, v51, v53
	v_fma_f32 v53, v61, v0, -v76
	s_delay_alu instid0(VALU_DEP_3)
	v_fmac_f32_e32 v1, v62, v0
	v_mul_f32_e32 v0, v62, v3
	v_add_f32_e32 v54, v75, v74
	v_add_f32_e32 v60, v77, v55
	ds_load_2addr_b64 v[55:58], v46 offset0:192 offset1:208
	v_add_f32_e32 v73, v73, v65
	v_add_f32_e32 v52, v52, v1
	s_wait_dscnt 0x0
	v_mul_f32_e32 v74, v67, v58
	s_delay_alu instid0(VALU_DEP_3) | instskip(NEXT) | instid1(VALU_DEP_2)
	v_add_f32_e32 v72, v73, v72
	v_dual_mul_f32 v73, v61, v3 :: v_dual_fmac_f32 v74, v68, v57
	s_delay_alu instid0(VALU_DEP_1) | instskip(NEXT) | instid1(VALU_DEP_1)
	v_dual_fmac_f32 v73, v62, v2 :: v_dual_mul_f32 v62, v67, v56
	v_fmac_f32_e32 v62, v68, v55
	v_add_f32_e32 v31, v31, v63
	ds_load_b128 v[63:66], v42 offset:4208
	v_dual_add_f32 v62, v72, v62 :: v_dual_add_f32 v53, v59, v53
	v_fma_f32 v59, v61, v2, -v0
	ds_load_2addr_b64 v[0:3], v46 offset0:224 offset1:240
	v_mul_f32_e32 v61, v68, v56
	v_add_f32_e32 v59, v60, v59
	s_delay_alu instid0(VALU_DEP_2) | instskip(SKIP_2) | instid1(VALU_DEP_2)
	v_fma_f32 v60, v67, v55, -v61
	v_mul_f32_e32 v61, v68, v58
	v_add_f32_e32 v68, v54, v74
	v_fma_f32 v61, v67, v57, -v61
	s_wait_dscnt 0x1
	v_mul_f32_e32 v67, v64, v56
	v_mul_f32_e32 v56, v63, v56
	v_add_f32_e32 v31, v31, v78
	s_delay_alu instid0(VALU_DEP_3) | instskip(SKIP_4) | instid1(VALU_DEP_3)
	v_fma_f32 v54, v63, v55, -v67
	s_wait_dscnt 0x0
	v_mul_f32_e32 v72, v69, v1
	v_dual_fmac_f32 v56, v64, v55 :: v_dual_mul_f32 v55, v70, v1
	v_add_f32_e32 v60, v71, v60
	v_dual_fmac_f32 v72, v70, v0 :: v_dual_add_f32 v61, v51, v61
	v_mul_f32_e32 v51, v64, v58
	s_delay_alu instid0(VALU_DEP_4) | instskip(NEXT) | instid1(VALU_DEP_3)
	v_add_f32_e32 v71, v52, v56
	v_dual_add_f32 v72, v62, v72 :: v_dual_mul_f32 v67, v63, v58
	s_delay_alu instid0(VALU_DEP_3) | instskip(SKIP_1) | instid1(VALU_DEP_2)
	v_fma_f32 v51, v63, v57, -v51
	v_add_f32_e32 v63, v53, v54
	v_dual_fmac_f32 v67, v64, v57 :: v_dual_add_f32 v64, v59, v51
	v_fma_f32 v59, v69, v0, -v55
	ds_load_b128 v[51:54], v42 offset:128
	ds_load_2addr_b64 v[55:58], v47 offset1:16
	v_add_f32_e32 v31, v31, v73
	v_mul_f32_e32 v73, v70, v3
	v_add_f32_e32 v74, v60, v59
	s_delay_alu instid0(VALU_DEP_3) | instskip(NEXT) | instid1(VALU_DEP_3)
	v_dual_mul_f32 v60, v66, v1 :: v_dual_add_f32 v31, v31, v67
	v_fma_f32 v59, v69, v2, -v73
	v_mul_f32_e32 v67, v69, v3
	v_mul_f32_e32 v1, v65, v1
	s_delay_alu instid0(VALU_DEP_4) | instskip(NEXT) | instid1(VALU_DEP_4)
	v_fma_f32 v69, v65, v0, -v60
	v_add_f32_e32 v73, v61, v59
	ds_load_b128 v[59:62], v42 offset:4224
	v_fmac_f32_e32 v67, v70, v2
	v_mul_f32_e32 v70, v66, v3
	v_fmac_f32_e32 v1, v66, v0
	s_wait_dscnt 0x1
	s_delay_alu instid0(VALU_DEP_3) | instskip(NEXT) | instid1(VALU_DEP_3)
	v_dual_add_f32 v75, v68, v67 :: v_dual_mul_f32 v78, v51, v58
	v_fma_f32 v0, v65, v2, -v70
	s_delay_alu instid0(VALU_DEP_2)
	v_fmac_f32_e32 v78, v52, v57
	v_dual_add_f32 v76, v63, v69 :: v_dual_mul_f32 v63, v65, v3
	ds_load_b128 v[67:70], v42 offset:144
	v_mul_f32_e32 v3, v52, v56
	v_mul_f32_e32 v65, v51, v56
	v_add_f32_e32 v77, v64, v0
	v_fmac_f32_e32 v63, v66, v2
	v_mul_f32_e32 v66, v52, v58
	v_fma_f32 v64, v51, v55, -v3
	v_fmac_f32_e32 v65, v52, v55
	s_wait_dscnt 0x1
	v_mul_f32_e32 v79, v60, v56
	v_mul_f32_e32 v52, v59, v56
	v_fma_f32 v51, v51, v57, -v66
	v_mul_f32_e32 v56, v60, v58
	v_add_f32_e32 v75, v75, v78
	v_mul_f32_e32 v78, v59, v58
	v_fmac_f32_e32 v52, v60, v55
	v_add_f32_e32 v51, v73, v51
	v_fma_f32 v73, v59, v55, -v79
	v_fma_f32 v55, v59, v57, -v56
	v_fmac_f32_e32 v78, v60, v57
	v_add_f32_e32 v74, v74, v64
	v_add_f32_e32 v72, v72, v65
	s_delay_alu instid0(VALU_DEP_4)
	v_dual_add_f32 v59, v76, v73 :: v_dual_add_f32 v60, v77, v55
	v_add_f32_e32 v71, v71, v1
	ds_load_2addr_b64 v[0:3], v47 offset0:32 offset1:48
	v_add_f32_e32 v52, v71, v52
	s_wait_dscnt 0x0
	v_mul_f32_e32 v56, v54, v1
	v_mul_f32_e32 v76, v54, v3
	s_delay_alu instid0(VALU_DEP_2) | instskip(SKIP_3) | instid1(VALU_DEP_2)
	v_fma_f32 v73, v53, v0, -v56
	ds_load_2addr_b64 v[55:58], v47 offset0:64 offset1:80
	v_mul_f32_e32 v71, v53, v1
	v_dual_add_f32 v73, v74, v73 :: v_dual_mul_f32 v74, v53, v3
	v_fmac_f32_e32 v71, v54, v0
	v_fma_f32 v53, v53, v2, -v76
	v_mul_f32_e32 v76, v62, v1
	s_delay_alu instid0(VALU_DEP_4) | instskip(NEXT) | instid1(VALU_DEP_4)
	v_dual_mul_f32 v1, v61, v1 :: v_dual_fmac_f32 v74, v54, v2
	v_add_f32_e32 v71, v72, v71
	s_delay_alu instid0(VALU_DEP_4) | instskip(NEXT) | instid1(VALU_DEP_4)
	v_dual_mul_f32 v72, v61, v3 :: v_dual_add_f32 v51, v51, v53
	v_fma_f32 v53, v61, v0, -v76
	s_delay_alu instid0(VALU_DEP_4) | instskip(SKIP_1) | instid1(VALU_DEP_3)
	v_fmac_f32_e32 v1, v62, v0
	v_mul_f32_e32 v0, v62, v3
	v_dual_fmac_f32 v72, v62, v2 :: v_dual_add_f32 v53, v59, v53
	s_wait_dscnt 0x0
	v_mul_f32_e32 v62, v67, v56
	s_delay_alu instid0(VALU_DEP_3)
	v_fma_f32 v59, v61, v2, -v0
	v_mul_f32_e32 v61, v68, v56
	v_add_f32_e32 v52, v52, v1
	ds_load_2addr_b64 v[0:3], v47 offset0:96 offset1:112
	v_fmac_f32_e32 v62, v68, v55
	v_add_f32_e32 v54, v75, v74
	v_mul_f32_e32 v74, v67, v58
	v_add_f32_e32 v31, v31, v63
	ds_load_b128 v[63:66], v42 offset:4240
	v_add_f32_e32 v59, v60, v59
	v_fma_f32 v60, v67, v55, -v61
	v_mul_f32_e32 v61, v68, v58
	v_dual_fmac_f32 v74, v68, v57 :: v_dual_add_f32 v31, v31, v78
	s_delay_alu instid0(VALU_DEP_3) | instskip(NEXT) | instid1(VALU_DEP_3)
	v_add_f32_e32 v60, v73, v60
	v_fma_f32 v61, v67, v57, -v61
	s_delay_alu instid0(VALU_DEP_3)
	v_dual_add_f32 v68, v54, v74 :: v_dual_add_f32 v31, v31, v72
	s_wait_dscnt 0x1
	v_dual_mul_f32 v72, v69, v1 :: v_dual_mul_f32 v73, v70, v3
	s_wait_dscnt 0x0
	v_mul_f32_e32 v67, v64, v56
	v_mul_f32_e32 v56, v63, v56
	s_delay_alu instid0(VALU_DEP_3) | instskip(NEXT) | instid1(VALU_DEP_3)
	v_fmac_f32_e32 v72, v70, v0
	v_fma_f32 v54, v63, v55, -v67
	s_delay_alu instid0(VALU_DEP_3) | instskip(SKIP_1) | instid1(VALU_DEP_2)
	v_dual_mul_f32 v67, v63, v58 :: v_dual_fmac_f32 v56, v64, v55
	v_mul_f32_e32 v55, v70, v1
	v_fmac_f32_e32 v67, v64, v57
	s_delay_alu instid0(VALU_DEP_1) | instskip(SKIP_1) | instid1(VALU_DEP_1)
	v_add_f32_e32 v31, v31, v67
	v_mul_f32_e32 v67, v69, v3
	v_fmac_f32_e32 v67, v70, v2
	v_dual_mul_f32 v70, v66, v3 :: v_dual_add_f32 v61, v51, v61
	v_mul_f32_e32 v51, v64, v58
	s_delay_alu instid0(VALU_DEP_3) | instskip(NEXT) | instid1(VALU_DEP_2)
	v_add_f32_e32 v75, v68, v67
	v_fma_f32 v51, v63, v57, -v51
	s_delay_alu instid0(VALU_DEP_1) | instskip(SKIP_1) | instid1(VALU_DEP_1)
	v_dual_add_f32 v63, v53, v54 :: v_dual_add_f32 v64, v59, v51
	v_fma_f32 v59, v69, v0, -v55
	v_add_f32_e32 v74, v60, v59
	v_mul_f32_e32 v60, v66, v1
	v_mul_f32_e32 v1, v65, v1
	v_fma_f32 v59, v69, v2, -v73
	v_add_f32_e32 v62, v71, v62
	s_delay_alu instid0(VALU_DEP_4) | instskip(NEXT) | instid1(VALU_DEP_4)
	v_fma_f32 v69, v65, v0, -v60
	v_fmac_f32_e32 v1, v66, v0
	v_fma_f32 v0, v65, v2, -v70
	s_delay_alu instid0(VALU_DEP_4) | instskip(NEXT) | instid1(VALU_DEP_4)
	v_add_f32_e32 v72, v62, v72
	v_dual_add_f32 v76, v63, v69 :: v_dual_mul_f32 v63, v65, v3
	s_delay_alu instid0(VALU_DEP_3)
	v_add_f32_e32 v77, v64, v0
	v_add_f32_e32 v71, v52, v56
	ds_load_b128 v[51:54], v42 offset:160
	ds_load_2addr_b64 v[55:58], v47 offset0:128 offset1:144
	ds_load_b128 v[67:70], v42 offset:176
	v_fmac_f32_e32 v63, v66, v2
	s_wait_dscnt 0x1
	v_dual_mul_f32 v78, v51, v58 :: v_dual_mul_f32 v3, v52, v56
	v_dual_mul_f32 v65, v51, v56 :: v_dual_mul_f32 v66, v52, v58
	s_delay_alu instid0(VALU_DEP_2) | instskip(NEXT) | instid1(VALU_DEP_3)
	v_fmac_f32_e32 v78, v52, v57
	v_fma_f32 v64, v51, v55, -v3
	s_delay_alu instid0(VALU_DEP_3) | instskip(NEXT) | instid1(VALU_DEP_4)
	v_fmac_f32_e32 v65, v52, v55
	v_fma_f32 v51, v51, v57, -v66
	s_delay_alu instid0(VALU_DEP_4)
	v_add_f32_e32 v75, v75, v78
	v_add_f32_e32 v73, v61, v59
	ds_load_b128 v[59:62], v42 offset:4256
	v_add_f32_e32 v74, v74, v64
	v_dual_add_f32 v72, v72, v65 :: v_dual_add_f32 v51, v73, v51
	s_wait_dscnt 0x0
	v_mul_f32_e32 v79, v60, v56
	v_mul_f32_e32 v52, v59, v56
	;; [unrolled: 1-line block ×4, first 2 shown]
	s_delay_alu instid0(VALU_DEP_4) | instskip(NEXT) | instid1(VALU_DEP_4)
	v_fma_f32 v73, v59, v55, -v79
	v_fmac_f32_e32 v52, v60, v55
	s_delay_alu instid0(VALU_DEP_4) | instskip(NEXT) | instid1(VALU_DEP_4)
	v_fma_f32 v55, v59, v57, -v56
	v_fmac_f32_e32 v78, v60, v57
	s_delay_alu instid0(VALU_DEP_2)
	v_dual_add_f32 v59, v76, v73 :: v_dual_add_f32 v60, v77, v55
	v_add_f32_e32 v71, v71, v1
	ds_load_2addr_b64 v[0:3], v47 offset0:160 offset1:176
	v_add_f32_e32 v52, v71, v52
	s_wait_dscnt 0x0
	v_mul_f32_e32 v56, v54, v1
	v_dual_mul_f32 v71, v53, v1 :: v_dual_mul_f32 v76, v54, v3
	s_delay_alu instid0(VALU_DEP_2)
	v_fma_f32 v73, v53, v0, -v56
	ds_load_2addr_b64 v[55:58], v47 offset0:192 offset1:208
	v_fmac_f32_e32 v71, v54, v0
	v_dual_add_f32 v73, v74, v73 :: v_dual_mul_f32 v74, v53, v3
	v_fma_f32 v53, v53, v2, -v76
	v_mul_f32_e32 v76, v62, v1
	v_mul_f32_e32 v1, v61, v1
	s_delay_alu instid0(VALU_DEP_4) | instskip(NEXT) | instid1(VALU_DEP_4)
	v_dual_add_f32 v71, v72, v71 :: v_dual_fmac_f32 v74, v54, v2
	v_dual_mul_f32 v72, v61, v3 :: v_dual_add_f32 v51, v51, v53
	s_delay_alu instid0(VALU_DEP_4) | instskip(NEXT) | instid1(VALU_DEP_3)
	v_fma_f32 v53, v61, v0, -v76
	v_dual_fmac_f32 v1, v62, v0 :: v_dual_add_f32 v54, v75, v74
	v_mul_f32_e32 v0, v62, v3
	s_delay_alu instid0(VALU_DEP_3) | instskip(NEXT) | instid1(VALU_DEP_3)
	v_dual_fmac_f32 v72, v62, v2 :: v_dual_add_f32 v53, v59, v53
	v_add_f32_e32 v52, v52, v1
	s_wait_dscnt 0x0
	v_mul_f32_e32 v74, v67, v58
	v_mul_f32_e32 v62, v67, v56
	v_fma_f32 v59, v61, v2, -v0
	v_mul_f32_e32 v61, v68, v56
	ds_load_2addr_b64 v[0:3], v47 offset0:224 offset1:240
	v_dual_fmac_f32 v74, v68, v57 :: v_dual_add_f32 v31, v31, v63
	ds_load_b128 v[63:66], v42 offset:4272
	v_add_f32_e32 v59, v60, v59
	v_fma_f32 v60, v67, v55, -v61
	v_mul_f32_e32 v61, v68, v58
	v_fmac_f32_e32 v62, v68, v55
	v_add_f32_e32 v68, v54, v74
	s_delay_alu instid0(VALU_DEP_4) | instskip(NEXT) | instid1(VALU_DEP_4)
	v_dual_add_f32 v31, v31, v78 :: v_dual_add_f32 v60, v73, v60
	v_fma_f32 v61, v67, v57, -v61
	s_wait_dscnt 0x1
	s_delay_alu instid0(VALU_DEP_2)
	v_dual_add_f32 v31, v31, v72 :: v_dual_mul_f32 v72, v69, v1
	v_mul_f32_e32 v73, v70, v3
	s_wait_dscnt 0x0
	v_mul_f32_e32 v67, v64, v56
	v_mul_f32_e32 v56, v63, v56
	v_fmac_f32_e32 v72, v70, v0
	s_delay_alu instid0(VALU_DEP_3) | instskip(NEXT) | instid1(VALU_DEP_3)
	v_fma_f32 v54, v63, v55, -v67
	v_dual_mul_f32 v67, v63, v58 :: v_dual_fmac_f32 v56, v64, v55
	v_mul_f32_e32 v55, v70, v1
	s_delay_alu instid0(VALU_DEP_2) | instskip(NEXT) | instid1(VALU_DEP_1)
	v_fmac_f32_e32 v67, v64, v57
	v_add_f32_e32 v31, v31, v67
	v_mul_f32_e32 v67, v69, v3
	s_delay_alu instid0(VALU_DEP_1) | instskip(SKIP_2) | instid1(VALU_DEP_1)
	v_fmac_f32_e32 v67, v70, v2
	v_dual_mul_f32 v70, v66, v3 :: v_dual_add_f32 v61, v51, v61
	v_mul_f32_e32 v51, v64, v58
	v_fma_f32 v51, v63, v57, -v51
	s_delay_alu instid0(VALU_DEP_1) | instskip(SKIP_1) | instid1(VALU_DEP_1)
	v_dual_add_f32 v63, v53, v54 :: v_dual_add_f32 v64, v59, v51
	v_fma_f32 v59, v69, v0, -v55
	v_add_f32_e32 v74, v60, v59
	v_mul_f32_e32 v60, v66, v1
	v_dual_add_f32 v62, v71, v62 :: v_dual_add_f32 v71, v52, v56
	ds_load_b128 v[51:54], v42 offset:192
	ds_load_2addr_b64 v[55:58], v48 offset1:16
	v_fma_f32 v59, v69, v2, -v73
	v_fma_f32 v69, v65, v0, -v60
	s_delay_alu instid0(VALU_DEP_2) | instskip(SKIP_3) | instid1(VALU_DEP_2)
	v_dual_add_f32 v72, v62, v72 :: v_dual_add_f32 v73, v61, v59
	ds_load_b128 v[59:62], v42 offset:4288
	v_mul_f32_e32 v1, v65, v1
	v_dual_add_f32 v76, v63, v69 :: v_dual_mul_f32 v63, v65, v3
	v_fmac_f32_e32 v1, v66, v0
	v_fma_f32 v0, v65, v2, -v70
	s_delay_alu instid0(VALU_DEP_3) | instskip(NEXT) | instid1(VALU_DEP_3)
	v_fmac_f32_e32 v63, v66, v2
	v_add_f32_e32 v71, v71, v1
	s_delay_alu instid0(VALU_DEP_3) | instskip(SKIP_3) | instid1(VALU_DEP_2)
	v_add_f32_e32 v77, v64, v0
	s_wait_dscnt 0x1
	v_dual_mul_f32 v3, v52, v56 :: v_dual_mul_f32 v78, v51, v58
	v_mul_f32_e32 v66, v52, v58
	v_fma_f32 v64, v51, v55, -v3
	ds_load_2addr_b64 v[0:3], v48 offset0:32 offset1:48
	v_add_f32_e32 v75, v68, v67
	ds_load_b128 v[67:70], v42 offset:208
	v_dual_mul_f32 v65, v51, v56 :: v_dual_fmac_f32 v78, v52, v57
	v_fma_f32 v51, v51, v57, -v66
	s_wait_dscnt 0x2
	v_mul_f32_e32 v79, v60, v56
	s_delay_alu instid0(VALU_DEP_3) | instskip(SKIP_2) | instid1(VALU_DEP_4)
	v_dual_add_f32 v74, v74, v64 :: v_dual_fmac_f32 v65, v52, v55
	v_mul_f32_e32 v52, v59, v56
	v_dual_mul_f32 v56, v60, v58 :: v_dual_add_f32 v51, v73, v51
	v_fma_f32 v73, v59, v55, -v79
	s_delay_alu instid0(VALU_DEP_4) | instskip(NEXT) | instid1(VALU_DEP_4)
	v_add_f32_e32 v72, v72, v65
	v_fmac_f32_e32 v52, v60, v55
	s_delay_alu instid0(VALU_DEP_4) | instskip(SKIP_1) | instid1(VALU_DEP_2)
	v_fma_f32 v55, v59, v57, -v56
	s_wait_dscnt 0x1
	v_dual_add_f32 v52, v71, v52 :: v_dual_mul_f32 v71, v53, v1
	v_mul_f32_e32 v56, v54, v1
	s_delay_alu instid0(VALU_DEP_2) | instskip(NEXT) | instid1(VALU_DEP_1)
	v_fmac_f32_e32 v71, v54, v0
	v_add_f32_e32 v71, v72, v71
	v_mul_f32_e32 v72, v61, v3
	s_delay_alu instid0(VALU_DEP_1) | instskip(SKIP_4) | instid1(VALU_DEP_3)
	v_fmac_f32_e32 v72, v62, v2
	v_add_f32_e32 v75, v75, v78
	v_dual_mul_f32 v78, v59, v58 :: v_dual_add_f32 v59, v76, v73
	v_fma_f32 v73, v53, v0, -v56
	v_mul_f32_e32 v76, v54, v3
	v_fmac_f32_e32 v78, v60, v57
	v_add_f32_e32 v60, v77, v55
	ds_load_2addr_b64 v[55:58], v48 offset0:64 offset1:80
	v_dual_add_f32 v73, v74, v73 :: v_dual_mul_f32 v74, v53, v3
	v_fma_f32 v53, v53, v2, -v76
	v_mul_f32_e32 v76, v62, v1
	s_delay_alu instid0(VALU_DEP_3) | instskip(NEXT) | instid1(VALU_DEP_3)
	v_dual_mul_f32 v1, v61, v1 :: v_dual_fmac_f32 v74, v54, v2
	v_add_f32_e32 v51, v51, v53
	s_delay_alu instid0(VALU_DEP_3) | instskip(NEXT) | instid1(VALU_DEP_3)
	v_fma_f32 v53, v61, v0, -v76
	v_fmac_f32_e32 v1, v62, v0
	v_mul_f32_e32 v0, v62, v3
	v_add_f32_e32 v54, v75, v74
	s_delay_alu instid0(VALU_DEP_4) | instskip(NEXT) | instid1(VALU_DEP_4)
	v_add_f32_e32 v53, v59, v53
	v_add_f32_e32 v52, v52, v1
	s_delay_alu instid0(VALU_DEP_4) | instskip(SKIP_4) | instid1(VALU_DEP_2)
	v_fma_f32 v59, v61, v2, -v0
	ds_load_2addr_b64 v[0:3], v48 offset0:96 offset1:112
	s_wait_dscnt 0x1
	v_dual_mul_f32 v74, v67, v58 :: v_dual_mul_f32 v61, v68, v56
	v_dual_add_f32 v59, v60, v59 :: v_dual_mul_f32 v62, v67, v56
	v_dual_fmac_f32 v74, v68, v57 :: v_dual_add_f32 v31, v31, v63
	ds_load_b128 v[63:66], v42 offset:4304
	v_fma_f32 v60, v67, v55, -v61
	v_mul_f32_e32 v61, v68, v58
	v_fmac_f32_e32 v62, v68, v55
	v_add_f32_e32 v68, v54, v74
	s_delay_alu instid0(VALU_DEP_3) | instskip(NEXT) | instid1(VALU_DEP_3)
	v_fma_f32 v61, v67, v57, -v61
	v_add_f32_e32 v62, v71, v62
	s_delay_alu instid0(VALU_DEP_2) | instskip(SKIP_4) | instid1(VALU_DEP_2)
	v_add_f32_e32 v61, v51, v61
	v_add_f32_e32 v31, v31, v78
	s_wait_dscnt 0x0
	v_mul_f32_e32 v67, v64, v56
	v_dual_mul_f32 v56, v63, v56 :: v_dual_mul_f32 v51, v64, v58
	v_fma_f32 v54, v63, v55, -v67
	s_delay_alu instid0(VALU_DEP_2) | instskip(NEXT) | instid1(VALU_DEP_3)
	v_dual_fmac_f32 v56, v64, v55 :: v_dual_mul_f32 v67, v63, v58
	v_fma_f32 v51, v63, v57, -v51
	v_mul_f32_e32 v55, v70, v1
	s_delay_alu instid0(VALU_DEP_4) | instskip(NEXT) | instid1(VALU_DEP_4)
	v_add_f32_e32 v63, v53, v54
	v_add_f32_e32 v71, v52, v56
	s_delay_alu instid0(VALU_DEP_4) | instskip(NEXT) | instid1(VALU_DEP_4)
	v_dual_fmac_f32 v67, v64, v57 :: v_dual_add_f32 v64, v59, v51
	v_fma_f32 v59, v69, v0, -v55
	ds_load_b128 v[51:54], v42 offset:224
	ds_load_2addr_b64 v[55:58], v48 offset0:128 offset1:144
	v_dual_add_f32 v31, v31, v72 :: v_dual_mul_f32 v72, v69, v1
	s_delay_alu instid0(VALU_DEP_1) | instskip(NEXT) | instid1(VALU_DEP_2)
	v_add_f32_e32 v31, v31, v67
	v_dual_mul_f32 v67, v69, v3 :: v_dual_fmac_f32 v72, v70, v0
	s_delay_alu instid0(VALU_DEP_1) | instskip(NEXT) | instid1(VALU_DEP_1)
	v_fmac_f32_e32 v67, v70, v2
	v_dual_add_f32 v72, v62, v72 :: v_dual_add_f32 v75, v68, v67
	s_wait_dscnt 0x0
	v_dual_mul_f32 v67, v66, v3 :: v_dual_mul_f32 v78, v51, v56
	s_delay_alu instid0(VALU_DEP_1) | instskip(SKIP_1) | instid1(VALU_DEP_2)
	v_dual_mul_f32 v79, v51, v58 :: v_dual_fmac_f32 v78, v52, v55
	v_dual_add_f32 v60, v73, v60 :: v_dual_mul_f32 v73, v70, v3
	v_fmac_f32_e32 v79, v52, v57
	s_delay_alu instid0(VALU_DEP_3) | instskip(NEXT) | instid1(VALU_DEP_3)
	v_add_f32_e32 v72, v72, v78
	v_fma_f32 v69, v69, v2, -v73
	s_delay_alu instid0(VALU_DEP_4) | instskip(SKIP_2) | instid1(VALU_DEP_4)
	v_add_f32_e32 v73, v60, v59
	v_mul_f32_e32 v59, v66, v1
	v_mul_f32_e32 v1, v65, v1
	v_dual_add_f32 v75, v75, v79 :: v_dual_add_f32 v74, v61, v69
	s_delay_alu instid0(VALU_DEP_3)
	v_fma_f32 v69, v65, v0, -v59
	ds_load_b128 v[59:62], v42 offset:4320
	v_fmac_f32_e32 v1, v66, v0
	v_fma_f32 v0, v65, v2, -v67
	v_dual_add_f32 v76, v63, v69 :: v_dual_mul_f32 v63, v65, v3
	v_mul_f32_e32 v3, v52, v56
	ds_load_b128 v[67:70], v42 offset:240
	v_add_f32_e32 v71, v71, v1
	v_add_f32_e32 v77, v64, v0
	v_fmac_f32_e32 v63, v66, v2
	v_fma_f32 v64, v51, v55, -v3
	ds_load_2addr_b64 v[0:3], v48 offset0:160 offset1:176
	v_mul_f32_e32 v65, v52, v58
	v_add_f32_e32 v73, v73, v64
	s_delay_alu instid0(VALU_DEP_2) | instskip(SKIP_3) | instid1(VALU_DEP_3)
	v_fma_f32 v51, v51, v57, -v65
	s_wait_dscnt 0x2
	v_mul_f32_e32 v80, v60, v56
	v_mul_f32_e32 v52, v59, v56
	v_dual_mul_f32 v78, v59, v58 :: v_dual_add_f32 v51, v74, v51
	v_mul_f32_e32 v74, v60, v58
	s_delay_alu instid0(VALU_DEP_4) | instskip(NEXT) | instid1(VALU_DEP_4)
	v_fma_f32 v56, v59, v55, -v80
	v_fmac_f32_e32 v52, v60, v55
	s_delay_alu instid0(VALU_DEP_4) | instskip(NEXT) | instid1(VALU_DEP_4)
	v_fmac_f32_e32 v78, v60, v57
	v_fma_f32 v55, v59, v57, -v74
	s_delay_alu instid0(VALU_DEP_4) | instskip(NEXT) | instid1(VALU_DEP_4)
	v_add_f32_e32 v76, v76, v56
	v_add_f32_e32 v52, v71, v52
	s_wait_dscnt 0x0
	v_mul_f32_e32 v56, v54, v1
	v_dual_mul_f32 v59, v53, v1 :: v_dual_mul_f32 v74, v54, v3
	v_add_f32_e32 v60, v77, v55
	s_delay_alu instid0(VALU_DEP_3) | instskip(NEXT) | instid1(VALU_DEP_3)
	v_fma_f32 v71, v53, v0, -v56
	v_fmac_f32_e32 v59, v54, v0
	ds_load_2addr_b64 v[55:58], v48 offset0:192 offset1:208
	v_add_f32_e32 v71, v73, v71
	v_mul_f32_e32 v73, v53, v3
	v_fma_f32 v53, v53, v2, -v74
	v_dual_add_f32 v59, v72, v59 :: v_dual_mul_f32 v72, v62, v1
	v_mul_f32_e32 v1, v61, v1
	s_delay_alu instid0(VALU_DEP_4) | instskip(NEXT) | instid1(VALU_DEP_4)
	v_fmac_f32_e32 v73, v54, v2
	v_add_f32_e32 v51, v51, v53
	v_mul_f32_e32 v53, v62, v3
	v_fma_f32 v54, v61, v0, -v72
	s_delay_alu instid0(VALU_DEP_4) | instskip(SKIP_1) | instid1(VALU_DEP_4)
	v_dual_fmac_f32 v1, v62, v0 :: v_dual_add_f32 v72, v75, v73
	v_mul_f32_e32 v73, v61, v3
	v_fma_f32 v0, v61, v2, -v53
	s_delay_alu instid0(VALU_DEP_4) | instskip(NEXT) | instid1(VALU_DEP_4)
	v_add_f32_e32 v53, v76, v54
	v_add_f32_e32 v52, v52, v1
	s_wait_dscnt 0x0
	v_mul_f32_e32 v54, v68, v56
	v_dual_add_f32 v60, v60, v0 :: v_dual_add_f32 v31, v31, v63
	ds_load_b128 v[63:66], v42 offset:4336
	v_fmac_f32_e32 v73, v62, v2
	ds_load_2addr_b64 v[0:3], v48 offset0:224 offset1:240
	v_mul_f32_e32 v61, v67, v56
	v_fma_f32 v54, v67, v55, -v54
	v_mul_f32_e32 v62, v68, v58
	v_add_f32_e32 v31, v31, v78
	s_wait_loadcnt_dscnt 0x0
	s_delay_alu instid0(VALU_DEP_3) | instskip(NEXT) | instid1(VALU_DEP_3)
	v_dual_fmac_f32 v61, v68, v55 :: v_dual_add_f32 v54, v71, v54
	v_fma_f32 v62, v67, v57, -v62
	s_delay_alu instid0(VALU_DEP_3) | instskip(SKIP_1) | instid1(VALU_DEP_4)
	v_add_f32_e32 v31, v31, v73
	v_mul_f32_e32 v73, v67, v58
	v_add_f32_e32 v59, v59, v61
	s_barrier_signal -1
	v_add_f32_e32 v51, v51, v62
	s_barrier_wait -1
	v_fmac_f32_e32 v73, v68, v57
	global_inv scope:SCOPE_SE
	v_mul_f32_e32 v71, v64, v56
	v_mul_f32_e32 v56, v63, v56
	;; [unrolled: 1-line block ×3, first 2 shown]
	v_add_f32_e32 v67, v72, v73
	s_delay_alu instid0(VALU_DEP_4) | instskip(NEXT) | instid1(VALU_DEP_4)
	v_fma_f32 v61, v63, v55, -v71
	v_dual_fmac_f32 v56, v64, v55 :: v_dual_mul_f32 v55, v63, v58
	s_delay_alu instid0(VALU_DEP_4) | instskip(SKIP_1) | instid1(VALU_DEP_4)
	v_fma_f32 v58, v63, v57, -v62
	v_mul_f32_e32 v62, v69, v1
	v_add_f32_e32 v53, v53, v61
	v_mul_f32_e32 v61, v70, v1
	v_add_f32_e32 v63, v52, v56
	v_fmac_f32_e32 v55, v64, v57
	v_add_f32_e32 v58, v60, v58
	v_fmac_f32_e32 v62, v70, v0
	v_fma_f32 v52, v69, v0, -v61
	v_mul_f32_e32 v60, v70, v3
	v_mul_f32_e32 v61, v69, v3
	v_add_f32_e32 v31, v31, v55
	s_delay_alu instid0(VALU_DEP_4) | instskip(NEXT) | instid1(VALU_DEP_4)
	v_dual_add_f32 v57, v59, v62 :: v_dual_add_f32 v56, v54, v52
	v_fma_f32 v52, v69, v2, -v60
	v_mul_f32_e32 v55, v66, v1
	v_mul_f32_e32 v1, v65, v1
	;; [unrolled: 1-line block ×4, first 2 shown]
	v_dual_fmac_f32 v61, v70, v2 :: v_dual_add_f32 v54, v51, v52
	v_fma_f32 v51, v65, v0, -v55
	v_fmac_f32_e32 v1, v66, v0
	v_fma_f32 v0, v65, v2, -v59
	v_fmac_f32_e32 v3, v66, v2
	s_delay_alu instid0(VALU_DEP_4) | instskip(NEXT) | instid1(VALU_DEP_4)
	v_dual_add_f32 v55, v67, v61 :: v_dual_add_f32 v52, v53, v51
	v_add_f32_e32 v53, v63, v1
	s_delay_alu instid0(VALU_DEP_4) | instskip(NEXT) | instid1(VALU_DEP_4)
	v_add_f32_e32 v51, v58, v0
	v_add_f32_e32 v31, v31, v3
	s_cbranch_scc1 .LBB75_59
.LBB75_10:                              ;   Parent Loop BB75_4 Depth=1
                                        ;     Parent Loop BB75_7 Depth=2
                                        ; =>    This Inner Loop Header: Depth=3
	s_wait_alu 0xfffe
	v_add_co_u32 v0, s5, v4, s46
	s_wait_alu 0xf1ff
	v_add_co_ci_u32_e64 v1, null, s47, v5, s5
	v_cmp_eq_u64_e64 s7, s[46:47], v[12:13]
	s_delay_alu instid0(VALU_DEP_2)
	v_cmp_le_i64_e64 s6, s[40:41], v[0:1]
	v_cmp_lt_i64_e64 s5, v[0:1], v[6:7]
	s_and_b32 s58, s53, s7
	v_add_co_u32 v2, s7, v36, v20
	s_wait_alu 0xf1ff
	v_add_co_ci_u32_e64 v3, null, v37, v21, s7
	s_or_b32 s8, s6, s5
	s_wait_alu 0xfffe
	s_or_b32 s7, s8, s58
	s_wait_alu 0xfffe
	s_nor_b32 s7, s0, s7
	s_wait_alu 0xfffe
	s_and_saveexec_b32 s8, s7
	s_wait_alu 0xfffe
	s_xor_b32 s7, exec_lo, s8
	s_cbranch_execz .LBB75_12
; %bb.11:                               ;   in Loop: Header=BB75_10 Depth=3
	global_load_b64 v[58:59], v[2:3], off
	s_wait_loadcnt 0x0
	ds_store_b64 v43, v[58:59]
.LBB75_12:                              ;   in Loop: Header=BB75_10 Depth=3
	s_wait_alu 0xfffe
	s_or_saveexec_b32 s7, s7
	s_xor_b32 s57, s58, -1
	s_wait_alu 0xfffe
	s_xor_b32 exec_lo, exec_lo, s7
	s_cbranch_execz .LBB75_18
; %bb.13:                               ;   in Loop: Header=BB75_10 Depth=3
	s_and_saveexec_b32 s8, s57
	s_wait_alu 0xfffe
	s_xor_b32 s8, exec_lo, s8
; %bb.14:                               ;   in Loop: Header=BB75_10 Depth=3
	v_dual_mov_b32 v58, v25 :: v_dual_mov_b32 v59, v25
	ds_store_b64 v43, v[58:59]
; %bb.15:                               ;   in Loop: Header=BB75_10 Depth=3
	s_wait_alu 0xfffe
	s_and_not1_saveexec_b32 s8, s8
; %bb.16:                               ;   in Loop: Header=BB75_10 Depth=3
	ds_store_b64 v43, v[24:25]
; %bb.17:                               ;   in Loop: Header=BB75_10 Depth=3
	s_wait_alu 0xfffe
	s_or_b32 exec_lo, exec_lo, s8
.LBB75_18:                              ;   in Loop: Header=BB75_10 Depth=3
	s_delay_alu instid0(SALU_CYCLE_1)
	s_or_b32 exec_lo, exec_lo, s7
	v_cmp_eq_u64_e64 s7, s[46:47], v[14:15]
	v_cmp_gt_i64_e64 s8, v[10:11], v[0:1]
	s_and_b32 s7, s53, s7
	s_or_b32 s6, s6, s8
	s_wait_alu 0xfffe
	s_or_b32 s6, s6, s7
	s_wait_alu 0xfffe
	s_nor_b32 s6, s3, s6
	s_wait_alu 0xfffe
	s_and_saveexec_b32 s8, s6
	s_wait_alu 0xfffe
	s_xor_b32 s6, exec_lo, s8
	s_cbranch_execz .LBB75_20
; %bb.19:                               ;   in Loop: Header=BB75_10 Depth=3
	global_load_b64 v[2:3], v[2:3], off offset:128
	s_wait_loadcnt 0x0
	ds_store_b64 v43, v[2:3] offset:128
.LBB75_20:                              ;   in Loop: Header=BB75_10 Depth=3
	s_wait_alu 0xfffe
	s_and_not1_saveexec_b32 s6, s6
	s_cbranch_execz .LBB75_26
; %bb.21:                               ;   in Loop: Header=BB75_10 Depth=3
	s_xor_b32 s7, s7, -1
	s_wait_alu 0xfffe
	s_and_saveexec_b32 s8, s7
	s_wait_alu 0xfffe
	s_xor_b32 s7, exec_lo, s8
; %bb.22:                               ;   in Loop: Header=BB75_10 Depth=3
	v_dual_mov_b32 v2, v25 :: v_dual_mov_b32 v3, v25
	ds_store_b64 v43, v[2:3] offset:128
; %bb.23:                               ;   in Loop: Header=BB75_10 Depth=3
	s_wait_alu 0xfffe
	s_and_not1_saveexec_b32 s7, s7
; %bb.24:                               ;   in Loop: Header=BB75_10 Depth=3
	ds_store_b64 v43, v[24:25] offset:128
; %bb.25:                               ;   in Loop: Header=BB75_10 Depth=3
	s_wait_alu 0xfffe
	s_or_b32 exec_lo, exec_lo, s7
.LBB75_26:                              ;   in Loop: Header=BB75_10 Depth=3
	s_wait_alu 0xfffe
	s_or_b32 exec_lo, exec_lo, s6
	v_add_co_u32 v0, s6, v0, 16
	s_wait_alu 0xf1ff
	v_add_co_ci_u32_e64 v1, null, 0, v1, s6
	v_cmp_eq_u64_e64 s7, s[46:47], v[18:19]
	s_delay_alu instid0(VALU_DEP_2)
	v_cmp_le_i64_e64 s6, s[40:41], v[0:1]
	v_cmp_lt_i64_e64 s8, v[0:1], v[6:7]
	s_and_b32 s59, s53, s7
	v_add_co_u32 v0, s7, v38, v20
	s_wait_alu 0xf1ff
	v_add_co_ci_u32_e64 v1, null, v39, v21, s7
	s_or_b32 s8, s6, s8
	s_wait_alu 0xfffe
	s_or_b32 s7, s8, s59
	s_wait_alu 0xfffe
	s_nor_b32 s7, s0, s7
	s_wait_alu 0xfffe
	s_and_saveexec_b32 s8, s7
	s_wait_alu 0xfffe
	s_xor_b32 s7, exec_lo, s8
	s_cbranch_execz .LBB75_28
; %bb.27:                               ;   in Loop: Header=BB75_10 Depth=3
	global_load_b64 v[2:3], v[0:1], off
	s_wait_loadcnt 0x0
	ds_store_b64 v43, v[2:3] offset:4096
.LBB75_28:                              ;   in Loop: Header=BB75_10 Depth=3
	s_wait_alu 0xfffe
	s_and_not1_saveexec_b32 s7, s7
	s_cbranch_execz .LBB75_34
; %bb.29:                               ;   in Loop: Header=BB75_10 Depth=3
	s_xor_b32 s8, s59, -1
	s_wait_alu 0xfffe
	s_and_saveexec_b32 s59, s8
	s_delay_alu instid0(SALU_CYCLE_1)
	s_xor_b32 s8, exec_lo, s59
; %bb.30:                               ;   in Loop: Header=BB75_10 Depth=3
	v_dual_mov_b32 v2, v25 :: v_dual_mov_b32 v3, v25
	ds_store_b64 v43, v[2:3] offset:4096
; %bb.31:                               ;   in Loop: Header=BB75_10 Depth=3
	s_wait_alu 0xfffe
	s_and_not1_saveexec_b32 s8, s8
; %bb.32:                               ;   in Loop: Header=BB75_10 Depth=3
	ds_store_b64 v43, v[24:25] offset:4096
; %bb.33:                               ;   in Loop: Header=BB75_10 Depth=3
	s_wait_alu 0xfffe
	s_or_b32 exec_lo, exec_lo, s8
.LBB75_34:                              ;   in Loop: Header=BB75_10 Depth=3
	s_wait_alu 0xfffe
	s_or_b32 exec_lo, exec_lo, s7
	s_or_b32 s5, s6, s5
	s_wait_alu 0xfffe
	s_or_b32 s5, s5, s58
	s_wait_alu 0xfffe
	s_nor_b32 s5, s3, s5
	s_wait_alu 0xfffe
	s_and_saveexec_b32 s6, s5
	s_wait_alu 0xfffe
	s_xor_b32 s5, exec_lo, s6
	s_cbranch_execz .LBB75_36
; %bb.35:                               ;   in Loop: Header=BB75_10 Depth=3
	global_load_b64 v[0:1], v[0:1], off offset:128
	s_wait_loadcnt 0x0
	ds_store_b64 v43, v[0:1] offset:4224
.LBB75_36:                              ;   in Loop: Header=BB75_10 Depth=3
	s_wait_alu 0xfffe
	s_and_not1_saveexec_b32 s5, s5
	s_cbranch_execz .LBB75_42
; %bb.37:                               ;   in Loop: Header=BB75_10 Depth=3
	s_and_saveexec_b32 s6, s57
	s_wait_alu 0xfffe
	s_xor_b32 s6, exec_lo, s6
; %bb.38:                               ;   in Loop: Header=BB75_10 Depth=3
	v_dual_mov_b32 v0, v25 :: v_dual_mov_b32 v1, v25
	ds_store_b64 v43, v[0:1] offset:4224
; %bb.39:                               ;   in Loop: Header=BB75_10 Depth=3
	s_wait_alu 0xfffe
	s_and_not1_saveexec_b32 s6, s6
; %bb.40:                               ;   in Loop: Header=BB75_10 Depth=3
	ds_store_b64 v43, v[24:25] offset:4224
; %bb.41:                               ;   in Loop: Header=BB75_10 Depth=3
	s_wait_alu 0xfffe
	s_or_b32 exec_lo, exec_lo, s6
.LBB75_42:                              ;   in Loop: Header=BB75_10 Depth=3
	s_wait_alu 0xfffe
	s_or_b32 exec_lo, exec_lo, s5
	v_add_co_u32 v0, s5, v6, s46
	s_wait_alu 0xf1ff
	v_add_co_ci_u32_e64 v1, null, s47, v7, s5
	s_delay_alu instid0(VALU_DEP_1)
	v_cmp_gt_i64_e64 s5, s[40:41], v[0:1]
	s_and_b32 s6, vcc_lo, s5
	s_wait_alu 0xfffe
	s_xor_b32 s6, s6, -1
	s_wait_alu 0xfffe
	s_and_saveexec_b32 s7, s6
	s_wait_alu 0xfffe
	s_xor_b32 s6, exec_lo, s7
; %bb.43:                               ;   in Loop: Header=BB75_10 Depth=3
	v_dual_mov_b32 v2, v25 :: v_dual_mov_b32 v3, v25
	ds_store_b64 v44, v[2:3]
; %bb.44:                               ;   in Loop: Header=BB75_10 Depth=3
	s_wait_alu 0xfffe
	s_or_saveexec_b32 s7, s6
	v_add_co_u32 v2, s6, v32, v20
	s_wait_alu 0xf1ff
	v_add_co_ci_u32_e64 v3, null, v33, v21, s6
	s_wait_alu 0xfffe
	s_xor_b32 exec_lo, exec_lo, s7
	s_cbranch_execz .LBB75_46
; %bb.45:                               ;   in Loop: Header=BB75_10 Depth=3
	global_load_b64 v[58:59], v[2:3], off offset:-128
	s_wait_loadcnt 0x0
	ds_store_b64 v44, v[58:59]
.LBB75_46:                              ;   in Loop: Header=BB75_10 Depth=3
	s_or_b32 exec_lo, exec_lo, s7
	v_cmp_gt_i64_e64 s6, s[22:23], v[0:1]
	s_and_b32 s7, vcc_lo, s6
	s_wait_alu 0xfffe
	s_xor_b32 s7, s7, -1
	s_wait_alu 0xfffe
	s_and_saveexec_b32 s8, s7
	s_wait_alu 0xfffe
	s_xor_b32 s7, exec_lo, s8
; %bb.47:                               ;   in Loop: Header=BB75_10 Depth=3
	v_dual_mov_b32 v0, v25 :: v_dual_mov_b32 v1, v25
                                        ; implicit-def: $vgpr2_vgpr3
	ds_store_b64 v44, v[0:1] offset:128
; %bb.48:                               ;   in Loop: Header=BB75_10 Depth=3
	s_wait_alu 0xfffe
	s_and_not1_saveexec_b32 s7, s7
	s_cbranch_execz .LBB75_50
; %bb.49:                               ;   in Loop: Header=BB75_10 Depth=3
	global_load_b64 v[0:1], v[2:3], off
	s_wait_loadcnt 0x0
	ds_store_b64 v44, v[0:1] offset:128
.LBB75_50:                              ;   in Loop: Header=BB75_10 Depth=3
	s_wait_alu 0xfffe
	s_or_b32 exec_lo, exec_lo, s7
	s_and_b32 s5, s4, s5
	s_wait_alu 0xfffe
	s_xor_b32 s5, s5, -1
	s_wait_alu 0xfffe
	s_and_saveexec_b32 s7, s5
	s_wait_alu 0xfffe
	s_xor_b32 s5, exec_lo, s7
; %bb.51:                               ;   in Loop: Header=BB75_10 Depth=3
	v_dual_mov_b32 v0, v25 :: v_dual_mov_b32 v1, v25
	ds_store_b64 v44, v[0:1] offset:4096
; %bb.52:                               ;   in Loop: Header=BB75_10 Depth=3
	s_wait_alu 0xfffe
	s_or_saveexec_b32 s7, s5
	v_add_co_u32 v0, s5, v34, v20
	s_wait_alu 0xf1ff
	v_add_co_ci_u32_e64 v1, null, v35, v21, s5
	s_wait_alu 0xfffe
	s_xor_b32 exec_lo, exec_lo, s7
	s_cbranch_execz .LBB75_54
; %bb.53:                               ;   in Loop: Header=BB75_10 Depth=3
	global_load_b64 v[2:3], v[0:1], off offset:-128
	s_wait_loadcnt 0x0
	ds_store_b64 v44, v[2:3] offset:4096
.LBB75_54:                              ;   in Loop: Header=BB75_10 Depth=3
	s_or_b32 exec_lo, exec_lo, s7
	s_and_b32 s5, s4, s6
	s_wait_alu 0xfffe
	s_xor_b32 s5, s5, -1
	s_wait_alu 0xfffe
	s_and_saveexec_b32 s6, s5
	s_wait_alu 0xfffe
	s_xor_b32 s5, exec_lo, s6
; %bb.55:                               ;   in Loop: Header=BB75_10 Depth=3
	v_dual_mov_b32 v0, v25 :: v_dual_mov_b32 v1, v25
	ds_store_b64 v44, v[0:1] offset:4224
                                        ; implicit-def: $vgpr0_vgpr1
; %bb.56:                               ;   in Loop: Header=BB75_10 Depth=3
	s_wait_alu 0xfffe
	s_and_not1_saveexec_b32 s5, s5
	s_cbranch_execz .LBB75_9
; %bb.57:                               ;   in Loop: Header=BB75_10 Depth=3
	global_load_b64 v[0:1], v[0:1], off
	s_wait_loadcnt 0x0
	ds_store_b64 v44, v[0:1] offset:4224
	s_branch .LBB75_9
.LBB75_58:                              ;   in Loop: Header=BB75_7 Depth=2
	v_dual_mov_b32 v56, 0 :: v_dual_mov_b32 v57, 0
	v_dual_mov_b32 v54, 0 :: v_dual_mov_b32 v55, 0
	;; [unrolled: 1-line block ×3, first 2 shown]
	v_mov_b32_e32 v51, 0
	v_mov_b32_e32 v31, 0
.LBB75_59:                              ;   in Loop: Header=BB75_7 Depth=2
	v_mul_lo_u32 v2, s25, v49
	v_mul_lo_u32 v3, s24, v50
	v_mad_co_u64_u32 v[0:1], null, s24, v49, 0
	v_cmp_gt_i32_e32 vcc_lo, s30, v49
	s_delay_alu instid0(VALU_DEP_2) | instskip(NEXT) | instid1(VALU_DEP_1)
	v_add3_u32 v1, v1, v3, v2
	v_lshlrev_b64_e32 v[0:1], 3, v[0:1]
	s_delay_alu instid0(VALU_DEP_1) | instskip(SKIP_1) | instid1(VALU_DEP_2)
	v_add_co_u32 v0, s4, s44, v0
	s_wait_alu 0xf1ff
	v_add_co_ci_u32_e64 v1, null, s45, v1, s4
	s_and_b32 s4, s1, vcc_lo
	s_wait_alu 0xfffe
	s_and_saveexec_b32 s5, s4
	s_cbranch_execz .LBB75_61
; %bb.60:                               ;   in Loop: Header=BB75_7 Depth=2
	v_add_co_u32 v2, s4, v0, v20
	s_wait_alu 0xf1ff
	v_add_co_ci_u32_e64 v3, null, v1, v21, s4
	global_load_b64 v[32:33], v[2:3], off
	v_mul_f32_e32 v35, s36, v57
	s_delay_alu instid0(VALU_DEP_1) | instskip(NEXT) | instid1(VALU_DEP_1)
	v_dual_mul_f32 v34, s37, v57 :: v_dual_fmac_f32 v35, s37, v56
	v_fma_f32 v34, v56, s36, -v34
	s_wait_loadcnt 0x0
	s_delay_alu instid0(VALU_DEP_1)
	v_dual_add_f32 v32, v32, v34 :: v_dual_add_f32 v33, v35, v33
	global_store_b64 v[2:3], v[32:33], off
.LBB75_61:                              ;   in Loop: Header=BB75_7 Depth=2
	s_wait_alu 0xfffe
	s_or_b32 exec_lo, exec_lo, s5
	s_and_b32 s5, s2, vcc_lo
	s_wait_alu 0xfffe
	s_and_saveexec_b32 s4, s5
	s_cbranch_execz .LBB75_63
; %bb.62:                               ;   in Loop: Header=BB75_7 Depth=2
	v_lshlrev_b64_e32 v[2:3], 3, v[8:9]
	s_delay_alu instid0(VALU_DEP_1) | instskip(SKIP_1) | instid1(VALU_DEP_2)
	v_add_co_u32 v0, vcc_lo, v0, v2
	s_wait_alu 0xfffd
	v_add_co_ci_u32_e64 v1, null, v1, v3, vcc_lo
	global_load_b64 v[2:3], v[0:1], off
	v_mul_f32_e32 v33, s36, v55
	s_delay_alu instid0(VALU_DEP_1) | instskip(NEXT) | instid1(VALU_DEP_1)
	v_dual_mul_f32 v32, s37, v55 :: v_dual_fmac_f32 v33, s37, v54
	v_fma_f32 v32, v54, s36, -v32
	s_wait_loadcnt 0x0
	s_delay_alu instid0(VALU_DEP_1)
	v_dual_add_f32 v2, v2, v32 :: v_dual_add_f32 v3, v33, v3
	global_store_b64 v[0:1], v[2:3], off
.LBB75_63:                              ;   in Loop: Header=BB75_7 Depth=2
	s_wait_alu 0xfffe
	s_or_b32 exec_lo, exec_lo, s4
	v_add_nc_u32_e32 v2, 16, v49
	s_delay_alu instid0(VALU_DEP_1) | instskip(SKIP_3) | instid1(VALU_DEP_4)
	v_ashrrev_i32_e32 v3, 31, v2
	v_mul_lo_u32 v32, s25, v2
	v_mad_co_u64_u32 v[0:1], null, s24, v2, 0
	v_cmp_gt_i32_e32 vcc_lo, s30, v2
	v_mul_lo_u32 v3, s24, v3
	s_delay_alu instid0(VALU_DEP_1) | instskip(NEXT) | instid1(VALU_DEP_1)
	v_add3_u32 v1, v1, v3, v32
	v_lshlrev_b64_e32 v[0:1], 3, v[0:1]
	s_delay_alu instid0(VALU_DEP_1) | instskip(SKIP_1) | instid1(VALU_DEP_2)
	v_add_co_u32 v0, s4, s44, v0
	s_wait_alu 0xf1ff
	v_add_co_ci_u32_e64 v1, null, s45, v1, s4
	s_and_b32 s4, s1, vcc_lo
	s_wait_alu 0xfffe
	s_and_saveexec_b32 s5, s4
	s_cbranch_execz .LBB75_65
; %bb.64:                               ;   in Loop: Header=BB75_7 Depth=2
	v_add_co_u32 v2, s4, v0, v20
	s_wait_alu 0xf1ff
	v_add_co_ci_u32_e64 v3, null, v1, v21, s4
	global_load_b64 v[32:33], v[2:3], off
	v_mul_f32_e32 v35, s36, v53
	s_delay_alu instid0(VALU_DEP_1) | instskip(NEXT) | instid1(VALU_DEP_1)
	v_dual_mul_f32 v34, s37, v53 :: v_dual_fmac_f32 v35, s37, v52
	v_fma_f32 v34, v52, s36, -v34
	s_wait_loadcnt 0x0
	s_delay_alu instid0(VALU_DEP_1)
	v_dual_add_f32 v32, v32, v34 :: v_dual_add_f32 v33, v35, v33
	global_store_b64 v[2:3], v[32:33], off
.LBB75_65:                              ;   in Loop: Header=BB75_7 Depth=2
	s_wait_alu 0xfffe
	s_or_b32 exec_lo, exec_lo, s5
	s_and_b32 s5, s2, vcc_lo
	s_wait_alu 0xfffe
	s_and_saveexec_b32 s4, s5
	s_cbranch_execz .LBB75_6
; %bb.66:                               ;   in Loop: Header=BB75_7 Depth=2
	v_lshlrev_b64_e32 v[2:3], 3, v[8:9]
	v_mul_f32_e32 v32, s37, v31
	s_delay_alu instid0(VALU_DEP_1) | instskip(NEXT) | instid1(VALU_DEP_3)
	v_fma_f32 v32, v51, s36, -v32
	v_add_co_u32 v0, vcc_lo, v0, v2
	s_wait_alu 0xfffd
	s_delay_alu instid0(VALU_DEP_4) | instskip(SKIP_3) | instid1(VALU_DEP_1)
	v_add_co_ci_u32_e64 v1, null, v1, v3, vcc_lo
	global_load_b64 v[2:3], v[0:1], off
	s_wait_loadcnt 0x0
	v_dual_mul_f32 v31, s36, v31 :: v_dual_add_f32 v2, v2, v32
	v_fmac_f32_e32 v31, s37, v51
	s_delay_alu instid0(VALU_DEP_1)
	v_add_f32_e32 v3, v31, v3
	global_store_b64 v[0:1], v[2:3], off
	s_branch .LBB75_6
.LBB75_67:
	s_endpgm
	.section	.rodata,"a",@progbits
	.p2align	6, 0x0
	.amdhsa_kernel _ZL30rocblas_trmm_outofplace_kernelI19rocblas_complex_numIfELi32ELi2ELb1ELb1ELb0ELb0ES1_KS1_S1_Ev17rocblas_diagonal_iiT6_lPT7_lllS6_lllPT8_llli
		.amdhsa_group_segment_fixed_size 16384
		.amdhsa_private_segment_fixed_size 0
		.amdhsa_kernarg_size 392
		.amdhsa_user_sgpr_count 2
		.amdhsa_user_sgpr_dispatch_ptr 0
		.amdhsa_user_sgpr_queue_ptr 0
		.amdhsa_user_sgpr_kernarg_segment_ptr 1
		.amdhsa_user_sgpr_dispatch_id 0
		.amdhsa_user_sgpr_private_segment_size 0
		.amdhsa_wavefront_size32 1
		.amdhsa_uses_dynamic_stack 0
		.amdhsa_enable_private_segment 0
		.amdhsa_system_sgpr_workgroup_id_x 1
		.amdhsa_system_sgpr_workgroup_id_y 1
		.amdhsa_system_sgpr_workgroup_id_z 1
		.amdhsa_system_sgpr_workgroup_info 0
		.amdhsa_system_vgpr_workitem_id 1
		.amdhsa_next_free_vgpr 92
		.amdhsa_next_free_sgpr 60
		.amdhsa_reserve_vcc 1
		.amdhsa_float_round_mode_32 0
		.amdhsa_float_round_mode_16_64 0
		.amdhsa_float_denorm_mode_32 3
		.amdhsa_float_denorm_mode_16_64 3
		.amdhsa_fp16_overflow 0
		.amdhsa_workgroup_processor_mode 1
		.amdhsa_memory_ordered 1
		.amdhsa_forward_progress 1
		.amdhsa_inst_pref_size 61
		.amdhsa_round_robin_scheduling 0
		.amdhsa_exception_fp_ieee_invalid_op 0
		.amdhsa_exception_fp_denorm_src 0
		.amdhsa_exception_fp_ieee_div_zero 0
		.amdhsa_exception_fp_ieee_overflow 0
		.amdhsa_exception_fp_ieee_underflow 0
		.amdhsa_exception_fp_ieee_inexact 0
		.amdhsa_exception_int_div_zero 0
	.end_amdhsa_kernel
	.section	.text._ZL30rocblas_trmm_outofplace_kernelI19rocblas_complex_numIfELi32ELi2ELb1ELb1ELb0ELb0ES1_KS1_S1_Ev17rocblas_diagonal_iiT6_lPT7_lllS6_lllPT8_llli,"axG",@progbits,_ZL30rocblas_trmm_outofplace_kernelI19rocblas_complex_numIfELi32ELi2ELb1ELb1ELb0ELb0ES1_KS1_S1_Ev17rocblas_diagonal_iiT6_lPT7_lllS6_lllPT8_llli,comdat
.Lfunc_end75:
	.size	_ZL30rocblas_trmm_outofplace_kernelI19rocblas_complex_numIfELi32ELi2ELb1ELb1ELb0ELb0ES1_KS1_S1_Ev17rocblas_diagonal_iiT6_lPT7_lllS6_lllPT8_llli, .Lfunc_end75-_ZL30rocblas_trmm_outofplace_kernelI19rocblas_complex_numIfELi32ELi2ELb1ELb1ELb0ELb0ES1_KS1_S1_Ev17rocblas_diagonal_iiT6_lPT7_lllS6_lllPT8_llli
                                        ; -- End function
	.set _ZL30rocblas_trmm_outofplace_kernelI19rocblas_complex_numIfELi32ELi2ELb1ELb1ELb0ELb0ES1_KS1_S1_Ev17rocblas_diagonal_iiT6_lPT7_lllS6_lllPT8_llli.num_vgpr, 92
	.set _ZL30rocblas_trmm_outofplace_kernelI19rocblas_complex_numIfELi32ELi2ELb1ELb1ELb0ELb0ES1_KS1_S1_Ev17rocblas_diagonal_iiT6_lPT7_lllS6_lllPT8_llli.num_agpr, 0
	.set _ZL30rocblas_trmm_outofplace_kernelI19rocblas_complex_numIfELi32ELi2ELb1ELb1ELb0ELb0ES1_KS1_S1_Ev17rocblas_diagonal_iiT6_lPT7_lllS6_lllPT8_llli.numbered_sgpr, 60
	.set _ZL30rocblas_trmm_outofplace_kernelI19rocblas_complex_numIfELi32ELi2ELb1ELb1ELb0ELb0ES1_KS1_S1_Ev17rocblas_diagonal_iiT6_lPT7_lllS6_lllPT8_llli.num_named_barrier, 0
	.set _ZL30rocblas_trmm_outofplace_kernelI19rocblas_complex_numIfELi32ELi2ELb1ELb1ELb0ELb0ES1_KS1_S1_Ev17rocblas_diagonal_iiT6_lPT7_lllS6_lllPT8_llli.private_seg_size, 0
	.set _ZL30rocblas_trmm_outofplace_kernelI19rocblas_complex_numIfELi32ELi2ELb1ELb1ELb0ELb0ES1_KS1_S1_Ev17rocblas_diagonal_iiT6_lPT7_lllS6_lllPT8_llli.uses_vcc, 1
	.set _ZL30rocblas_trmm_outofplace_kernelI19rocblas_complex_numIfELi32ELi2ELb1ELb1ELb0ELb0ES1_KS1_S1_Ev17rocblas_diagonal_iiT6_lPT7_lllS6_lllPT8_llli.uses_flat_scratch, 0
	.set _ZL30rocblas_trmm_outofplace_kernelI19rocblas_complex_numIfELi32ELi2ELb1ELb1ELb0ELb0ES1_KS1_S1_Ev17rocblas_diagonal_iiT6_lPT7_lllS6_lllPT8_llli.has_dyn_sized_stack, 0
	.set _ZL30rocblas_trmm_outofplace_kernelI19rocblas_complex_numIfELi32ELi2ELb1ELb1ELb0ELb0ES1_KS1_S1_Ev17rocblas_diagonal_iiT6_lPT7_lllS6_lllPT8_llli.has_recursion, 0
	.set _ZL30rocblas_trmm_outofplace_kernelI19rocblas_complex_numIfELi32ELi2ELb1ELb1ELb0ELb0ES1_KS1_S1_Ev17rocblas_diagonal_iiT6_lPT7_lllS6_lllPT8_llli.has_indirect_call, 0
	.section	.AMDGPU.csdata,"",@progbits
; Kernel info:
; codeLenInByte = 7720
; TotalNumSgprs: 62
; NumVgprs: 92
; ScratchSize: 0
; MemoryBound: 1
; FloatMode: 240
; IeeeMode: 1
; LDSByteSize: 16384 bytes/workgroup (compile time only)
; SGPRBlocks: 0
; VGPRBlocks: 11
; NumSGPRsForWavesPerEU: 62
; NumVGPRsForWavesPerEU: 92
; Occupancy: 16
; WaveLimiterHint : 0
; COMPUTE_PGM_RSRC2:SCRATCH_EN: 0
; COMPUTE_PGM_RSRC2:USER_SGPR: 2
; COMPUTE_PGM_RSRC2:TRAP_HANDLER: 0
; COMPUTE_PGM_RSRC2:TGID_X_EN: 1
; COMPUTE_PGM_RSRC2:TGID_Y_EN: 1
; COMPUTE_PGM_RSRC2:TGID_Z_EN: 1
; COMPUTE_PGM_RSRC2:TIDIG_COMP_CNT: 1
	.section	.text._ZL30rocblas_trmm_outofplace_kernelI19rocblas_complex_numIfELi32ELi2ELb1ELb0ELb1ELb0EPKS1_S2_S1_Ev17rocblas_diagonal_iiT6_lPT7_lllS7_lllPT8_llli,"axG",@progbits,_ZL30rocblas_trmm_outofplace_kernelI19rocblas_complex_numIfELi32ELi2ELb1ELb0ELb1ELb0EPKS1_S2_S1_Ev17rocblas_diagonal_iiT6_lPT7_lllS7_lllPT8_llli,comdat
	.globl	_ZL30rocblas_trmm_outofplace_kernelI19rocblas_complex_numIfELi32ELi2ELb1ELb0ELb1ELb0EPKS1_S2_S1_Ev17rocblas_diagonal_iiT6_lPT7_lllS7_lllPT8_llli ; -- Begin function _ZL30rocblas_trmm_outofplace_kernelI19rocblas_complex_numIfELi32ELi2ELb1ELb0ELb1ELb0EPKS1_S2_S1_Ev17rocblas_diagonal_iiT6_lPT7_lllS7_lllPT8_llli
	.p2align	8
	.type	_ZL30rocblas_trmm_outofplace_kernelI19rocblas_complex_numIfELi32ELi2ELb1ELb0ELb1ELb0EPKS1_S2_S1_Ev17rocblas_diagonal_iiT6_lPT7_lllS7_lllPT8_llli,@function
_ZL30rocblas_trmm_outofplace_kernelI19rocblas_complex_numIfELi32ELi2ELb1ELb0ELb1ELb0EPKS1_S2_S1_Ev17rocblas_diagonal_iiT6_lPT7_lllS7_lllPT8_llli: ; @_ZL30rocblas_trmm_outofplace_kernelI19rocblas_complex_numIfELi32ELi2ELb1ELb0ELb1ELb0EPKS1_S2_S1_Ev17rocblas_diagonal_iiT6_lPT7_lllS7_lllPT8_llli
; %bb.0:
	s_load_b32 s11, s[0:1], 0x80
	s_lshr_b32 s34, ttmp7, 16
	s_wait_kmcnt 0x0
	s_cmp_ge_u32 s34, s11
	s_cbranch_scc1 .LBB76_68
; %bb.1:
	s_clause 0x3
	s_load_b96 s[8:10], s[0:1], 0x0
	s_load_b256 s[36:43], s[0:1], 0x50
	s_load_b512 s[12:27], s[0:1], 0x10
	s_load_b128 s[28:31], s[0:1], 0x70
	s_add_nc_u64 s[44:45], s[0:1], 0x88
	s_and_b32 s33, ttmp7, 0xffff
	v_bfe_u32 v42, v0, 10, 10
	v_dual_mov_b32 v27, 0 :: v_dual_and_b32 v0, 0x3ff, v0
	v_mov_b32_e32 v26, 1.0
	s_mov_b32 s35, 0
	s_delay_alu instid0(VALU_DEP_3) | instskip(NEXT) | instid1(VALU_DEP_3)
	v_lshlrev_b32_e32 v1, 8, v42
	v_lshlrev_b32_e32 v43, 3, v0
	s_delay_alu instid0(VALU_DEP_2) | instskip(NEXT) | instid1(VALU_DEP_2)
	v_add_nc_u32_e32 v44, 0x2000, v1
	v_add_nc_u32_e32 v45, v43, v1
	;; [unrolled: 1-line block ×4, first 2 shown]
	s_wait_kmcnt 0x0
	s_add_co_i32 s2, s10, -1
	v_add_nc_u32_e32 v46, v44, v43
	s_ashr_i32 s3, s2, 31
	v_add_nc_u32_e32 v49, 0x1800, v43
	s_lshr_b32 s0, s3, 27
	s_mov_b32 s50, s10
	s_add_co_i32 s2, s2, s0
	s_lshl_b64 s[0:1], s[42:43], 3
	s_ashr_i32 s48, s2, 5
	s_mov_b32 s42, s9
	s_cmp_le_i32 s33, s48
	s_add_nc_u64 s[40:41], s[40:41], s[0:1]
	s_cselect_b32 s49, -1, 0
	s_lshl_b32 s2, ttmp9, 5
	s_delay_alu instid0(SALU_CYCLE_1) | instskip(SKIP_2) | instid1(SALU_CYCLE_1)
	v_add_nc_u32_e32 v6, s2, v0
	v_add_nc_u32_e32 v4, s2, v42
	s_sub_co_i32 s51, s9, s2
	s_cmp_gt_i32 s51, 0
	s_delay_alu instid0(VALU_DEP_2) | instskip(NEXT) | instid1(VALU_DEP_2)
	v_ashrrev_i32_e32 v7, 31, v6
	v_ashrrev_i32_e32 v5, 31, v4
	v_add_co_u32 v10, vcc_lo, v6, 16
	v_mul_lo_u32 v21, s21, v6
	s_delay_alu instid0(VALU_DEP_4) | instskip(SKIP_4) | instid1(VALU_DEP_3)
	v_add_co_ci_u32_e64 v11, null, 0, v7, vcc_lo
	v_sub_co_u32 v12, vcc_lo, v6, v4
	v_lshlrev_b64_e32 v[14:15], 3, v[6:7]
	s_wait_alu 0xfffd
	v_sub_co_ci_u32_e64 v13, null, v7, v5, vcc_lo
	v_add_co_u32 v16, vcc_lo, v12, 16
	v_mul_lo_u32 v20, s20, v7
	v_mad_co_u64_u32 v[0:1], null, s20, v6, 0
	s_wait_alu 0xfffd
	v_add_co_ci_u32_e64 v17, null, 0, v13, vcc_lo
	v_add_co_u32 v2, vcc_lo, 0x80, v14
	s_wait_alu 0xfffd
	v_add_co_ci_u32_e64 v3, null, 0, v15, vcc_lo
	s_cselect_b32 s52, -1, 0
	s_cmp_eq_u32 s8, 0x84
	v_mul_lo_u32 v23, s21, v2
	s_cselect_b32 s53, -1, 0
	s_lshl_b64 s[6:7], s[18:19], 3
	s_lshl_b64 s[4:5], s[26:27], 3
	v_mul_lo_u32 v22, s20, v3
	v_mad_co_u64_u32 v[2:3], null, s20, v2, s[6:7]
	v_add3_u32 v1, v1, v20, v21
	v_add_co_u32 v18, vcc_lo, v12, -16
	s_add_nc_u64 s[4:5], s[24:25], s[4:5]
	s_wait_alu 0xfffd
	v_add_co_ci_u32_e64 v19, null, -1, v13, vcc_lo
	v_add_co_u32 v20, vcc_lo, s4, v14
	v_lshlrev_b64_e32 v[0:1], 3, v[0:1]
	s_wait_alu 0xfffd
	v_add_co_ci_u32_e64 v21, null, s5, v15, vcc_lo
	v_add3_u32 v3, v23, v3, v22
	v_lshlrev_b64_e32 v[22:23], 3, v[4:5]
	v_add_co_u32 v20, vcc_lo, 0x80, v20
	s_wait_alu 0xfffd
	v_add_co_ci_u32_e64 v21, null, 0, v21, vcc_lo
	v_add_co_u32 v0, vcc_lo, v0, s6
	s_wait_alu 0xfffd
	v_add_co_ci_u32_e64 v1, null, s7, v1, vcc_lo
	;; [unrolled: 3-line block ×3, first 2 shown]
	v_add_co_u32 v0, vcc_lo, v0, v22
	v_add_nc_u32_e32 v8, 16, v6
	s_wait_alu 0xfffd
	v_add_co_ci_u32_e64 v1, null, v1, v23, vcc_lo
	v_add_co_u32 v22, vcc_lo, s16, v2
	s_ashr_i32 s43, s9, 31
	s_wait_alu 0xfffd
	v_add_co_ci_u32_e64 v23, null, s17, v3, vcc_lo
	v_add_co_u32 v24, vcc_lo, s16, v0
	v_cmp_le_i64_e64 s3, s[42:43], v[10:11]
	v_cmp_le_i32_e64 s0, s9, v6
	v_cmp_gt_i32_e64 s1, s9, v6
	v_cmp_gt_i32_e64 s2, s9, v8
	v_ashrrev_i32_e32 v9, 31, v8
	s_wait_alu 0xfffd
	v_add_co_ci_u32_e64 v25, null, s17, v1, vcc_lo
	s_ashr_i32 s54, s10, 31
	s_add_nc_u64 s[46:47], s[42:43], -16
	s_lshl_b64 s[16:17], s[38:39], 3
	s_lshl_b64 s[18:19], s[36:37], 3
	;; [unrolled: 1-line block ×3, first 2 shown]
	s_branch .LBB76_4
.LBB76_2:                               ;   in Loop: Header=BB76_4 Depth=1
	s_add_co_i32 s34, s34, 0x10000
	s_wait_alu 0xfffe
	s_cmp_ge_u32 s34, s11
	s_cselect_b32 s4, -1, 0
.LBB76_3:                               ;   in Loop: Header=BB76_4 Depth=1
	s_wait_alu 0xfffe
	s_and_b32 vcc_lo, exec_lo, s4
	s_wait_alu 0xfffe
	s_cbranch_vccnz .LBB76_68
.LBB76_4:                               ; =>This Loop Header: Depth=1
                                        ;     Child Loop BB76_8 Depth 2
                                        ;       Child Loop BB76_11 Depth 3
	s_mul_u64 s[4:5], s[14:15], s[34:35]
	s_wait_alu 0xfffe
	s_lshl_b64 s[4:5], s[4:5], 3
	s_wait_alu 0xfffe
	s_add_nc_u64 s[4:5], s[12:13], s[4:5]
	global_load_b64 v[28:29], v27, s[4:5]
	s_mov_b32 s4, -1
	s_wait_loadcnt 0x0
	v_or_b32_e32 v0, v28, v29
	s_delay_alu instid0(VALU_DEP_1) | instskip(NEXT) | instid1(VALU_DEP_1)
	v_and_b32_e32 v0, 0x7fffffff, v0
	v_cmp_eq_u32_e32 vcc_lo, 0, v0
	s_cbranch_vccnz .LBB76_3
; %bb.5:                                ;   in Loop: Header=BB76_4 Depth=1
	s_and_not1_b32 vcc_lo, exec_lo, s49
	s_wait_alu 0xfffe
	s_cbranch_vccnz .LBB76_2
; %bb.6:                                ;   in Loop: Header=BB76_4 Depth=1
	v_mad_co_u64_u32 v[30:31], null, s16, s34, v[20:21]
	s_load_b32 s9, s[44:45], 0x4
	v_mad_co_u64_u32 v[32:33], null, s20, s34, v[22:23]
	s_mul_i32 s6, s21, s34
	v_mad_co_u64_u32 v[34:35], null, s20, s34, v[24:25]
	v_mov_b32_e32 v0, v31
	s_mul_u64 s[4:5], s[30:31], s[34:35]
	v_lshl_add_u32 v36, s33, 5, v42
	s_wait_alu 0xfffe
	v_add_nc_u32_e32 v33, s6, v33
	s_lshl_b64 s[4:5], s[4:5], 3
	v_mad_co_u64_u32 v[0:1], null, s17, s34, v[0:1]
	v_add_nc_u32_e32 v35, s6, v35
	s_wait_alu 0xfffe
	s_add_nc_u64 s[22:23], s[40:41], s[4:5]
	s_mov_b32 s39, s33
	s_delay_alu instid0(VALU_DEP_2)
	v_mov_b32_e32 v31, v0
	s_wait_kmcnt 0x0
	s_lshl_b32 s38, s9, 5
	s_branch .LBB76_8
.LBB76_7:                               ;   in Loop: Header=BB76_8 Depth=2
	s_wait_alu 0xfffe
	s_or_b32 exec_lo, exec_lo, s4
	v_add_nc_u32_e32 v36, s38, v36
	s_add_co_i32 s39, s9, s39
	s_wait_alu 0xfffe
	s_cmp_gt_i32 s39, s48
	s_cbranch_scc1 .LBB76_2
.LBB76_8:                               ;   Parent Loop BB76_4 Depth=1
                                        ; =>  This Loop Header: Depth=2
                                        ;       Child Loop BB76_11 Depth 3
	s_wait_alu 0xfffe
	v_lshl_add_u32 v50, s39, 5, v42
	s_and_not1_b32 vcc_lo, exec_lo, s52
	s_delay_alu instid0(VALU_DEP_1)
	v_ashrrev_i32_e32 v51, 31, v50
	s_wait_alu 0xfffe
	s_cbranch_vccnz .LBB76_59
; %bb.9:                                ;   in Loop: Header=BB76_8 Depth=2
	v_ashrrev_i32_e32 v37, 31, v36
	v_mad_co_u64_u32 v[38:39], null, s18, v36, v[30:31]
	v_mul_lo_u32 v2, s19, v36
	v_mov_b32_e32 v53, 0
	s_delay_alu instid0(VALU_DEP_4) | instskip(SKIP_3) | instid1(VALU_DEP_4)
	v_lshlrev_b64_e32 v[0:1], 3, v[36:37]
	v_mul_lo_u32 v54, s18, v37
	v_dual_mov_b32 v37, 0 :: v_dual_mov_b32 v52, 0
	v_dual_mov_b32 v58, 0 :: v_dual_mov_b32 v57, 0
	v_add_co_u32 v3, vcc_lo, 0x80, v0
	s_wait_alu 0xfffd
	v_add_co_ci_u32_e64 v40, null, 0, v1, vcc_lo
	v_sub_co_u32 v0, vcc_lo, s50, v50
	s_delay_alu instid0(VALU_DEP_3) | instskip(NEXT) | instid1(VALU_DEP_3)
	v_mul_lo_u32 v56, s37, v3
	v_mul_lo_u32 v55, s36, v40
	v_mad_co_u64_u32 v[40:41], null, s36, v3, v[30:31]
	s_wait_alu 0xfffd
	v_sub_co_ci_u32_e64 v1, null, s54, v51, vcc_lo
	v_add3_u32 v39, v2, v39, v54
	v_mov_b32_e32 v54, 0
	s_mov_b64 s[24:25], 0
	s_delay_alu instid0(VALU_DEP_3)
	v_cmp_lt_i64_e64 s4, 16, v[0:1]
	v_add3_u32 v41, v56, v41, v55
	v_dual_mov_b32 v56, 0 :: v_dual_mov_b32 v55, 0
	s_mov_b64 s[26:27], 0
	v_cmp_lt_i64_e32 vcc_lo, 0, v[0:1]
	s_branch .LBB76_11
.LBB76_10:                              ;   in Loop: Header=BB76_11 Depth=3
	s_wait_alu 0xfffe
	s_or_b32 exec_lo, exec_lo, s5
	s_wait_dscnt 0x0
	s_barrier_signal -1
	s_barrier_wait -1
	global_inv scope:SCOPE_SE
	ds_load_b128 v[59:62], v44
	ds_load_2addr_b64 v[63:66], v43 offset1:16
	ds_load_b128 v[67:70], v44 offset:4096
	ds_load_b128 v[71:74], v44 offset:16
	;; [unrolled: 1-line block ×4, first 2 shown]
	ds_load_2addr_b64 v[79:82], v43 offset0:32 offset1:48
	ds_load_b128 v[83:86], v44 offset:4112
	s_add_nc_u64 s[26:27], s[26:27], 32
	s_add_nc_u64 s[24:25], s[24:25], 0x100
	s_wait_alu 0xfffe
	s_cmp_ge_i32 s26, s51
	s_wait_dscnt 0x6
	v_dual_mul_f32 v87, v60, v64 :: v_dual_mul_f32 v90, v59, v66
	v_dual_mul_f32 v88, v59, v64 :: v_dual_mul_f32 v89, v60, v66
	s_wait_dscnt 0x5
	v_mul_f32_e32 v91, v68, v64
	s_delay_alu instid0(VALU_DEP_3)
	v_fma_f32 v87, v59, v63, -v87
	v_mul_f32_e32 v64, v67, v64
	v_fmac_f32_e32 v88, v60, v63
	v_fma_f32 v59, v59, v65, -v89
	v_mul_f32_e32 v92, v68, v66
	v_mul_f32_e32 v66, v67, v66
	v_fmac_f32_e32 v90, v60, v65
	v_fma_f32 v60, v67, v63, -v91
	v_add_f32_e32 v57, v57, v87
	s_delay_alu instid0(VALU_DEP_4)
	v_dual_add_f32 v59, v55, v59 :: v_dual_fmac_f32 v66, v68, v65
	v_fmac_f32_e32 v64, v68, v63
	v_fma_f32 v63, v67, v65, -v92
	s_wait_dscnt 0x1
	v_mul_f32_e32 v67, v62, v80
	v_mul_f32_e32 v65, v61, v80
	v_add_f32_e32 v58, v58, v88
	v_add_f32_e32 v56, v56, v90
	v_add_f32_e32 v63, v52, v63
	v_fma_f32 v67, v61, v79, -v67
	v_dual_add_f32 v60, v54, v60 :: v_dual_add_f32 v37, v37, v66
	v_dual_fmac_f32 v65, v62, v79 :: v_dual_add_f32 v64, v53, v64
	ds_load_2addr_b64 v[52:55], v43 offset0:64 offset1:80
	v_mul_f32_e32 v68, v62, v82
	v_mul_f32_e32 v66, v61, v82
	v_add_f32_e32 v67, v57, v67
	v_dual_add_f32 v65, v58, v65 :: v_dual_mul_f32 v58, v69, v80
	s_delay_alu instid0(VALU_DEP_4) | instskip(SKIP_2) | instid1(VALU_DEP_3)
	v_fma_f32 v57, v61, v81, -v68
	v_mul_f32_e32 v61, v70, v80
	v_fmac_f32_e32 v66, v62, v81
	v_add_f32_e32 v62, v59, v57
	s_delay_alu instid0(VALU_DEP_3) | instskip(SKIP_1) | instid1(VALU_DEP_4)
	v_fma_f32 v57, v69, v79, -v61
	v_mul_f32_e32 v59, v70, v82
	v_add_f32_e32 v61, v56, v66
	v_mul_f32_e32 v66, v69, v82
	s_delay_alu instid0(VALU_DEP_3) | instskip(SKIP_2) | instid1(VALU_DEP_2)
	v_fma_f32 v56, v69, v81, -v59
	s_wait_dscnt 0x0
	v_mul_f32_e32 v68, v71, v53
	v_add_f32_e32 v63, v63, v56
	s_delay_alu instid0(VALU_DEP_2) | instskip(SKIP_2) | instid1(VALU_DEP_3)
	v_fmac_f32_e32 v68, v72, v52
	v_add_f32_e32 v60, v60, v57
	v_mul_f32_e32 v57, v72, v53
	v_dual_add_f32 v65, v65, v68 :: v_dual_mul_f32 v68, v84, v53
	s_delay_alu instid0(VALU_DEP_2) | instskip(SKIP_2) | instid1(VALU_DEP_2)
	v_fma_f32 v69, v71, v52, -v57
	v_mul_f32_e32 v53, v83, v53
	v_fmac_f32_e32 v66, v70, v81
	v_dual_fmac_f32 v58, v70, v79 :: v_dual_fmac_f32 v53, v84, v52
	s_delay_alu instid0(VALU_DEP_2) | instskip(SKIP_1) | instid1(VALU_DEP_1)
	v_dual_add_f32 v37, v37, v66 :: v_dual_add_f32 v66, v67, v69
	v_mul_f32_e32 v67, v71, v55
	v_fmac_f32_e32 v67, v72, v54
	s_delay_alu instid0(VALU_DEP_4) | instskip(SKIP_3) | instid1(VALU_DEP_2)
	v_add_f32_e32 v64, v64, v58
	ds_load_2addr_b64 v[56:59], v43 offset0:96 offset1:112
	v_mul_f32_e32 v70, v72, v55
	v_add_f32_e32 v61, v61, v67
	v_fma_f32 v69, v71, v54, -v70
	v_mul_f32_e32 v70, v83, v55
	s_delay_alu instid0(VALU_DEP_1) | instskip(NEXT) | instid1(VALU_DEP_1)
	v_fmac_f32_e32 v70, v84, v54
	v_add_f32_e32 v37, v37, v70
	v_fma_f32 v68, v83, v52, -v68
	v_dual_add_f32 v62, v62, v69 :: v_dual_mul_f32 v69, v84, v55
	s_wait_dscnt 0x0
	s_delay_alu instid0(VALU_DEP_2) | instskip(NEXT) | instid1(VALU_DEP_2)
	v_dual_add_f32 v67, v60, v68 :: v_dual_mul_f32 v60, v74, v57
	v_fma_f32 v52, v83, v54, -v69
	v_mul_f32_e32 v69, v74, v59
	s_delay_alu instid0(VALU_DEP_3) | instskip(NEXT) | instid1(VALU_DEP_3)
	v_fma_f32 v60, v73, v56, -v60
	v_dual_add_f32 v68, v63, v52 :: v_dual_mul_f32 v63, v73, v57
	s_delay_alu instid0(VALU_DEP_3) | instskip(NEXT) | instid1(VALU_DEP_3)
	v_fma_f32 v69, v73, v58, -v69
	v_add_f32_e32 v66, v66, v60
	v_mul_f32_e32 v60, v86, v57
	s_delay_alu instid0(VALU_DEP_4)
	v_dual_fmac_f32 v63, v74, v56 :: v_dual_add_f32 v64, v64, v53
	ds_load_2addr_b64 v[52:55], v43 offset0:128 offset1:144
	v_mul_f32_e32 v57, v85, v57
	v_mul_f32_e32 v70, v73, v59
	v_fma_f32 v71, v85, v56, -v60
	v_mul_f32_e32 v72, v86, v59
	v_add_f32_e32 v65, v65, v63
	v_fmac_f32_e32 v57, v86, v56
	s_delay_alu instid0(VALU_DEP_4) | instskip(SKIP_3) | instid1(VALU_DEP_3)
	v_dual_fmac_f32 v70, v74, v58 :: v_dual_add_f32 v71, v67, v71
	v_mul_f32_e32 v67, v85, v59
	v_add_f32_e32 v69, v62, v69
	v_fma_f32 v56, v85, v58, -v72
	v_dual_add_f32 v72, v64, v57 :: v_dual_fmac_f32 v67, v86, v58
	s_delay_alu instid0(VALU_DEP_1) | instskip(SKIP_4) | instid1(VALU_DEP_3)
	v_dual_add_f32 v68, v68, v56 :: v_dual_add_f32 v37, v37, v67
	s_wait_dscnt 0x0
	v_mul_f32_e32 v59, v76, v53
	v_mul_f32_e32 v79, v75, v55
	;; [unrolled: 1-line block ×3, first 2 shown]
	v_fma_f32 v73, v75, v52, -v59
	v_add_f32_e32 v70, v61, v70
	ds_load_b128 v[60:63], v44 offset:4128
	ds_load_2addr_b64 v[56:59], v43 offset0:160 offset1:176
	v_mul_f32_e32 v74, v76, v55
	v_fmac_f32_e32 v79, v76, v54
	v_add_f32_e32 v73, v66, v73
	s_delay_alu instid0(VALU_DEP_3) | instskip(NEXT) | instid1(VALU_DEP_1)
	v_fma_f32 v74, v75, v54, -v74
	v_dual_fmac_f32 v64, v76, v52 :: v_dual_add_f32 v69, v69, v74
	s_delay_alu instid0(VALU_DEP_1)
	v_add_f32_e32 v80, v65, v64
	ds_load_b128 v[64:67], v44 offset:4144
	s_wait_dscnt 0x2
	v_mul_f32_e32 v75, v61, v53
	v_dual_mul_f32 v53, v60, v53 :: v_dual_mul_f32 v74, v61, v55
	s_wait_dscnt 0x1
	v_dual_mul_f32 v76, v60, v55 :: v_dual_mul_f32 v55, v78, v57
	s_delay_alu instid0(VALU_DEP_3) | instskip(NEXT) | instid1(VALU_DEP_3)
	v_fma_f32 v75, v60, v52, -v75
	v_fmac_f32_e32 v53, v61, v52
	v_fma_f32 v52, v60, v54, -v74
	v_add_f32_e32 v70, v70, v79
	s_delay_alu instid0(VALU_DEP_3)
	v_dual_add_f32 v60, v71, v75 :: v_dual_add_f32 v71, v72, v53
	v_fma_f32 v72, v77, v56, -v55
	v_dual_mul_f32 v75, v63, v57 :: v_dual_fmac_f32 v76, v61, v54
	v_add_f32_e32 v61, v68, v52
	ds_load_2addr_b64 v[52:55], v43 offset0:192 offset1:208
	v_add_f32_e32 v72, v73, v72
	v_mul_f32_e32 v73, v77, v59
	v_mul_f32_e32 v68, v77, v57
	;; [unrolled: 1-line block ×3, first 2 shown]
	v_dual_mul_f32 v74, v78, v59 :: v_dual_add_f32 v37, v37, v76
	s_delay_alu instid0(VALU_DEP_4) | instskip(NEXT) | instid1(VALU_DEP_3)
	v_fmac_f32_e32 v73, v78, v58
	v_fmac_f32_e32 v57, v63, v56
	s_delay_alu instid0(VALU_DEP_3) | instskip(SKIP_1) | instid1(VALU_DEP_4)
	v_fma_f32 v74, v77, v58, -v74
	v_fmac_f32_e32 v68, v78, v56
	v_add_f32_e32 v70, v70, v73
	v_mul_f32_e32 v73, v62, v59
	v_add_f32_e32 v71, v71, v57
	v_add_f32_e32 v69, v69, v74
	v_fma_f32 v74, v62, v56, -v75
	v_mul_f32_e32 v56, v63, v59
	v_dual_fmac_f32 v73, v63, v58 :: v_dual_add_f32 v68, v80, v68
	s_wait_dscnt 0x0
	v_mul_f32_e32 v63, v0, v53
	v_add_f32_e32 v60, v60, v74
	v_fma_f32 v62, v62, v58, -v56
	v_mul_f32_e32 v74, v1, v53
	ds_load_2addr_b64 v[56:59], v43 offset0:224 offset1:240
	v_fmac_f32_e32 v63, v1, v52
	v_mul_f32_e32 v75, v0, v55
	v_add_f32_e32 v61, v61, v62
	v_fma_f32 v62, v0, v52, -v74
	v_mul_f32_e32 v74, v1, v55
	v_add_f32_e32 v37, v37, v73
	v_fmac_f32_e32 v75, v1, v54
	v_mul_f32_e32 v1, v65, v53
	v_mul_f32_e32 v53, v64, v53
	v_fma_f32 v0, v0, v54, -v74
	v_add_f32_e32 v72, v72, v62
	v_mul_f32_e32 v62, v65, v55
	s_delay_alu instid0(VALU_DEP_4) | instskip(NEXT) | instid1(VALU_DEP_4)
	v_dual_add_f32 v68, v68, v63 :: v_dual_fmac_f32 v53, v65, v52
	v_dual_add_f32 v0, v69, v0 :: v_dual_add_f32 v69, v70, v75
	s_wait_dscnt 0x0
	v_dual_mul_f32 v70, v64, v55 :: v_dual_mul_f32 v55, v3, v57
	v_mul_f32_e32 v74, v3, v59
	v_fma_f32 v1, v64, v52, -v1
	v_fma_f32 v52, v64, v54, -v62
	s_delay_alu instid0(VALU_DEP_4) | instskip(NEXT) | instid1(VALU_DEP_3)
	v_fmac_f32_e32 v70, v65, v54
	v_add_f32_e32 v64, v60, v1
	v_fma_f32 v1, v2, v56, -v55
	s_delay_alu instid0(VALU_DEP_4) | instskip(NEXT) | instid1(VALU_DEP_4)
	v_add_f32_e32 v65, v61, v52
	v_dual_add_f32 v37, v37, v70 :: v_dual_mul_f32 v70, v2, v59
	v_add_f32_e32 v73, v71, v53
	v_mul_f32_e32 v71, v2, v57
	ds_load_b128 v[52:55], v44 offset:64
	ds_load_2addr_b64 v[60:63], v47 offset1:16
	v_add_f32_e32 v72, v72, v1
	v_fma_f32 v1, v2, v58, -v74
	v_mul_f32_e32 v2, v67, v57
	v_fmac_f32_e32 v70, v3, v58
	v_fmac_f32_e32 v71, v3, v56
	s_delay_alu instid0(VALU_DEP_2) | instskip(NEXT) | instid1(VALU_DEP_2)
	v_dual_add_f32 v75, v0, v1 :: v_dual_add_f32 v76, v69, v70
	v_add_f32_e32 v74, v68, v71
	v_fma_f32 v68, v66, v56, -v2
	v_mul_f32_e32 v71, v67, v59
	ds_load_b128 v[0:3], v44 offset:4160
	v_dual_add_f32 v77, v64, v68 :: v_dual_mul_f32 v64, v66, v59
	v_mul_f32_e32 v57, v66, v57
	s_wait_dscnt 0x1
	v_mul_f32_e32 v59, v53, v61
	s_delay_alu instid0(VALU_DEP_3) | instskip(NEXT) | instid1(VALU_DEP_3)
	v_dual_mul_f32 v79, v52, v63 :: v_dual_fmac_f32 v64, v67, v58
	v_fmac_f32_e32 v57, v67, v56
	v_fma_f32 v56, v66, v58, -v71
	s_delay_alu instid0(VALU_DEP_3)
	v_dual_mul_f32 v66, v52, v61 :: v_dual_fmac_f32 v79, v53, v62
	ds_load_b128 v[68:71], v44 offset:80
	v_add_f32_e32 v78, v65, v56
	v_fma_f32 v65, v52, v60, -v59
	v_fmac_f32_e32 v66, v53, v60
	v_add_f32_e32 v76, v76, v79
	s_wait_dscnt 0x1
	v_dual_mul_f32 v80, v1, v61 :: v_dual_mul_f32 v79, v0, v63
	v_add_f32_e32 v72, v72, v65
	v_add_f32_e32 v73, v73, v57
	ds_load_2addr_b64 v[56:59], v47 offset0:32 offset1:48
	v_mul_f32_e32 v67, v53, v63
	v_mul_f32_e32 v53, v0, v61
	;; [unrolled: 1-line block ×3, first 2 shown]
	v_fmac_f32_e32 v79, v1, v62
	v_add_f32_e32 v37, v37, v64
	v_fma_f32 v52, v52, v62, -v67
	v_add_f32_e32 v74, v74, v66
	ds_load_b128 v[64:67], v44 offset:4176
	v_add_f32_e32 v52, v75, v52
	v_fma_f32 v75, v0, v60, -v80
	v_fmac_f32_e32 v53, v1, v60
	s_delay_alu instid0(VALU_DEP_1) | instskip(SKIP_2) | instid1(VALU_DEP_1)
	v_add_f32_e32 v53, v73, v53
	s_wait_dscnt 0x1
	v_mul_f32_e32 v60, v55, v57
	v_fma_f32 v1, v54, v56, -v60
	s_delay_alu instid0(VALU_DEP_1) | instskip(SKIP_4) | instid1(VALU_DEP_1)
	v_add_f32_e32 v72, v72, v1
	v_fma_f32 v0, v0, v62, -v61
	ds_load_2addr_b64 v[60:63], v47 offset0:64 offset1:80
	v_add_f32_e32 v73, v78, v0
	v_mul_f32_e32 v0, v54, v57
	v_dual_mul_f32 v1, v54, v59 :: v_dual_fmac_f32 v0, v55, v56
	v_add_f32_e32 v75, v77, v75
	s_delay_alu instid0(VALU_DEP_2) | instskip(NEXT) | instid1(VALU_DEP_1)
	v_dual_mul_f32 v77, v55, v59 :: v_dual_add_f32 v74, v74, v0
	v_fma_f32 v54, v54, v58, -v77
	v_mul_f32_e32 v77, v3, v57
	s_delay_alu instid0(VALU_DEP_2) | instskip(SKIP_1) | instid1(VALU_DEP_3)
	v_dual_mul_f32 v57, v2, v57 :: v_dual_add_f32 v52, v52, v54
	v_mul_f32_e32 v54, v3, v59
	v_fma_f32 v0, v2, v56, -v77
	s_delay_alu instid0(VALU_DEP_3) | instskip(NEXT) | instid1(VALU_DEP_3)
	v_dual_fmac_f32 v57, v3, v56 :: v_dual_mul_f32 v56, v2, v59
	v_fma_f32 v54, v2, v58, -v54
	s_delay_alu instid0(VALU_DEP_3) | instskip(NEXT) | instid1(VALU_DEP_3)
	v_add_f32_e32 v59, v75, v0
	v_add_f32_e32 v53, v53, v57
	s_wait_dscnt 0x0
	v_dual_mul_f32 v57, v69, v61 :: v_dual_fmac_f32 v56, v3, v58
	v_add_f32_e32 v54, v73, v54
	v_dual_fmac_f32 v1, v55, v58 :: v_dual_mul_f32 v58, v68, v61
	s_delay_alu instid0(VALU_DEP_3) | instskip(SKIP_2) | instid1(VALU_DEP_4)
	v_fma_f32 v57, v68, v60, -v57
	v_add_f32_e32 v37, v37, v79
	v_mul_f32_e32 v73, v69, v63
	v_dual_mul_f32 v75, v68, v63 :: v_dual_fmac_f32 v58, v69, v60
	s_delay_alu instid0(VALU_DEP_3) | instskip(NEXT) | instid1(VALU_DEP_3)
	v_dual_add_f32 v72, v72, v57 :: v_dual_add_f32 v37, v37, v56
	v_fma_f32 v56, v68, v62, -v73
	s_delay_alu instid0(VALU_DEP_3) | instskip(SKIP_4) | instid1(VALU_DEP_1)
	v_dual_mul_f32 v57, v65, v61 :: v_dual_add_f32 v68, v74, v58
	v_mul_f32_e32 v58, v64, v61
	v_add_f32_e32 v55, v76, v1
	ds_load_2addr_b64 v[0:3], v47 offset0:96 offset1:112
	v_fmac_f32_e32 v75, v69, v62
	v_dual_fmac_f32 v58, v65, v60 :: v_dual_add_f32 v69, v55, v75
	v_fma_f32 v55, v64, v60, -v57
	v_mul_f32_e32 v60, v64, v63
	s_delay_alu instid0(VALU_DEP_1) | instskip(SKIP_1) | instid1(VALU_DEP_1)
	v_fmac_f32_e32 v60, v65, v62
	s_wait_dscnt 0x0
	v_dual_add_f32 v37, v37, v60 :: v_dual_mul_f32 v60, v70, v3
	v_dual_add_f32 v61, v52, v56 :: v_dual_mul_f32 v52, v65, v63
	v_mul_f32_e32 v56, v71, v1
	v_mul_f32_e32 v74, v71, v3
	s_delay_alu instid0(VALU_DEP_4) | instskip(NEXT) | instid1(VALU_DEP_4)
	v_dual_fmac_f32 v60, v71, v2 :: v_dual_mul_f32 v63, v70, v1
	v_fma_f32 v52, v64, v62, -v52
	s_delay_alu instid0(VALU_DEP_4) | instskip(NEXT) | instid1(VALU_DEP_2)
	v_fma_f32 v62, v70, v0, -v56
	v_dual_add_f32 v64, v59, v55 :: v_dual_add_f32 v65, v54, v52
	s_delay_alu instid0(VALU_DEP_2)
	v_dual_add_f32 v72, v72, v62 :: v_dual_fmac_f32 v63, v71, v0
	v_add_f32_e32 v73, v53, v58
	ds_load_b128 v[52:55], v44 offset:96
	ds_load_2addr_b64 v[56:59], v47 offset0:128 offset1:144
	v_fma_f32 v62, v70, v2, -v74
	v_mul_f32_e32 v70, v67, v1
	v_add_f32_e32 v74, v68, v63
	s_delay_alu instid0(VALU_DEP_2) | instskip(NEXT) | instid1(VALU_DEP_1)
	v_fma_f32 v68, v66, v0, -v70
	v_dual_mul_f32 v70, v67, v3 :: v_dual_add_f32 v77, v64, v68
	v_mul_f32_e32 v64, v66, v3
	s_delay_alu instid0(VALU_DEP_1) | instskip(NEXT) | instid1(VALU_DEP_1)
	v_dual_mul_f32 v1, v66, v1 :: v_dual_fmac_f32 v64, v67, v2
	v_fmac_f32_e32 v1, v67, v0
	s_delay_alu instid0(VALU_DEP_4)
	v_fma_f32 v0, v66, v2, -v70
	s_wait_dscnt 0x0
	v_mul_f32_e32 v79, v52, v59
	v_mul_f32_e32 v66, v52, v57
	v_add_f32_e32 v76, v69, v60
	ds_load_b128 v[68:71], v44 offset:112
	v_add_f32_e32 v78, v65, v0
	v_fmac_f32_e32 v79, v53, v58
	v_add_f32_e32 v75, v61, v62
	ds_load_b128 v[60:63], v44 offset:4192
	v_fmac_f32_e32 v66, v53, v56
	v_mul_f32_e32 v67, v53, v59
	v_dual_add_f32 v76, v76, v79 :: v_dual_mul_f32 v3, v53, v57
	s_delay_alu instid0(VALU_DEP_1) | instskip(NEXT) | instid1(VALU_DEP_3)
	v_fma_f32 v65, v52, v56, -v3
	v_fma_f32 v52, v52, v58, -v67
	s_delay_alu instid0(VALU_DEP_2) | instskip(SKIP_1) | instid1(VALU_DEP_2)
	v_add_f32_e32 v72, v72, v65
	s_wait_dscnt 0x0
	v_dual_add_f32 v52, v75, v52 :: v_dual_mul_f32 v53, v60, v57
	v_dual_add_f32 v74, v74, v66 :: v_dual_add_f32 v73, v73, v1
	ds_load_2addr_b64 v[0:3], v47 offset0:160 offset1:176
	v_mul_f32_e32 v80, v61, v57
	v_mul_f32_e32 v57, v61, v59
	v_fmac_f32_e32 v53, v61, v56
	v_mul_f32_e32 v79, v60, v59
	v_add_f32_e32 v37, v37, v64
	v_fma_f32 v75, v60, v56, -v80
	v_fma_f32 v56, v60, v58, -v57
	ds_load_b128 v[64:67], v44 offset:4208
	v_fmac_f32_e32 v79, v61, v58
	v_dual_add_f32 v60, v77, v75 :: v_dual_add_f32 v61, v78, v56
	s_wait_dscnt 0x1
	v_mul_f32_e32 v57, v55, v1
	s_delay_alu instid0(VALU_DEP_1)
	v_fma_f32 v75, v54, v0, -v57
	ds_load_2addr_b64 v[56:59], v47 offset0:192 offset1:208
	v_mul_f32_e32 v77, v55, v3
	v_dual_add_f32 v72, v72, v75 :: v_dual_add_f32 v53, v73, v53
	v_mul_f32_e32 v73, v54, v1
	v_mul_f32_e32 v75, v54, v3
	s_delay_alu instid0(VALU_DEP_4)
	v_fma_f32 v54, v54, v2, -v77
	v_mul_f32_e32 v77, v63, v1
	v_mul_f32_e32 v1, v62, v1
	v_fmac_f32_e32 v73, v55, v0
	v_fmac_f32_e32 v75, v55, v2
	v_add_f32_e32 v52, v52, v54
	v_fma_f32 v54, v62, v0, -v77
	v_fmac_f32_e32 v1, v63, v0
	v_dual_mul_f32 v0, v63, v3 :: v_dual_add_f32 v73, v74, v73
	v_mul_f32_e32 v74, v62, v3
	s_delay_alu instid0(VALU_DEP_4) | instskip(NEXT) | instid1(VALU_DEP_3)
	v_add_f32_e32 v54, v60, v54
	v_fma_f32 v60, v62, v2, -v0
	s_wait_dscnt 0x0
	v_mul_f32_e32 v62, v69, v57
	v_dual_fmac_f32 v74, v63, v2 :: v_dual_mul_f32 v63, v68, v57
	s_delay_alu instid0(VALU_DEP_3) | instskip(NEXT) | instid1(VALU_DEP_3)
	v_add_f32_e32 v60, v61, v60
	v_fma_f32 v61, v68, v56, -v62
	v_mul_f32_e32 v62, v69, v59
	s_delay_alu instid0(VALU_DEP_4) | instskip(NEXT) | instid1(VALU_DEP_2)
	v_fmac_f32_e32 v63, v69, v56
	v_fma_f32 v62, v68, v58, -v62
	s_delay_alu instid0(VALU_DEP_1) | instskip(SKIP_4) | instid1(VALU_DEP_2)
	v_dual_add_f32 v62, v52, v62 :: v_dual_add_f32 v53, v53, v1
	ds_load_2addr_b64 v[0:3], v47 offset0:224 offset1:240
	v_add_f32_e32 v55, v76, v75
	v_dual_mul_f32 v75, v68, v59 :: v_dual_mul_f32 v68, v65, v57
	v_dual_mul_f32 v57, v64, v57 :: v_dual_mul_f32 v52, v65, v59
	v_fmac_f32_e32 v75, v69, v58
	s_delay_alu instid0(VALU_DEP_2) | instskip(NEXT) | instid1(VALU_DEP_3)
	v_fmac_f32_e32 v57, v65, v56
	v_fma_f32 v52, v64, v58, -v52
	s_delay_alu instid0(VALU_DEP_3) | instskip(SKIP_3) | instid1(VALU_DEP_3)
	v_add_f32_e32 v69, v55, v75
	v_fma_f32 v55, v64, v56, -v68
	v_mul_f32_e32 v68, v64, v59
	v_add_f32_e32 v37, v37, v79
	v_add_f32_e32 v64, v54, v55
	s_delay_alu instid0(VALU_DEP_3) | instskip(SKIP_1) | instid1(VALU_DEP_3)
	v_fmac_f32_e32 v68, v65, v58
	s_wait_dscnt 0x0
	v_dual_mul_f32 v56, v71, v1 :: v_dual_add_f32 v37, v37, v74
	v_add_f32_e32 v65, v60, v52
	v_dual_add_f32 v61, v72, v61 :: v_dual_mul_f32 v74, v71, v3
	s_delay_alu instid0(VALU_DEP_3) | instskip(NEXT) | instid1(VALU_DEP_4)
	v_fma_f32 v60, v70, v0, -v56
	v_dual_add_f32 v37, v37, v68 :: v_dual_mul_f32 v68, v70, v3
	s_delay_alu instid0(VALU_DEP_2) | instskip(NEXT) | instid1(VALU_DEP_4)
	v_add_f32_e32 v75, v61, v60
	v_fma_f32 v60, v70, v2, -v74
	v_mul_f32_e32 v61, v67, v1
	s_delay_alu instid0(VALU_DEP_4) | instskip(NEXT) | instid1(VALU_DEP_3)
	v_fmac_f32_e32 v68, v71, v2
	v_add_f32_e32 v74, v62, v60
	v_add_f32_e32 v72, v53, v57
	ds_load_b128 v[52:55], v44 offset:128
	ds_load_2addr_b64 v[56:59], v48 offset1:16
	v_add_f32_e32 v63, v73, v63
	v_mul_f32_e32 v73, v70, v1
	v_fma_f32 v70, v66, v0, -v61
	v_dual_mul_f32 v1, v66, v1 :: v_dual_add_f32 v76, v69, v68
	s_delay_alu instid0(VALU_DEP_3) | instskip(SKIP_1) | instid1(VALU_DEP_4)
	v_fmac_f32_e32 v73, v71, v0
	v_mul_f32_e32 v71, v67, v3
	v_dual_add_f32 v77, v64, v70 :: v_dual_mul_f32 v64, v66, v3
	s_delay_alu instid0(VALU_DEP_4) | instskip(NEXT) | instid1(VALU_DEP_3)
	v_fmac_f32_e32 v1, v67, v0
	v_fma_f32 v0, v66, v2, -v71
	ds_load_b128 v[68:71], v44 offset:144
	v_fmac_f32_e32 v64, v67, v2
	v_add_f32_e32 v72, v72, v1
	v_add_f32_e32 v78, v65, v0
	s_wait_dscnt 0x1
	v_mul_f32_e32 v3, v53, v57
	v_dual_mul_f32 v67, v53, v59 :: v_dual_mul_f32 v66, v52, v57
	v_mul_f32_e32 v79, v52, v59
	s_delay_alu instid0(VALU_DEP_3) | instskip(NEXT) | instid1(VALU_DEP_3)
	v_fma_f32 v65, v52, v56, -v3
	v_fma_f32 v52, v52, v58, -v67
	ds_load_2addr_b64 v[0:3], v48 offset0:32 offset1:48
	v_fmac_f32_e32 v66, v53, v56
	v_dual_fmac_f32 v79, v53, v58 :: v_dual_add_f32 v52, v74, v52
	v_add_f32_e32 v73, v63, v73
	ds_load_b128 v[60:63], v44 offset:4224
	v_add_f32_e32 v76, v76, v79
	s_wait_dscnt 0x0
	v_mul_f32_e32 v80, v61, v57
	v_mul_f32_e32 v53, v60, v57
	;; [unrolled: 1-line block ×4, first 2 shown]
	s_delay_alu instid0(VALU_DEP_4) | instskip(NEXT) | instid1(VALU_DEP_4)
	v_fma_f32 v74, v60, v56, -v80
	v_fmac_f32_e32 v53, v61, v56
	s_delay_alu instid0(VALU_DEP_4) | instskip(SKIP_3) | instid1(VALU_DEP_4)
	v_fma_f32 v56, v60, v58, -v57
	v_mul_f32_e32 v57, v55, v1
	v_fmac_f32_e32 v79, v61, v58
	v_dual_add_f32 v60, v77, v74 :: v_dual_mul_f32 v77, v55, v3
	v_add_f32_e32 v61, v78, v56
	s_delay_alu instid0(VALU_DEP_4) | instskip(SKIP_4) | instid1(VALU_DEP_3)
	v_fma_f32 v74, v54, v0, -v57
	ds_load_2addr_b64 v[56:59], v48 offset0:64 offset1:80
	v_add_f32_e32 v75, v75, v65
	v_add_f32_e32 v53, v72, v53
	v_mul_f32_e32 v72, v54, v1
	v_dual_add_f32 v74, v75, v74 :: v_dual_mul_f32 v75, v54, v3
	v_fma_f32 v54, v54, v2, -v77
	v_mul_f32_e32 v77, v63, v1
	s_delay_alu instid0(VALU_DEP_4) | instskip(NEXT) | instid1(VALU_DEP_3)
	v_dual_fmac_f32 v72, v55, v0 :: v_dual_mul_f32 v1, v62, v1
	v_dual_add_f32 v37, v37, v64 :: v_dual_add_f32 v52, v52, v54
	s_delay_alu instid0(VALU_DEP_3) | instskip(SKIP_1) | instid1(VALU_DEP_4)
	v_fma_f32 v54, v62, v0, -v77
	v_fmac_f32_e32 v75, v55, v2
	v_fmac_f32_e32 v1, v63, v0
	v_mul_f32_e32 v0, v63, v3
	s_delay_alu instid0(VALU_DEP_4)
	v_add_f32_e32 v54, v60, v54
	v_add_f32_e32 v73, v73, v66
	ds_load_b128 v[64:67], v44 offset:4240
	v_add_f32_e32 v53, v53, v1
	v_fma_f32 v60, v62, v2, -v0
	v_dual_add_f32 v55, v76, v75 :: v_dual_add_f32 v72, v73, v72
	s_wait_dscnt 0x1
	v_dual_mul_f32 v73, v62, v3 :: v_dual_mul_f32 v62, v69, v57
	s_delay_alu instid0(VALU_DEP_3) | instskip(NEXT) | instid1(VALU_DEP_2)
	v_dual_add_f32 v60, v61, v60 :: v_dual_mul_f32 v75, v68, v59
	v_fmac_f32_e32 v73, v63, v2
	ds_load_2addr_b64 v[0:3], v48 offset0:96 offset1:112
	v_fma_f32 v61, v68, v56, -v62
	v_dual_mul_f32 v62, v69, v59 :: v_dual_mul_f32 v63, v68, v57
	v_fmac_f32_e32 v75, v69, v58
	s_delay_alu instid0(VALU_DEP_3) | instskip(NEXT) | instid1(VALU_DEP_3)
	v_add_f32_e32 v61, v74, v61
	v_fma_f32 v62, v68, v58, -v62
	s_delay_alu instid0(VALU_DEP_4)
	v_fmac_f32_e32 v63, v69, v56
	s_wait_dscnt 0x1
	v_mul_f32_e32 v68, v65, v57
	v_mul_f32_e32 v57, v64, v57
	v_dual_add_f32 v69, v55, v75 :: v_dual_add_f32 v62, v52, v62
	v_mul_f32_e32 v52, v65, v59
	s_delay_alu instid0(VALU_DEP_4) | instskip(NEXT) | instid1(VALU_DEP_4)
	v_fma_f32 v55, v64, v56, -v68
	v_dual_fmac_f32 v57, v65, v56 :: v_dual_mul_f32 v68, v64, v59
	v_add_f32_e32 v37, v37, v79
	s_delay_alu instid0(VALU_DEP_4)
	v_fma_f32 v52, v64, v58, -v52
	s_wait_dscnt 0x0
	v_dual_add_f32 v63, v72, v63 :: v_dual_mul_f32 v56, v71, v1
	v_add_f32_e32 v64, v54, v55
	v_add_f32_e32 v72, v53, v57
	v_dual_fmac_f32 v68, v65, v58 :: v_dual_add_f32 v65, v60, v52
	s_delay_alu instid0(VALU_DEP_4)
	v_fma_f32 v60, v70, v0, -v56
	ds_load_b128 v[52:55], v44 offset:160
	ds_load_2addr_b64 v[56:59], v48 offset0:128 offset1:144
	v_add_f32_e32 v37, v37, v73
	v_dual_mul_f32 v73, v70, v1 :: v_dual_mul_f32 v74, v71, v3
	v_add_f32_e32 v75, v61, v60
	v_mul_f32_e32 v61, v67, v1
	s_delay_alu instid0(VALU_DEP_4) | instskip(NEXT) | instid1(VALU_DEP_4)
	v_dual_add_f32 v37, v37, v68 :: v_dual_mul_f32 v68, v70, v3
	v_fmac_f32_e32 v73, v71, v0
	v_fma_f32 v60, v70, v2, -v74
	v_mul_f32_e32 v1, v66, v1
	v_fma_f32 v70, v66, v0, -v61
	v_fmac_f32_e32 v68, v71, v2
	v_mul_f32_e32 v71, v67, v3
	v_dual_add_f32 v73, v63, v73 :: v_dual_add_f32 v74, v62, v60
	v_fmac_f32_e32 v1, v67, v0
	ds_load_b128 v[60:63], v44 offset:4256
	v_add_f32_e32 v77, v64, v70
	v_fma_f32 v0, v66, v2, -v71
	s_wait_dscnt 0x1
	v_dual_mul_f32 v64, v66, v3 :: v_dual_mul_f32 v3, v53, v57
	v_add_f32_e32 v72, v72, v1
	v_mul_f32_e32 v66, v52, v57
	v_add_f32_e32 v78, v65, v0
	s_delay_alu instid0(VALU_DEP_4)
	v_fmac_f32_e32 v64, v67, v2
	v_fma_f32 v65, v52, v56, -v3
	ds_load_2addr_b64 v[0:3], v48 offset0:160 offset1:176
	v_mul_f32_e32 v67, v53, v59
	v_dual_mul_f32 v79, v52, v59 :: v_dual_add_f32 v76, v69, v68
	ds_load_b128 v[68:71], v44 offset:176
	v_fmac_f32_e32 v66, v53, v56
	v_fma_f32 v52, v52, v58, -v67
	v_fmac_f32_e32 v79, v53, v58
	v_add_f32_e32 v75, v75, v65
	s_wait_dscnt 0x2
	v_mul_f32_e32 v80, v61, v57
	v_mul_f32_e32 v53, v60, v57
	v_dual_mul_f32 v57, v61, v59 :: v_dual_add_f32 v52, v74, v52
	v_add_f32_e32 v76, v76, v79
	s_delay_alu instid0(VALU_DEP_4) | instskip(NEXT) | instid1(VALU_DEP_4)
	v_fma_f32 v74, v60, v56, -v80
	v_fmac_f32_e32 v53, v61, v56
	s_delay_alu instid0(VALU_DEP_4)
	v_fma_f32 v56, v60, v58, -v57
	v_mul_f32_e32 v79, v60, v59
	v_add_f32_e32 v73, v73, v66
	s_wait_dscnt 0x1
	v_dual_mul_f32 v57, v55, v1 :: v_dual_add_f32 v60, v77, v74
	v_add_f32_e32 v53, v72, v53
	v_dual_mul_f32 v72, v54, v1 :: v_dual_mul_f32 v77, v55, v3
	s_delay_alu instid0(VALU_DEP_3)
	v_fma_f32 v74, v54, v0, -v57
	v_fmac_f32_e32 v79, v61, v58
	v_add_f32_e32 v61, v78, v56
	ds_load_2addr_b64 v[56:59], v48 offset0:192 offset1:208
	v_fmac_f32_e32 v72, v55, v0
	v_dual_add_f32 v74, v75, v74 :: v_dual_mul_f32 v75, v54, v3
	v_fma_f32 v54, v54, v2, -v77
	v_mul_f32_e32 v77, v63, v1
	s_delay_alu instid0(VALU_DEP_4) | instskip(NEXT) | instid1(VALU_DEP_3)
	v_dual_mul_f32 v1, v62, v1 :: v_dual_add_f32 v72, v73, v72
	v_dual_mul_f32 v73, v62, v3 :: v_dual_add_f32 v52, v52, v54
	s_delay_alu instid0(VALU_DEP_3) | instskip(NEXT) | instid1(VALU_DEP_3)
	v_fma_f32 v54, v62, v0, -v77
	v_fmac_f32_e32 v1, v63, v0
	v_mul_f32_e32 v0, v63, v3
	v_fmac_f32_e32 v75, v55, v2
	v_fmac_f32_e32 v73, v63, v2
	s_delay_alu instid0(VALU_DEP_4) | instskip(NEXT) | instid1(VALU_DEP_4)
	v_dual_add_f32 v54, v60, v54 :: v_dual_add_f32 v53, v53, v1
	v_fma_f32 v60, v62, v2, -v0
	ds_load_2addr_b64 v[0:3], v48 offset0:224 offset1:240
	s_wait_dscnt 0x1
	v_dual_add_f32 v55, v76, v75 :: v_dual_mul_f32 v62, v69, v57
	v_dual_mul_f32 v75, v68, v59 :: v_dual_add_f32 v60, v61, v60
	v_mul_f32_e32 v63, v68, v57
	s_delay_alu instid0(VALU_DEP_3) | instskip(SKIP_1) | instid1(VALU_DEP_4)
	v_fma_f32 v61, v68, v56, -v62
	v_mul_f32_e32 v62, v69, v59
	v_fmac_f32_e32 v75, v69, v58
	s_delay_alu instid0(VALU_DEP_4) | instskip(NEXT) | instid1(VALU_DEP_4)
	v_fmac_f32_e32 v63, v69, v56
	v_add_f32_e32 v61, v74, v61
	s_delay_alu instid0(VALU_DEP_4) | instskip(NEXT) | instid1(VALU_DEP_4)
	v_fma_f32 v62, v68, v58, -v62
	v_add_f32_e32 v69, v55, v75
	s_delay_alu instid0(VALU_DEP_4) | instskip(NEXT) | instid1(VALU_DEP_3)
	v_add_f32_e32 v63, v72, v63
	v_add_f32_e32 v62, v52, v62
	s_wait_dscnt 0x0
	v_dual_mul_f32 v74, v71, v3 :: v_dual_add_f32 v37, v37, v64
	ds_load_b128 v[64:67], v44 offset:4272
	v_add_f32_e32 v37, v37, v79
	s_delay_alu instid0(VALU_DEP_1) | instskip(SKIP_2) | instid1(VALU_DEP_1)
	v_add_f32_e32 v37, v37, v73
	v_mul_f32_e32 v73, v70, v1
	s_wait_dscnt 0x0
	v_dual_fmac_f32 v73, v71, v0 :: v_dual_mul_f32 v68, v65, v57
	v_dual_mul_f32 v57, v64, v57 :: v_dual_mul_f32 v52, v65, v59
	s_delay_alu instid0(VALU_DEP_2) | instskip(NEXT) | instid1(VALU_DEP_3)
	v_add_f32_e32 v73, v63, v73
	v_fma_f32 v55, v64, v56, -v68
	s_delay_alu instid0(VALU_DEP_3) | instskip(NEXT) | instid1(VALU_DEP_4)
	v_dual_fmac_f32 v57, v65, v56 :: v_dual_mul_f32 v68, v64, v59
	v_fma_f32 v52, v64, v58, -v52
	v_mul_f32_e32 v56, v71, v1
	s_delay_alu instid0(VALU_DEP_4) | instskip(NEXT) | instid1(VALU_DEP_4)
	v_add_f32_e32 v64, v54, v55
	v_add_f32_e32 v72, v53, v57
	s_delay_alu instid0(VALU_DEP_4) | instskip(NEXT) | instid1(VALU_DEP_4)
	v_dual_fmac_f32 v68, v65, v58 :: v_dual_add_f32 v65, v60, v52
	v_fma_f32 v60, v70, v0, -v56
	ds_load_b128 v[52:55], v44 offset:192
	ds_load_2addr_b64 v[56:59], v49 offset1:16
	v_dual_add_f32 v37, v37, v68 :: v_dual_mul_f32 v68, v70, v3
	v_add_f32_e32 v75, v61, v60
	v_mul_f32_e32 v61, v67, v1
	v_fma_f32 v60, v70, v2, -v74
	s_delay_alu instid0(VALU_DEP_4) | instskip(SKIP_1) | instid1(VALU_DEP_4)
	v_dual_mul_f32 v1, v66, v1 :: v_dual_fmac_f32 v68, v71, v2
	v_mul_f32_e32 v71, v67, v3
	v_fma_f32 v70, v66, v0, -v61
	s_delay_alu instid0(VALU_DEP_4) | instskip(NEXT) | instid1(VALU_DEP_4)
	v_add_f32_e32 v74, v62, v60
	v_fmac_f32_e32 v1, v67, v0
	ds_load_b128 v[60:63], v44 offset:4288
	v_fma_f32 v0, v66, v2, -v71
	v_dual_add_f32 v77, v64, v70 :: v_dual_mul_f32 v64, v66, v3
	v_add_f32_e32 v72, v72, v1
	v_add_f32_e32 v76, v69, v68
	s_delay_alu instid0(VALU_DEP_4) | instskip(SKIP_4) | instid1(VALU_DEP_3)
	v_add_f32_e32 v78, v65, v0
	s_wait_dscnt 0x1
	v_dual_mul_f32 v3, v53, v57 :: v_dual_fmac_f32 v64, v67, v2
	v_dual_mul_f32 v66, v52, v57 :: v_dual_mul_f32 v67, v53, v59
	v_mul_f32_e32 v79, v52, v59
	v_fma_f32 v65, v52, v56, -v3
	ds_load_2addr_b64 v[0:3], v49 offset0:32 offset1:48
	ds_load_b128 v[68:71], v44 offset:208
	v_fmac_f32_e32 v66, v53, v56
	v_fma_f32 v52, v52, v58, -v67
	v_fmac_f32_e32 v79, v53, v58
	v_add_f32_e32 v75, v75, v65
	v_add_f32_e32 v37, v37, v64
	s_wait_dscnt 0x2
	v_mul_f32_e32 v80, v61, v57
	v_mul_f32_e32 v53, v60, v57
	v_dual_mul_f32 v57, v61, v59 :: v_dual_add_f32 v52, v74, v52
	v_add_f32_e32 v76, v76, v79
	s_delay_alu instid0(VALU_DEP_4) | instskip(NEXT) | instid1(VALU_DEP_4)
	v_fma_f32 v74, v60, v56, -v80
	v_fmac_f32_e32 v53, v61, v56
	v_mul_f32_e32 v79, v60, v59
	v_fma_f32 v56, v60, v58, -v57
	v_add_f32_e32 v73, v73, v66
	s_delay_alu instid0(VALU_DEP_4) | instskip(NEXT) | instid1(VALU_DEP_4)
	v_dual_add_f32 v60, v77, v74 :: v_dual_add_f32 v53, v72, v53
	v_fmac_f32_e32 v79, v61, v58
	s_wait_dscnt 0x1
	v_mul_f32_e32 v57, v55, v1
	v_add_f32_e32 v61, v78, v56
	v_dual_mul_f32 v72, v54, v1 :: v_dual_mul_f32 v77, v55, v3
	ds_load_b128 v[64:67], v44 offset:4304
	v_fma_f32 v74, v54, v0, -v57
	ds_load_2addr_b64 v[56:59], v49 offset0:64 offset1:80
	v_dual_fmac_f32 v72, v55, v0 :: v_dual_add_f32 v37, v37, v79
	v_dual_add_f32 v74, v75, v74 :: v_dual_mul_f32 v75, v54, v3
	v_fma_f32 v54, v54, v2, -v77
	v_mul_f32_e32 v77, v63, v1
	s_delay_alu instid0(VALU_DEP_4) | instskip(NEXT) | instid1(VALU_DEP_3)
	v_dual_mul_f32 v1, v62, v1 :: v_dual_add_f32 v72, v73, v72
	v_dual_mul_f32 v73, v62, v3 :: v_dual_add_f32 v52, v52, v54
	s_delay_alu instid0(VALU_DEP_3) | instskip(NEXT) | instid1(VALU_DEP_3)
	v_fma_f32 v54, v62, v0, -v77
	v_fmac_f32_e32 v1, v63, v0
	v_mul_f32_e32 v0, v63, v3
	v_fmac_f32_e32 v75, v55, v2
	v_fmac_f32_e32 v73, v63, v2
	s_delay_alu instid0(VALU_DEP_4) | instskip(NEXT) | instid1(VALU_DEP_4)
	v_dual_add_f32 v54, v60, v54 :: v_dual_add_f32 v53, v53, v1
	v_fma_f32 v60, v62, v2, -v0
	s_wait_dscnt 0x0
	v_mul_f32_e32 v62, v69, v57
	ds_load_2addr_b64 v[0:3], v49 offset0:96 offset1:112
	v_add_f32_e32 v55, v76, v75
	v_dual_mul_f32 v75, v68, v59 :: v_dual_add_f32 v60, v61, v60
	v_fma_f32 v61, v68, v56, -v62
	v_dual_mul_f32 v62, v69, v59 :: v_dual_mul_f32 v63, v68, v57
	s_delay_alu instid0(VALU_DEP_3) | instskip(SKIP_1) | instid1(VALU_DEP_4)
	v_fmac_f32_e32 v75, v69, v58
	v_add_f32_e32 v37, v37, v73
	v_add_f32_e32 v61, v74, v61
	s_delay_alu instid0(VALU_DEP_4) | instskip(SKIP_3) | instid1(VALU_DEP_4)
	v_fma_f32 v62, v68, v58, -v62
	v_mul_f32_e32 v68, v65, v57
	v_mul_f32_e32 v57, v64, v57
	v_fmac_f32_e32 v63, v69, v56
	v_dual_add_f32 v69, v55, v75 :: v_dual_add_f32 v62, v52, v62
	v_mul_f32_e32 v52, v65, v59
	v_fma_f32 v55, v64, v56, -v68
	v_dual_fmac_f32 v57, v65, v56 :: v_dual_mul_f32 v68, v64, v59
	s_wait_dscnt 0x0
	v_mul_f32_e32 v56, v71, v1
	v_fma_f32 v52, v64, v58, -v52
	v_add_f32_e32 v63, v72, v63
	v_add_f32_e32 v64, v54, v55
	;; [unrolled: 1-line block ×3, first 2 shown]
	s_delay_alu instid0(VALU_DEP_4)
	v_dual_fmac_f32 v68, v65, v58 :: v_dual_add_f32 v65, v60, v52
	v_fma_f32 v60, v70, v0, -v56
	ds_load_b128 v[52:55], v44 offset:224
	ds_load_2addr_b64 v[56:59], v49 offset0:128 offset1:144
	v_dual_mul_f32 v73, v70, v1 :: v_dual_mul_f32 v74, v71, v3
	v_dual_add_f32 v37, v37, v68 :: v_dual_mul_f32 v68, v70, v3
	s_delay_alu instid0(VALU_DEP_2) | instskip(NEXT) | instid1(VALU_DEP_3)
	v_fmac_f32_e32 v73, v71, v0
	v_fma_f32 v70, v70, v2, -v74
	v_add_f32_e32 v74, v61, v60
	v_mul_f32_e32 v60, v67, v1
	v_fmac_f32_e32 v68, v71, v2
	v_add_f32_e32 v73, v63, v73
	v_add_f32_e32 v75, v62, v70
	v_mul_f32_e32 v1, v66, v1
	v_fma_f32 v70, v66, v0, -v60
	v_add_f32_e32 v76, v69, v68
	v_mul_f32_e32 v68, v67, v3
	ds_load_b128 v[60:63], v44 offset:4320
	v_fmac_f32_e32 v1, v67, v0
	v_dual_add_f32 v77, v64, v70 :: v_dual_mul_f32 v64, v66, v3
	v_fma_f32 v0, v66, v2, -v68
	s_wait_dscnt 0x1
	v_mul_f32_e32 v3, v53, v57
	v_add_f32_e32 v72, v72, v1
	v_mul_f32_e32 v66, v53, v59
	v_fmac_f32_e32 v64, v67, v2
	v_add_f32_e32 v78, v65, v0
	v_fma_f32 v65, v52, v56, -v3
	ds_load_2addr_b64 v[0:3], v49 offset0:160 offset1:176
	ds_load_b128 v[68:71], v44 offset:240
	v_mul_f32_e32 v79, v52, v57
	v_mul_f32_e32 v80, v52, v59
	v_fma_f32 v52, v52, v58, -v66
	v_dual_add_f32 v74, v74, v65 :: v_dual_add_f32 v37, v37, v64
	s_delay_alu instid0(VALU_DEP_4) | instskip(NEXT) | instid1(VALU_DEP_4)
	v_fmac_f32_e32 v79, v53, v56
	v_fmac_f32_e32 v80, v53, v58
	s_wait_dscnt 0x2
	v_mul_f32_e32 v81, v61, v57
	v_dual_mul_f32 v53, v60, v57 :: v_dual_add_f32 v52, v75, v52
	v_mul_f32_e32 v75, v61, v59
	v_add_f32_e32 v73, v73, v79
	s_delay_alu instid0(VALU_DEP_4) | instskip(NEXT) | instid1(VALU_DEP_4)
	v_fma_f32 v57, v60, v56, -v81
	v_fmac_f32_e32 v53, v61, v56
	v_mul_f32_e32 v79, v60, v59
	v_fma_f32 v56, v60, v58, -v75
	ds_load_b128 v[64:67], v44 offset:4336
	v_add_f32_e32 v77, v77, v57
	s_wait_dscnt 0x2
	v_mul_f32_e32 v57, v55, v1
	v_add_f32_e32 v53, v72, v53
	v_dual_fmac_f32 v79, v61, v58 :: v_dual_mul_f32 v60, v54, v1
	v_add_f32_e32 v61, v78, v56
	s_delay_alu instid0(VALU_DEP_4)
	v_fma_f32 v72, v54, v0, -v57
	ds_load_2addr_b64 v[56:59], v49 offset0:192 offset1:208
	v_mul_f32_e32 v75, v55, v3
	v_fmac_f32_e32 v60, v55, v0
	v_add_f32_e32 v76, v76, v80
	v_add_f32_e32 v72, v74, v72
	v_mul_f32_e32 v74, v54, v3
	v_fma_f32 v54, v54, v2, -v75
	v_dual_add_f32 v60, v73, v60 :: v_dual_mul_f32 v73, v63, v1
	s_delay_alu instid0(VALU_DEP_3) | instskip(NEXT) | instid1(VALU_DEP_3)
	v_dual_mul_f32 v1, v62, v1 :: v_dual_fmac_f32 v74, v55, v2
	v_add_f32_e32 v52, v52, v54
	v_mul_f32_e32 v54, v63, v3
	s_delay_alu instid0(VALU_DEP_4) | instskip(NEXT) | instid1(VALU_DEP_4)
	v_fma_f32 v55, v62, v0, -v73
	v_fmac_f32_e32 v1, v63, v0
	v_dual_add_f32 v73, v76, v74 :: v_dual_mul_f32 v74, v62, v3
	s_delay_alu instid0(VALU_DEP_4) | instskip(NEXT) | instid1(VALU_DEP_4)
	v_fma_f32 v0, v62, v2, -v54
	v_add_f32_e32 v54, v77, v55
	s_delay_alu instid0(VALU_DEP_4)
	v_add_f32_e32 v53, v53, v1
	s_wait_dscnt 0x0
	v_dual_mul_f32 v55, v69, v57 :: v_dual_fmac_f32 v74, v63, v2
	v_add_f32_e32 v61, v61, v0
	ds_load_2addr_b64 v[0:3], v49 offset0:224 offset1:240
	v_mul_f32_e32 v62, v68, v57
	v_fma_f32 v55, v68, v56, -v55
	v_mul_f32_e32 v63, v69, v59
	v_add_f32_e32 v37, v37, v79
	s_wait_loadcnt_dscnt 0x0
	s_delay_alu instid0(VALU_DEP_3) | instskip(SKIP_3) | instid1(VALU_DEP_4)
	v_dual_fmac_f32 v62, v69, v56 :: v_dual_add_f32 v55, v72, v55
	v_mul_f32_e32 v72, v65, v57
	v_fma_f32 v63, v68, v58, -v63
	v_mul_f32_e32 v57, v64, v57
	v_add_f32_e32 v60, v60, v62
	v_add_f32_e32 v37, v37, v74
	v_fma_f32 v62, v64, v56, -v72
	v_add_f32_e32 v52, v52, v63
	v_mul_f32_e32 v63, v65, v59
	v_dual_mul_f32 v74, v68, v59 :: v_dual_fmac_f32 v57, v65, v56
	s_delay_alu instid0(VALU_DEP_4) | instskip(SKIP_1) | instid1(VALU_DEP_4)
	v_add_f32_e32 v54, v54, v62
	v_mul_f32_e32 v56, v64, v59
	v_fma_f32 v59, v64, v58, -v63
	v_mul_f32_e32 v62, v71, v1
	v_mul_f32_e32 v63, v70, v1
	v_add_f32_e32 v53, v53, v57
	v_fmac_f32_e32 v56, v65, v58
	v_add_f32_e32 v59, v61, v59
	v_fma_f32 v57, v70, v0, -v62
	v_fmac_f32_e32 v63, v71, v0
	v_dual_mul_f32 v61, v71, v3 :: v_dual_fmac_f32 v74, v69, v58
	v_dual_mul_f32 v62, v70, v3 :: v_dual_add_f32 v37, v37, v56
	s_delay_alu instid0(VALU_DEP_3) | instskip(NEXT) | instid1(VALU_DEP_3)
	v_dual_add_f32 v57, v55, v57 :: v_dual_add_f32 v58, v60, v63
	v_fma_f32 v55, v70, v2, -v61
	v_mul_f32_e32 v56, v67, v1
	v_dual_mul_f32 v1, v66, v1 :: v_dual_mul_f32 v60, v67, v3
	v_dual_mul_f32 v3, v66, v3 :: v_dual_add_f32 v68, v73, v74
	s_delay_alu instid0(VALU_DEP_4) | instskip(NEXT) | instid1(VALU_DEP_4)
	v_dual_fmac_f32 v62, v71, v2 :: v_dual_add_f32 v55, v52, v55
	v_fma_f32 v52, v66, v0, -v56
	s_delay_alu instid0(VALU_DEP_4) | instskip(SKIP_3) | instid1(VALU_DEP_4)
	v_fmac_f32_e32 v1, v67, v0
	v_fma_f32 v0, v66, v2, -v60
	v_fmac_f32_e32 v3, v67, v2
	v_add_f32_e32 v56, v68, v62
	v_dual_add_f32 v54, v54, v52 :: v_dual_add_f32 v53, v53, v1
	s_delay_alu instid0(VALU_DEP_3)
	v_dual_add_f32 v52, v59, v0 :: v_dual_add_f32 v37, v37, v3
	s_barrier_signal -1
	s_barrier_wait -1
	global_inv scope:SCOPE_SE
	s_cbranch_scc1 .LBB76_60
.LBB76_11:                              ;   Parent Loop BB76_4 Depth=1
                                        ;     Parent Loop BB76_8 Depth=2
                                        ; =>    This Inner Loop Header: Depth=3
	s_wait_alu 0xfffe
	v_add_co_u32 v2, s5, v4, s26
	s_wait_alu 0xf1ff
	v_add_co_ci_u32_e64 v3, null, s27, v5, s5
	v_cmp_eq_u64_e64 s7, s[26:27], v[12:13]
	s_delay_alu instid0(VALU_DEP_2)
	v_cmp_le_i64_e64 s6, s[42:43], v[2:3]
	v_cmp_lt_i64_e64 s5, v[2:3], v[6:7]
	s_and_b32 s56, s53, s7
	v_add_co_u32 v0, s7, v34, s24
	s_wait_alu 0xf1ff
	v_add_co_ci_u32_e64 v1, null, s25, v35, s7
	s_or_b32 s8, s6, s5
	s_wait_alu 0xfffe
	s_or_b32 s7, s8, s56
	s_wait_alu 0xfffe
	s_nor_b32 s7, s0, s7
	s_wait_alu 0xfffe
	s_and_saveexec_b32 s8, s7
	s_wait_alu 0xfffe
	s_xor_b32 s7, exec_lo, s8
	s_cbranch_execz .LBB76_13
; %bb.12:                               ;   in Loop: Header=BB76_11 Depth=3
	global_load_b64 v[59:60], v[0:1], off
	s_wait_loadcnt 0x0
	ds_store_b64 v45, v[59:60]
.LBB76_13:                              ;   in Loop: Header=BB76_11 Depth=3
	s_wait_alu 0xfffe
	s_or_saveexec_b32 s7, s7
	s_xor_b32 s55, s56, -1
	s_wait_alu 0xfffe
	s_xor_b32 exec_lo, exec_lo, s7
	s_cbranch_execz .LBB76_19
; %bb.14:                               ;   in Loop: Header=BB76_11 Depth=3
	s_and_saveexec_b32 s8, s55
	s_wait_alu 0xfffe
	s_xor_b32 s8, exec_lo, s8
; %bb.15:                               ;   in Loop: Header=BB76_11 Depth=3
	v_dual_mov_b32 v59, v27 :: v_dual_mov_b32 v60, v27
	ds_store_b64 v45, v[59:60]
; %bb.16:                               ;   in Loop: Header=BB76_11 Depth=3
	s_wait_alu 0xfffe
	s_and_not1_saveexec_b32 s8, s8
; %bb.17:                               ;   in Loop: Header=BB76_11 Depth=3
	ds_store_b64 v45, v[26:27]
; %bb.18:                               ;   in Loop: Header=BB76_11 Depth=3
	s_wait_alu 0xfffe
	s_or_b32 exec_lo, exec_lo, s8
.LBB76_19:                              ;   in Loop: Header=BB76_11 Depth=3
	s_delay_alu instid0(SALU_CYCLE_1)
	s_or_b32 exec_lo, exec_lo, s7
	v_cmp_eq_u64_e64 s7, s[26:27], v[16:17]
	v_cmp_gt_i64_e64 s8, v[10:11], v[2:3]
	s_and_b32 s7, s53, s7
	s_or_b32 s6, s6, s8
	s_wait_alu 0xfffe
	s_or_b32 s6, s6, s7
	s_wait_alu 0xfffe
	s_nor_b32 s6, s3, s6
	s_wait_alu 0xfffe
	s_and_saveexec_b32 s8, s6
	s_wait_alu 0xfffe
	s_xor_b32 s8, exec_lo, s8
	s_cbranch_execz .LBB76_21
; %bb.20:                               ;   in Loop: Header=BB76_11 Depth=3
	v_add_co_u32 v59, s6, v32, s24
	s_wait_alu 0xf1ff
	v_add_co_ci_u32_e64 v60, null, s25, v33, s6
	global_load_b64 v[59:60], v[59:60], off
	s_wait_loadcnt 0x0
	ds_store_b64 v45, v[59:60] offset:128
.LBB76_21:                              ;   in Loop: Header=BB76_11 Depth=3
	s_wait_alu 0xfffe
	s_and_not1_saveexec_b32 s6, s8
	s_cbranch_execz .LBB76_27
; %bb.22:                               ;   in Loop: Header=BB76_11 Depth=3
	s_xor_b32 s7, s7, -1
	s_wait_alu 0xfffe
	s_and_saveexec_b32 s8, s7
	s_wait_alu 0xfffe
	s_xor_b32 s7, exec_lo, s8
; %bb.23:                               ;   in Loop: Header=BB76_11 Depth=3
	v_dual_mov_b32 v59, v27 :: v_dual_mov_b32 v60, v27
	ds_store_b64 v45, v[59:60] offset:128
; %bb.24:                               ;   in Loop: Header=BB76_11 Depth=3
	s_wait_alu 0xfffe
	s_and_not1_saveexec_b32 s7, s7
; %bb.25:                               ;   in Loop: Header=BB76_11 Depth=3
	ds_store_b64 v45, v[26:27] offset:128
; %bb.26:                               ;   in Loop: Header=BB76_11 Depth=3
	s_wait_alu 0xfffe
	s_or_b32 exec_lo, exec_lo, s7
.LBB76_27:                              ;   in Loop: Header=BB76_11 Depth=3
	s_wait_alu 0xfffe
	s_or_b32 exec_lo, exec_lo, s6
	v_add_co_u32 v2, s6, v2, 16
	s_wait_alu 0xf1ff
	v_add_co_ci_u32_e64 v3, null, 0, v3, s6
	v_cmp_eq_u64_e64 s7, s[26:27], v[18:19]
	s_delay_alu instid0(VALU_DEP_2)
	v_cmp_le_i64_e64 s6, s[42:43], v[2:3]
	v_cmp_lt_i64_e64 s8, v[2:3], v[6:7]
	s_and_b32 s57, s53, s7
	s_or_b32 s7, s6, s8
	s_wait_alu 0xfffe
	s_or_b32 s7, s7, s57
	s_wait_alu 0xfffe
	s_nor_b32 s7, s0, s7
	s_wait_alu 0xfffe
	s_and_saveexec_b32 s8, s7
	s_wait_alu 0xfffe
	s_xor_b32 s7, exec_lo, s8
	s_cbranch_execz .LBB76_29
; %bb.28:                               ;   in Loop: Header=BB76_11 Depth=3
	global_load_b64 v[0:1], v[0:1], off offset:128
	s_wait_loadcnt 0x0
	ds_store_b64 v45, v[0:1] offset:4096
.LBB76_29:                              ;   in Loop: Header=BB76_11 Depth=3
	s_wait_alu 0xfffe
	s_and_not1_saveexec_b32 s7, s7
	s_cbranch_execz .LBB76_35
; %bb.30:                               ;   in Loop: Header=BB76_11 Depth=3
	s_xor_b32 s8, s57, -1
	s_wait_alu 0xfffe
	s_and_saveexec_b32 s57, s8
	s_delay_alu instid0(SALU_CYCLE_1)
	s_xor_b32 s8, exec_lo, s57
; %bb.31:                               ;   in Loop: Header=BB76_11 Depth=3
	v_dual_mov_b32 v0, v27 :: v_dual_mov_b32 v1, v27
	ds_store_b64 v45, v[0:1] offset:4096
; %bb.32:                               ;   in Loop: Header=BB76_11 Depth=3
	s_wait_alu 0xfffe
	s_and_not1_saveexec_b32 s8, s8
; %bb.33:                               ;   in Loop: Header=BB76_11 Depth=3
	ds_store_b64 v45, v[26:27] offset:4096
; %bb.34:                               ;   in Loop: Header=BB76_11 Depth=3
	s_wait_alu 0xfffe
	s_or_b32 exec_lo, exec_lo, s8
.LBB76_35:                              ;   in Loop: Header=BB76_11 Depth=3
	s_wait_alu 0xfffe
	s_or_b32 exec_lo, exec_lo, s7
	s_or_b32 s5, s6, s5
	s_wait_alu 0xfffe
	s_or_b32 s5, s5, s56
	s_wait_alu 0xfffe
	s_nor_b32 s5, s3, s5
	s_wait_alu 0xfffe
	s_and_saveexec_b32 s6, s5
	s_wait_alu 0xfffe
	s_xor_b32 s6, exec_lo, s6
	s_cbranch_execz .LBB76_37
; %bb.36:                               ;   in Loop: Header=BB76_11 Depth=3
	v_add_co_u32 v0, s5, v32, s24
	s_wait_alu 0xf1ff
	v_add_co_ci_u32_e64 v1, null, s25, v33, s5
	global_load_b64 v[0:1], v[0:1], off offset:128
	s_wait_loadcnt 0x0
	ds_store_b64 v45, v[0:1] offset:4224
.LBB76_37:                              ;   in Loop: Header=BB76_11 Depth=3
	s_wait_alu 0xfffe
	s_and_not1_saveexec_b32 s5, s6
	s_cbranch_execz .LBB76_43
; %bb.38:                               ;   in Loop: Header=BB76_11 Depth=3
	s_and_saveexec_b32 s6, s55
	s_wait_alu 0xfffe
	s_xor_b32 s6, exec_lo, s6
; %bb.39:                               ;   in Loop: Header=BB76_11 Depth=3
	v_dual_mov_b32 v0, v27 :: v_dual_mov_b32 v1, v27
	ds_store_b64 v45, v[0:1] offset:4224
; %bb.40:                               ;   in Loop: Header=BB76_11 Depth=3
	s_wait_alu 0xfffe
	s_and_not1_saveexec_b32 s6, s6
; %bb.41:                               ;   in Loop: Header=BB76_11 Depth=3
	ds_store_b64 v45, v[26:27] offset:4224
; %bb.42:                               ;   in Loop: Header=BB76_11 Depth=3
	s_wait_alu 0xfffe
	s_or_b32 exec_lo, exec_lo, s6
.LBB76_43:                              ;   in Loop: Header=BB76_11 Depth=3
	s_wait_alu 0xfffe
	s_or_b32 exec_lo, exec_lo, s5
	v_add_co_u32 v0, s5, v6, s26
	s_wait_alu 0xf1ff
	v_add_co_ci_u32_e64 v1, null, s27, v7, s5
	s_delay_alu instid0(VALU_DEP_1)
	v_cmp_gt_i64_e64 s5, s[42:43], v[0:1]
	s_and_b32 s6, vcc_lo, s5
	s_wait_alu 0xfffe
	s_xor_b32 s6, s6, -1
	s_wait_alu 0xfffe
	s_and_saveexec_b32 s7, s6
	s_wait_alu 0xfffe
	s_xor_b32 s6, exec_lo, s7
; %bb.44:                               ;   in Loop: Header=BB76_11 Depth=3
	v_dual_mov_b32 v2, v27 :: v_dual_mov_b32 v3, v27
	ds_store_b64 v46, v[2:3]
; %bb.45:                               ;   in Loop: Header=BB76_11 Depth=3
	s_wait_alu 0xfffe
	s_or_saveexec_b32 s7, s6
	v_add_co_u32 v2, s6, v38, s24
	s_wait_alu 0xf1ff
	v_add_co_ci_u32_e64 v3, null, s25, v39, s6
	s_wait_alu 0xfffe
	s_xor_b32 exec_lo, exec_lo, s7
	s_cbranch_execz .LBB76_47
; %bb.46:                               ;   in Loop: Header=BB76_11 Depth=3
	global_load_b64 v[59:60], v[2:3], off offset:-128
	s_wait_loadcnt 0x0
	ds_store_b64 v46, v[59:60]
.LBB76_47:                              ;   in Loop: Header=BB76_11 Depth=3
	s_or_b32 exec_lo, exec_lo, s7
	v_cmp_gt_i64_e64 s6, s[46:47], v[0:1]
	s_and_b32 s7, vcc_lo, s6
	s_wait_alu 0xfffe
	s_xor_b32 s7, s7, -1
	s_wait_alu 0xfffe
	s_and_saveexec_b32 s8, s7
	s_wait_alu 0xfffe
	s_xor_b32 s7, exec_lo, s8
; %bb.48:                               ;   in Loop: Header=BB76_11 Depth=3
	v_dual_mov_b32 v0, v27 :: v_dual_mov_b32 v1, v27
                                        ; implicit-def: $vgpr2_vgpr3
	ds_store_b64 v46, v[0:1] offset:128
; %bb.49:                               ;   in Loop: Header=BB76_11 Depth=3
	s_wait_alu 0xfffe
	s_and_not1_saveexec_b32 s7, s7
	s_cbranch_execz .LBB76_51
; %bb.50:                               ;   in Loop: Header=BB76_11 Depth=3
	global_load_b64 v[0:1], v[2:3], off
	s_wait_loadcnt 0x0
	ds_store_b64 v46, v[0:1] offset:128
.LBB76_51:                              ;   in Loop: Header=BB76_11 Depth=3
	s_wait_alu 0xfffe
	s_or_b32 exec_lo, exec_lo, s7
	s_and_b32 s5, s4, s5
	s_wait_alu 0xfffe
	s_xor_b32 s5, s5, -1
	s_wait_alu 0xfffe
	s_and_saveexec_b32 s7, s5
	s_wait_alu 0xfffe
	s_xor_b32 s5, exec_lo, s7
; %bb.52:                               ;   in Loop: Header=BB76_11 Depth=3
	v_dual_mov_b32 v0, v27 :: v_dual_mov_b32 v1, v27
	ds_store_b64 v46, v[0:1] offset:4096
; %bb.53:                               ;   in Loop: Header=BB76_11 Depth=3
	s_wait_alu 0xfffe
	s_or_saveexec_b32 s7, s5
	v_add_co_u32 v0, s5, v40, s24
	s_wait_alu 0xf1ff
	v_add_co_ci_u32_e64 v1, null, s25, v41, s5
	s_wait_alu 0xfffe
	s_xor_b32 exec_lo, exec_lo, s7
	s_cbranch_execz .LBB76_55
; %bb.54:                               ;   in Loop: Header=BB76_11 Depth=3
	global_load_b64 v[2:3], v[0:1], off offset:-128
	s_wait_loadcnt 0x0
	ds_store_b64 v46, v[2:3] offset:4096
.LBB76_55:                              ;   in Loop: Header=BB76_11 Depth=3
	s_or_b32 exec_lo, exec_lo, s7
	s_and_b32 s5, s4, s6
	s_wait_alu 0xfffe
	s_xor_b32 s5, s5, -1
	s_wait_alu 0xfffe
	s_and_saveexec_b32 s6, s5
	s_wait_alu 0xfffe
	s_xor_b32 s5, exec_lo, s6
; %bb.56:                               ;   in Loop: Header=BB76_11 Depth=3
	v_dual_mov_b32 v0, v27 :: v_dual_mov_b32 v1, v27
	ds_store_b64 v46, v[0:1] offset:4224
                                        ; implicit-def: $vgpr0_vgpr1
; %bb.57:                               ;   in Loop: Header=BB76_11 Depth=3
	s_wait_alu 0xfffe
	s_and_not1_saveexec_b32 s5, s5
	s_cbranch_execz .LBB76_10
; %bb.58:                               ;   in Loop: Header=BB76_11 Depth=3
	global_load_b64 v[0:1], v[0:1], off
	s_wait_loadcnt 0x0
	ds_store_b64 v46, v[0:1] offset:4224
	s_branch .LBB76_10
.LBB76_59:                              ;   in Loop: Header=BB76_8 Depth=2
	v_dual_mov_b32 v57, 0 :: v_dual_mov_b32 v58, 0
	v_dual_mov_b32 v55, 0 :: v_dual_mov_b32 v56, 0
	;; [unrolled: 1-line block ×4, first 2 shown]
.LBB76_60:                              ;   in Loop: Header=BB76_8 Depth=2
	v_mul_lo_u32 v2, s29, v50
	v_mul_lo_u32 v3, s28, v51
	v_mad_co_u64_u32 v[0:1], null, s28, v50, 0
	v_cmp_gt_i32_e32 vcc_lo, s10, v50
	s_delay_alu instid0(VALU_DEP_2) | instskip(NEXT) | instid1(VALU_DEP_1)
	v_add3_u32 v1, v1, v3, v2
	v_lshlrev_b64_e32 v[0:1], 3, v[0:1]
	s_delay_alu instid0(VALU_DEP_1) | instskip(SKIP_1) | instid1(VALU_DEP_2)
	v_add_co_u32 v0, s4, s22, v0
	s_wait_alu 0xf1ff
	v_add_co_ci_u32_e64 v1, null, s23, v1, s4
	s_and_b32 s4, s1, vcc_lo
	s_wait_alu 0xfffe
	s_and_saveexec_b32 s5, s4
	s_cbranch_execz .LBB76_62
; %bb.61:                               ;   in Loop: Header=BB76_8 Depth=2
	v_add_co_u32 v2, s4, v0, v14
	s_wait_alu 0xf1ff
	v_add_co_ci_u32_e64 v3, null, v1, v15, s4
	v_mul_f32_e32 v41, v58, v28
	global_load_b64 v[38:39], v[2:3], off
	v_fmac_f32_e32 v41, v57, v29
	s_wait_loadcnt 0x0
	s_delay_alu instid0(VALU_DEP_1) | instskip(NEXT) | instid1(VALU_DEP_1)
	v_dual_mul_f32 v40, v58, v29 :: v_dual_add_f32 v39, v41, v39
	v_fma_f32 v40, v57, v28, -v40
	s_delay_alu instid0(VALU_DEP_1)
	v_add_f32_e32 v38, v38, v40
	global_store_b64 v[2:3], v[38:39], off
.LBB76_62:                              ;   in Loop: Header=BB76_8 Depth=2
	s_wait_alu 0xfffe
	s_or_b32 exec_lo, exec_lo, s5
	s_and_b32 s5, s2, vcc_lo
	s_wait_alu 0xfffe
	s_and_saveexec_b32 s4, s5
	s_cbranch_execz .LBB76_64
; %bb.63:                               ;   in Loop: Header=BB76_8 Depth=2
	v_lshlrev_b64_e32 v[2:3], 3, v[8:9]
	s_delay_alu instid0(VALU_DEP_1) | instskip(SKIP_1) | instid1(VALU_DEP_2)
	v_add_co_u32 v0, vcc_lo, v0, v2
	s_wait_alu 0xfffd
	v_add_co_ci_u32_e64 v1, null, v1, v3, vcc_lo
	global_load_b64 v[2:3], v[0:1], off
	v_mul_f32_e32 v39, v56, v28
	s_delay_alu instid0(VALU_DEP_1) | instskip(SKIP_1) | instid1(VALU_DEP_1)
	v_fmac_f32_e32 v39, v55, v29
	s_wait_loadcnt 0x0
	v_dual_mul_f32 v38, v56, v29 :: v_dual_add_f32 v3, v39, v3
	s_delay_alu instid0(VALU_DEP_1) | instskip(NEXT) | instid1(VALU_DEP_1)
	v_fma_f32 v38, v55, v28, -v38
	v_add_f32_e32 v2, v2, v38
	global_store_b64 v[0:1], v[2:3], off
.LBB76_64:                              ;   in Loop: Header=BB76_8 Depth=2
	s_wait_alu 0xfffe
	s_or_b32 exec_lo, exec_lo, s4
	v_add_nc_u32_e32 v2, 16, v50
	s_delay_alu instid0(VALU_DEP_1) | instskip(SKIP_3) | instid1(VALU_DEP_4)
	v_ashrrev_i32_e32 v3, 31, v2
	v_mul_lo_u32 v38, s29, v2
	v_mad_co_u64_u32 v[0:1], null, s28, v2, 0
	v_cmp_gt_i32_e32 vcc_lo, s10, v2
	v_mul_lo_u32 v3, s28, v3
	s_delay_alu instid0(VALU_DEP_1) | instskip(NEXT) | instid1(VALU_DEP_1)
	v_add3_u32 v1, v1, v3, v38
	v_lshlrev_b64_e32 v[0:1], 3, v[0:1]
	s_delay_alu instid0(VALU_DEP_1) | instskip(SKIP_1) | instid1(VALU_DEP_2)
	v_add_co_u32 v0, s4, s22, v0
	s_wait_alu 0xf1ff
	v_add_co_ci_u32_e64 v1, null, s23, v1, s4
	s_and_b32 s4, s1, vcc_lo
	s_wait_alu 0xfffe
	s_and_saveexec_b32 s5, s4
	s_cbranch_execz .LBB76_66
; %bb.65:                               ;   in Loop: Header=BB76_8 Depth=2
	v_add_co_u32 v2, s4, v0, v14
	s_wait_alu 0xf1ff
	v_add_co_ci_u32_e64 v3, null, v1, v15, s4
	v_mul_f32_e32 v40, v53, v29
	v_mul_f32_e32 v41, v53, v28
	global_load_b64 v[38:39], v[2:3], off
	v_fma_f32 v40, v54, v28, -v40
	v_fmac_f32_e32 v41, v54, v29
	s_wait_loadcnt 0x0
	s_delay_alu instid0(VALU_DEP_1)
	v_dual_add_f32 v38, v38, v40 :: v_dual_add_f32 v39, v41, v39
	global_store_b64 v[2:3], v[38:39], off
.LBB76_66:                              ;   in Loop: Header=BB76_8 Depth=2
	s_wait_alu 0xfffe
	s_or_b32 exec_lo, exec_lo, s5
	s_and_b32 s5, s2, vcc_lo
	s_wait_alu 0xfffe
	s_and_saveexec_b32 s4, s5
	s_cbranch_execz .LBB76_7
; %bb.67:                               ;   in Loop: Header=BB76_8 Depth=2
	v_lshlrev_b64_e32 v[2:3], 3, v[8:9]
	v_mul_f32_e32 v38, v37, v29
	s_delay_alu instid0(VALU_DEP_1) | instskip(NEXT) | instid1(VALU_DEP_3)
	v_fma_f32 v38, v52, v28, -v38
	v_add_co_u32 v0, vcc_lo, v0, v2
	s_wait_alu 0xfffd
	s_delay_alu instid0(VALU_DEP_4) | instskip(SKIP_3) | instid1(VALU_DEP_1)
	v_add_co_ci_u32_e64 v1, null, v1, v3, vcc_lo
	global_load_b64 v[2:3], v[0:1], off
	s_wait_loadcnt 0x0
	v_dual_mul_f32 v37, v37, v28 :: v_dual_add_f32 v2, v2, v38
	v_fmac_f32_e32 v37, v52, v29
	s_delay_alu instid0(VALU_DEP_1)
	v_add_f32_e32 v3, v37, v3
	global_store_b64 v[0:1], v[2:3], off
	s_branch .LBB76_7
.LBB76_68:
	s_endpgm
	.section	.rodata,"a",@progbits
	.p2align	6, 0x0
	.amdhsa_kernel _ZL30rocblas_trmm_outofplace_kernelI19rocblas_complex_numIfELi32ELi2ELb1ELb0ELb1ELb0EPKS1_S2_S1_Ev17rocblas_diagonal_iiT6_lPT7_lllS7_lllPT8_llli
		.amdhsa_group_segment_fixed_size 16384
		.amdhsa_private_segment_fixed_size 0
		.amdhsa_kernarg_size 392
		.amdhsa_user_sgpr_count 2
		.amdhsa_user_sgpr_dispatch_ptr 0
		.amdhsa_user_sgpr_queue_ptr 0
		.amdhsa_user_sgpr_kernarg_segment_ptr 1
		.amdhsa_user_sgpr_dispatch_id 0
		.amdhsa_user_sgpr_private_segment_size 0
		.amdhsa_wavefront_size32 1
		.amdhsa_uses_dynamic_stack 0
		.amdhsa_enable_private_segment 0
		.amdhsa_system_sgpr_workgroup_id_x 1
		.amdhsa_system_sgpr_workgroup_id_y 1
		.amdhsa_system_sgpr_workgroup_id_z 1
		.amdhsa_system_sgpr_workgroup_info 0
		.amdhsa_system_vgpr_workitem_id 1
		.amdhsa_next_free_vgpr 93
		.amdhsa_next_free_sgpr 58
		.amdhsa_reserve_vcc 1
		.amdhsa_float_round_mode_32 0
		.amdhsa_float_round_mode_16_64 0
		.amdhsa_float_denorm_mode_32 3
		.amdhsa_float_denorm_mode_16_64 3
		.amdhsa_fp16_overflow 0
		.amdhsa_workgroup_processor_mode 1
		.amdhsa_memory_ordered 1
		.amdhsa_forward_progress 1
		.amdhsa_inst_pref_size 61
		.amdhsa_round_robin_scheduling 0
		.amdhsa_exception_fp_ieee_invalid_op 0
		.amdhsa_exception_fp_denorm_src 0
		.amdhsa_exception_fp_ieee_div_zero 0
		.amdhsa_exception_fp_ieee_overflow 0
		.amdhsa_exception_fp_ieee_underflow 0
		.amdhsa_exception_fp_ieee_inexact 0
		.amdhsa_exception_int_div_zero 0
	.end_amdhsa_kernel
	.section	.text._ZL30rocblas_trmm_outofplace_kernelI19rocblas_complex_numIfELi32ELi2ELb1ELb0ELb1ELb0EPKS1_S2_S1_Ev17rocblas_diagonal_iiT6_lPT7_lllS7_lllPT8_llli,"axG",@progbits,_ZL30rocblas_trmm_outofplace_kernelI19rocblas_complex_numIfELi32ELi2ELb1ELb0ELb1ELb0EPKS1_S2_S1_Ev17rocblas_diagonal_iiT6_lPT7_lllS7_lllPT8_llli,comdat
.Lfunc_end76:
	.size	_ZL30rocblas_trmm_outofplace_kernelI19rocblas_complex_numIfELi32ELi2ELb1ELb0ELb1ELb0EPKS1_S2_S1_Ev17rocblas_diagonal_iiT6_lPT7_lllS7_lllPT8_llli, .Lfunc_end76-_ZL30rocblas_trmm_outofplace_kernelI19rocblas_complex_numIfELi32ELi2ELb1ELb0ELb1ELb0EPKS1_S2_S1_Ev17rocblas_diagonal_iiT6_lPT7_lllS7_lllPT8_llli
                                        ; -- End function
	.set _ZL30rocblas_trmm_outofplace_kernelI19rocblas_complex_numIfELi32ELi2ELb1ELb0ELb1ELb0EPKS1_S2_S1_Ev17rocblas_diagonal_iiT6_lPT7_lllS7_lllPT8_llli.num_vgpr, 93
	.set _ZL30rocblas_trmm_outofplace_kernelI19rocblas_complex_numIfELi32ELi2ELb1ELb0ELb1ELb0EPKS1_S2_S1_Ev17rocblas_diagonal_iiT6_lPT7_lllS7_lllPT8_llli.num_agpr, 0
	.set _ZL30rocblas_trmm_outofplace_kernelI19rocblas_complex_numIfELi32ELi2ELb1ELb0ELb1ELb0EPKS1_S2_S1_Ev17rocblas_diagonal_iiT6_lPT7_lllS7_lllPT8_llli.numbered_sgpr, 58
	.set _ZL30rocblas_trmm_outofplace_kernelI19rocblas_complex_numIfELi32ELi2ELb1ELb0ELb1ELb0EPKS1_S2_S1_Ev17rocblas_diagonal_iiT6_lPT7_lllS7_lllPT8_llli.num_named_barrier, 0
	.set _ZL30rocblas_trmm_outofplace_kernelI19rocblas_complex_numIfELi32ELi2ELb1ELb0ELb1ELb0EPKS1_S2_S1_Ev17rocblas_diagonal_iiT6_lPT7_lllS7_lllPT8_llli.private_seg_size, 0
	.set _ZL30rocblas_trmm_outofplace_kernelI19rocblas_complex_numIfELi32ELi2ELb1ELb0ELb1ELb0EPKS1_S2_S1_Ev17rocblas_diagonal_iiT6_lPT7_lllS7_lllPT8_llli.uses_vcc, 1
	.set _ZL30rocblas_trmm_outofplace_kernelI19rocblas_complex_numIfELi32ELi2ELb1ELb0ELb1ELb0EPKS1_S2_S1_Ev17rocblas_diagonal_iiT6_lPT7_lllS7_lllPT8_llli.uses_flat_scratch, 0
	.set _ZL30rocblas_trmm_outofplace_kernelI19rocblas_complex_numIfELi32ELi2ELb1ELb0ELb1ELb0EPKS1_S2_S1_Ev17rocblas_diagonal_iiT6_lPT7_lllS7_lllPT8_llli.has_dyn_sized_stack, 0
	.set _ZL30rocblas_trmm_outofplace_kernelI19rocblas_complex_numIfELi32ELi2ELb1ELb0ELb1ELb0EPKS1_S2_S1_Ev17rocblas_diagonal_iiT6_lPT7_lllS7_lllPT8_llli.has_recursion, 0
	.set _ZL30rocblas_trmm_outofplace_kernelI19rocblas_complex_numIfELi32ELi2ELb1ELb0ELb1ELb0EPKS1_S2_S1_Ev17rocblas_diagonal_iiT6_lPT7_lllS7_lllPT8_llli.has_indirect_call, 0
	.section	.AMDGPU.csdata,"",@progbits
; Kernel info:
; codeLenInByte = 7744
; TotalNumSgprs: 60
; NumVgprs: 93
; ScratchSize: 0
; MemoryBound: 1
; FloatMode: 240
; IeeeMode: 1
; LDSByteSize: 16384 bytes/workgroup (compile time only)
; SGPRBlocks: 0
; VGPRBlocks: 11
; NumSGPRsForWavesPerEU: 60
; NumVGPRsForWavesPerEU: 93
; Occupancy: 16
; WaveLimiterHint : 0
; COMPUTE_PGM_RSRC2:SCRATCH_EN: 0
; COMPUTE_PGM_RSRC2:USER_SGPR: 2
; COMPUTE_PGM_RSRC2:TRAP_HANDLER: 0
; COMPUTE_PGM_RSRC2:TGID_X_EN: 1
; COMPUTE_PGM_RSRC2:TGID_Y_EN: 1
; COMPUTE_PGM_RSRC2:TGID_Z_EN: 1
; COMPUTE_PGM_RSRC2:TIDIG_COMP_CNT: 1
	.section	.text._ZL30rocblas_trmm_outofplace_kernelI19rocblas_complex_numIfELi32ELi2ELb1ELb0ELb1ELb0ES1_KS1_S1_Ev17rocblas_diagonal_iiT6_lPT7_lllS6_lllPT8_llli,"axG",@progbits,_ZL30rocblas_trmm_outofplace_kernelI19rocblas_complex_numIfELi32ELi2ELb1ELb0ELb1ELb0ES1_KS1_S1_Ev17rocblas_diagonal_iiT6_lPT7_lllS6_lllPT8_llli,comdat
	.globl	_ZL30rocblas_trmm_outofplace_kernelI19rocblas_complex_numIfELi32ELi2ELb1ELb0ELb1ELb0ES1_KS1_S1_Ev17rocblas_diagonal_iiT6_lPT7_lllS6_lllPT8_llli ; -- Begin function _ZL30rocblas_trmm_outofplace_kernelI19rocblas_complex_numIfELi32ELi2ELb1ELb0ELb1ELb0ES1_KS1_S1_Ev17rocblas_diagonal_iiT6_lPT7_lllS6_lllPT8_llli
	.p2align	8
	.type	_ZL30rocblas_trmm_outofplace_kernelI19rocblas_complex_numIfELi32ELi2ELb1ELb0ELb1ELb0ES1_KS1_S1_Ev17rocblas_diagonal_iiT6_lPT7_lllS6_lllPT8_llli,@function
_ZL30rocblas_trmm_outofplace_kernelI19rocblas_complex_numIfELi32ELi2ELb1ELb0ELb1ELb0ES1_KS1_S1_Ev17rocblas_diagonal_iiT6_lPT7_lllS6_lllPT8_llli: ; @_ZL30rocblas_trmm_outofplace_kernelI19rocblas_complex_numIfELi32ELi2ELb1ELb0ELb1ELb0ES1_KS1_S1_Ev17rocblas_diagonal_iiT6_lPT7_lllS6_lllPT8_llli
; %bb.0:
	s_load_b32 s31, s[0:1], 0x80
	s_lshr_b32 s34, ttmp7, 16
	s_wait_kmcnt 0x0
	s_cmp_ge_u32 s34, s31
	s_cbranch_scc1 .LBB77_67
; %bb.1:
	s_load_b64 s[36:37], s[0:1], 0xc
	s_mov_b32 s35, 0
	s_wait_kmcnt 0x0
	s_or_b32 s2, s36, s37
	s_delay_alu instid0(SALU_CYCLE_1) | instskip(NEXT) | instid1(SALU_CYCLE_1)
	s_bitset0_b32 s2, 31
	s_cmp_eq_u32 s2, 0
	s_cbranch_scc1 .LBB77_67
; %bb.2:
	s_load_b96 s[28:30], s[0:1], 0x0
	s_and_b32 s33, ttmp7, 0xffff
	v_bfe_u32 v40, v0, 10, 10
	v_dual_mov_b32 v27, 0 :: v_dual_and_b32 v0, 0x3ff, v0
	s_load_b512 s[4:19], s[0:1], 0x20
	s_add_nc_u64 s[38:39], s[0:1], 0x88
	s_load_b256 s[20:27], s[0:1], 0x60
	v_dual_mov_b32 v26, 1.0 :: v_dual_lshlrev_b32 v1, 8, v40
	v_lshlrev_b32_e32 v41, 3, v0
	v_lshl_add_u32 v45, s33, 5, v40
	s_delay_alu instid0(VALU_DEP_3) | instskip(NEXT) | instid1(VALU_DEP_3)
	v_add_nc_u32_e32 v42, 0x2000, v1
	v_add_nc_u32_e32 v43, v41, v1
	;; [unrolled: 1-line block ×4, first 2 shown]
	s_delay_alu instid0(VALU_DEP_4)
	v_add_nc_u32_e32 v44, v42, v41
	v_add_nc_u32_e32 v48, 0x1800, v41
	s_wait_kmcnt 0x0
	s_add_co_i32 s2, s30, -1
	s_mov_b32 s40, s29
	s_ashr_i32 s3, s2, 31
	s_mov_b32 s47, s30
	s_lshr_b32 s3, s3, 27
	s_delay_alu instid0(SALU_CYCLE_1) | instskip(NEXT) | instid1(SALU_CYCLE_1)
	s_add_co_i32 s2, s2, s3
	s_ashr_i32 s44, s2, 5
	s_delay_alu instid0(SALU_CYCLE_1) | instskip(SKIP_2) | instid1(SALU_CYCLE_1)
	s_cmp_le_i32 s33, s44
	s_cselect_b32 s45, -1, 0
	s_lshl_b32 s0, ttmp9, 5
	v_add_nc_u32_e32 v6, s0, v0
	v_add_nc_u32_e32 v4, s0, v40
	s_sub_co_i32 s46, s29, s0
	s_delay_alu instid0(SALU_CYCLE_1) | instskip(NEXT) | instid1(VALU_DEP_2)
	s_cmp_gt_i32 s46, 0
	v_ashrrev_i32_e32 v7, 31, v6
	s_delay_alu instid0(VALU_DEP_2) | instskip(SKIP_2) | instid1(VALU_DEP_4)
	v_ashrrev_i32_e32 v5, 31, v4
	v_add_co_u32 v10, vcc_lo, v6, 16
	v_mul_lo_u32 v21, s9, v6
	v_add_co_ci_u32_e64 v11, null, 0, v7, vcc_lo
	v_sub_co_u32 v12, vcc_lo, v6, v4
	v_lshlrev_b64_e32 v[14:15], 3, v[6:7]
	s_wait_alu 0xfffd
	v_sub_co_ci_u32_e64 v13, null, v7, v5, vcc_lo
	s_delay_alu instid0(VALU_DEP_3)
	v_add_co_u32 v16, vcc_lo, v12, 16
	v_mul_lo_u32 v20, s8, v7
	v_mad_co_u64_u32 v[0:1], null, s8, v6, 0
	s_wait_alu 0xfffd
	v_add_co_ci_u32_e64 v17, null, 0, v13, vcc_lo
	v_add_co_u32 v2, vcc_lo, 0x80, v14
	s_wait_alu 0xfffd
	v_add_co_ci_u32_e64 v3, null, 0, v15, vcc_lo
	s_cselect_b32 s48, -1, 0
	s_cmp_eq_u32 s28, 0x84
	v_mul_lo_u32 v23, s9, v2
	s_cselect_b32 s49, -1, 0
	s_lshl_b64 s[6:7], s[6:7], 3
	s_lshl_b64 s[14:15], s[14:15], 3
	v_mul_lo_u32 v22, s8, v3
	v_mad_co_u64_u32 v[2:3], null, s8, v2, s[6:7]
	v_add3_u32 v1, v1, v20, v21
	v_add_co_u32 v18, vcc_lo, v12, -16
	s_add_nc_u64 s[12:13], s[12:13], s[14:15]
	s_wait_alu 0xfffd
	v_add_co_ci_u32_e64 v19, null, -1, v13, vcc_lo
	v_add_co_u32 v20, vcc_lo, s12, v14
	v_lshlrev_b64_e32 v[0:1], 3, v[0:1]
	s_wait_alu 0xfffd
	v_add_co_ci_u32_e64 v21, null, s13, v15, vcc_lo
	v_add3_u32 v3, v23, v3, v22
	v_lshlrev_b64_e32 v[22:23], 3, v[4:5]
	v_add_co_u32 v20, vcc_lo, 0x80, v20
	s_wait_alu 0xfffd
	v_add_co_ci_u32_e64 v21, null, 0, v21, vcc_lo
	v_add_co_u32 v0, vcc_lo, v0, s6
	s_wait_alu 0xfffd
	v_add_co_ci_u32_e64 v1, null, s7, v1, vcc_lo
	v_add_co_u32 v2, vcc_lo, v2, v22
	s_wait_alu 0xfffd
	v_add_co_ci_u32_e64 v3, null, v3, v23, vcc_lo
	v_add_co_u32 v0, vcc_lo, v0, v22
	v_add_nc_u32_e32 v8, 16, v6
	s_wait_alu 0xfffd
	v_add_co_ci_u32_e64 v1, null, v1, v23, vcc_lo
	v_add_co_u32 v22, vcc_lo, s4, v2
	s_ashr_i32 s41, s29, 31
	s_lshl_b64 s[2:3], s[22:23], 3
	s_wait_alu 0xfffd
	v_add_co_ci_u32_e64 v23, null, s5, v3, vcc_lo
	v_add_co_u32 v24, vcc_lo, s4, v0
	s_add_nc_u64 s[20:21], s[20:21], s[2:3]
	v_cmp_le_i64_e64 s3, s[40:41], v[10:11]
	v_cmp_le_i32_e64 s0, s29, v6
	v_cmp_gt_i32_e64 s1, s29, v6
	v_cmp_gt_i32_e64 s2, s29, v8
	v_ashrrev_i32_e32 v9, 31, v8
	s_wait_alu 0xfffd
	v_add_co_ci_u32_e64 v25, null, s5, v1, vcc_lo
	s_ashr_i32 s50, s30, 31
	s_add_nc_u64 s[22:23], s[40:41], -16
	s_lshl_b64 s[12:13], s[18:19], 3
	s_lshl_b64 s[14:15], s[16:17], 3
	;; [unrolled: 1-line block ×3, first 2 shown]
	s_branch .LBB77_4
.LBB77_3:                               ;   in Loop: Header=BB77_4 Depth=1
	s_add_co_i32 s34, s34, 0x10000
	s_wait_alu 0xfffe
	s_cmp_ge_u32 s34, s31
	s_cbranch_scc1 .LBB77_67
.LBB77_4:                               ; =>This Loop Header: Depth=1
                                        ;     Child Loop BB77_7 Depth 2
                                        ;       Child Loop BB77_10 Depth 3
	s_and_not1_b32 vcc_lo, exec_lo, s45
	s_wait_alu 0xfffe
	s_cbranch_vccnz .LBB77_3
; %bb.5:                                ;   in Loop: Header=BB77_4 Depth=1
	v_mad_co_u64_u32 v[28:29], null, s12, s34, v[20:21]
	s_load_b32 s9, s[38:39], 0x4
	v_mad_co_u64_u32 v[30:31], null, s10, s34, v[22:23]
	s_mul_i32 s6, s11, s34
	v_mad_co_u64_u32 v[32:33], null, s10, s34, v[24:25]
	v_mov_b32_e32 v0, v29
	s_mul_u64 s[4:5], s[26:27], s[34:35]
	s_wait_alu 0xfffe
	v_dual_mov_b32 v34, v45 :: v_dual_add_nc_u32 v31, s6, v31
	s_lshl_b64 s[4:5], s[4:5], 3
	v_mad_co_u64_u32 v[0:1], null, s13, s34, v[0:1]
	s_delay_alu instid0(VALU_DEP_4) | instskip(SKIP_3) | instid1(VALU_DEP_2)
	v_add_nc_u32_e32 v33, s6, v33
	s_wait_alu 0xfffe
	s_add_nc_u64 s[18:19], s[20:21], s[4:5]
	s_mov_b32 s52, s33
	v_mov_b32_e32 v29, v0
	s_wait_kmcnt 0x0
	s_lshl_b32 s51, s9, 5
	s_branch .LBB77_7
.LBB77_6:                               ;   in Loop: Header=BB77_7 Depth=2
	s_wait_alu 0xfffe
	s_or_b32 exec_lo, exec_lo, s4
	v_add_nc_u32_e32 v34, s51, v34
	s_add_co_i32 s52, s9, s52
	s_wait_alu 0xfffe
	s_cmp_gt_i32 s52, s44
	s_cbranch_scc1 .LBB77_3
.LBB77_7:                               ;   Parent Loop BB77_4 Depth=1
                                        ; =>  This Loop Header: Depth=2
                                        ;       Child Loop BB77_10 Depth 3
	s_wait_alu 0xfffe
	v_lshl_add_u32 v49, s52, 5, v40
	s_and_not1_b32 vcc_lo, exec_lo, s48
	s_delay_alu instid0(VALU_DEP_1)
	v_ashrrev_i32_e32 v50, 31, v49
	s_wait_alu 0xfffe
	s_cbranch_vccnz .LBB77_58
; %bb.8:                                ;   in Loop: Header=BB77_7 Depth=2
	v_ashrrev_i32_e32 v35, 31, v34
	v_mad_co_u64_u32 v[36:37], null, s14, v34, v[28:29]
	v_mul_lo_u32 v2, s15, v34
	v_mov_b32_e32 v51, 0
	s_delay_alu instid0(VALU_DEP_4) | instskip(SKIP_4) | instid1(VALU_DEP_4)
	v_lshlrev_b64_e32 v[0:1], 3, v[34:35]
	v_mul_lo_u32 v53, s14, v35
	v_dual_mov_b32 v35, 0 :: v_dual_mov_b32 v52, 0
	v_mov_b32_e32 v57, 0
	s_mov_b64 s[28:29], 0
	v_add_co_u32 v3, vcc_lo, 0x80, v0
	s_wait_alu 0xfffd
	v_add_co_ci_u32_e64 v38, null, 0, v1, vcc_lo
	v_sub_co_u32 v0, vcc_lo, s47, v49
	s_delay_alu instid0(VALU_DEP_3) | instskip(NEXT) | instid1(VALU_DEP_3)
	v_mul_lo_u32 v55, s17, v3
	v_mul_lo_u32 v54, s16, v38
	v_mad_co_u64_u32 v[38:39], null, s16, v3, v[28:29]
	s_wait_alu 0xfffd
	v_sub_co_ci_u32_e64 v1, null, s50, v50, vcc_lo
	v_add3_u32 v37, v2, v37, v53
	v_dual_mov_b32 v53, 0 :: v_dual_mov_b32 v56, 0
	s_delay_alu instid0(VALU_DEP_3)
	v_cmp_lt_i64_e64 s4, 16, v[0:1]
	v_add3_u32 v39, v55, v39, v54
	v_dual_mov_b32 v55, 0 :: v_dual_mov_b32 v54, 0
	s_mov_b64 s[42:43], 0
	v_cmp_lt_i64_e32 vcc_lo, 0, v[0:1]
	s_branch .LBB77_10
.LBB77_9:                               ;   in Loop: Header=BB77_10 Depth=3
	s_wait_alu 0xfffe
	s_or_b32 exec_lo, exec_lo, s5
	s_wait_dscnt 0x0
	s_barrier_signal -1
	s_barrier_wait -1
	global_inv scope:SCOPE_SE
	ds_load_b128 v[58:61], v42
	ds_load_2addr_b64 v[62:65], v41 offset1:16
	ds_load_b128 v[66:69], v42 offset:4096
	ds_load_b128 v[70:73], v42 offset:16
	;; [unrolled: 1-line block ×4, first 2 shown]
	ds_load_2addr_b64 v[78:81], v41 offset0:32 offset1:48
	ds_load_b128 v[82:85], v42 offset:4112
	s_add_nc_u64 s[42:43], s[42:43], 32
	s_add_nc_u64 s[28:29], s[28:29], 0x100
	s_wait_alu 0xfffe
	s_cmp_ge_i32 s42, s46
	s_wait_dscnt 0x6
	v_dual_mul_f32 v86, v59, v63 :: v_dual_mul_f32 v89, v58, v65
	v_dual_mul_f32 v87, v58, v63 :: v_dual_mul_f32 v88, v59, v65
	s_wait_dscnt 0x5
	v_mul_f32_e32 v90, v67, v63
	s_delay_alu instid0(VALU_DEP_3)
	v_fma_f32 v86, v58, v62, -v86
	v_mul_f32_e32 v63, v66, v63
	v_fmac_f32_e32 v87, v59, v62
	v_fma_f32 v58, v58, v64, -v88
	v_mul_f32_e32 v91, v67, v65
	v_mul_f32_e32 v65, v66, v65
	v_fmac_f32_e32 v89, v59, v64
	v_fma_f32 v59, v66, v62, -v90
	v_add_f32_e32 v56, v56, v86
	v_fmac_f32_e32 v63, v67, v62
	v_add_f32_e32 v58, v54, v58
	v_fma_f32 v62, v66, v64, -v91
	s_wait_dscnt 0x1
	v_dual_mul_f32 v66, v61, v79 :: v_dual_fmac_f32 v65, v67, v64
	v_dual_mul_f32 v64, v60, v79 :: v_dual_mul_f32 v67, v61, v81
	s_delay_alu instid0(VALU_DEP_3) | instskip(NEXT) | instid1(VALU_DEP_3)
	v_dual_add_f32 v57, v57, v87 :: v_dual_add_f32 v62, v51, v62
	v_fma_f32 v66, v60, v78, -v66
	s_delay_alu instid0(VALU_DEP_3)
	v_dual_add_f32 v55, v55, v89 :: v_dual_fmac_f32 v64, v61, v78
	v_add_f32_e32 v59, v53, v59
	v_add_f32_e32 v35, v35, v65
	v_mul_f32_e32 v65, v60, v81
	v_add_f32_e32 v66, v56, v66
	v_fma_f32 v56, v60, v80, -v67
	v_mul_f32_e32 v60, v69, v79
	v_dual_add_f32 v63, v52, v63 :: v_dual_add_f32 v64, v57, v64
	ds_load_2addr_b64 v[51:54], v41 offset0:64 offset1:80
	s_wait_dscnt 0x0
	v_mul_f32_e32 v67, v70, v52
	s_delay_alu instid0(VALU_DEP_1)
	v_fmac_f32_e32 v67, v71, v51
	v_fmac_f32_e32 v65, v61, v80
	v_add_f32_e32 v61, v58, v56
	v_fma_f32 v56, v68, v78, -v60
	v_mul_f32_e32 v58, v69, v81
	v_add_f32_e32 v64, v64, v67
	v_dual_mul_f32 v57, v68, v79 :: v_dual_add_f32 v60, v55, v65
	s_delay_alu instid0(VALU_DEP_4) | instskip(NEXT) | instid1(VALU_DEP_4)
	v_add_f32_e32 v59, v59, v56
	v_fma_f32 v55, v68, v80, -v58
	s_delay_alu instid0(VALU_DEP_3) | instskip(SKIP_1) | instid1(VALU_DEP_3)
	v_dual_mul_f32 v56, v71, v52 :: v_dual_fmac_f32 v57, v69, v78
	v_mul_f32_e32 v65, v68, v81
	v_dual_mul_f32 v67, v83, v52 :: v_dual_add_f32 v62, v62, v55
	s_delay_alu instid0(VALU_DEP_3) | instskip(NEXT) | instid1(VALU_DEP_4)
	v_fma_f32 v68, v70, v51, -v56
	v_dual_mul_f32 v52, v82, v52 :: v_dual_add_f32 v63, v63, v57
	ds_load_2addr_b64 v[55:58], v41 offset0:96 offset1:112
	v_fmac_f32_e32 v65, v69, v80
	v_fma_f32 v67, v82, v51, -v67
	v_fmac_f32_e32 v52, v83, v51
	v_mul_f32_e32 v69, v71, v54
	s_delay_alu instid0(VALU_DEP_4) | instskip(SKIP_2) | instid1(VALU_DEP_4)
	v_add_f32_e32 v35, v35, v65
	v_add_f32_e32 v65, v66, v68
	v_mul_f32_e32 v66, v70, v54
	v_fma_f32 v68, v70, v53, -v69
	s_delay_alu instid0(VALU_DEP_2) | instskip(NEXT) | instid1(VALU_DEP_1)
	v_dual_mul_f32 v69, v82, v54 :: v_dual_fmac_f32 v66, v71, v53
	v_add_f32_e32 v60, v60, v66
	s_wait_dscnt 0x0
	v_dual_add_f32 v66, v59, v67 :: v_dual_mul_f32 v59, v73, v56
	s_delay_alu instid0(VALU_DEP_1) | instskip(NEXT) | instid1(VALU_DEP_1)
	v_fma_f32 v59, v72, v55, -v59
	v_add_f32_e32 v65, v65, v59
	v_mul_f32_e32 v59, v85, v56
	s_delay_alu instid0(VALU_DEP_1) | instskip(SKIP_1) | instid1(VALU_DEP_2)
	v_fma_f32 v70, v84, v55, -v59
	v_dual_add_f32 v61, v61, v68 :: v_dual_mul_f32 v68, v83, v54
	v_add_f32_e32 v70, v66, v70
	v_mul_f32_e32 v66, v84, v58
	s_delay_alu instid0(VALU_DEP_3) | instskip(SKIP_1) | instid1(VALU_DEP_2)
	v_fma_f32 v51, v82, v53, -v68
	v_mul_f32_e32 v68, v73, v58
	v_dual_fmac_f32 v66, v85, v57 :: v_dual_add_f32 v67, v62, v51
	v_mul_f32_e32 v62, v72, v56
	v_add_f32_e32 v63, v63, v52
	v_dual_mul_f32 v56, v84, v56 :: v_dual_fmac_f32 v69, v83, v53
	ds_load_2addr_b64 v[51:54], v41 offset0:128 offset1:144
	v_fma_f32 v68, v72, v57, -v68
	v_mul_f32_e32 v71, v85, v58
	v_fmac_f32_e32 v62, v73, v55
	v_fmac_f32_e32 v56, v85, v55
	s_delay_alu instid0(VALU_DEP_4) | instskip(SKIP_2) | instid1(VALU_DEP_4)
	v_dual_add_f32 v68, v61, v68 :: v_dual_add_f32 v35, v35, v69
	v_mul_f32_e32 v69, v72, v58
	v_fma_f32 v55, v84, v57, -v71
	v_dual_add_f32 v64, v64, v62 :: v_dual_add_f32 v71, v63, v56
	s_wait_dscnt 0x0
	s_delay_alu instid0(VALU_DEP_3) | instskip(NEXT) | instid1(VALU_DEP_3)
	v_dual_fmac_f32 v69, v73, v57 :: v_dual_mul_f32 v58, v75, v52
	v_add_f32_e32 v67, v67, v55
	v_mul_f32_e32 v63, v74, v52
	v_mul_f32_e32 v78, v74, v54
	s_delay_alu instid0(VALU_DEP_4)
	v_fma_f32 v72, v74, v51, -v58
	ds_load_2addr_b64 v[55:58], v41 offset0:160 offset1:176
	v_add_f32_e32 v69, v60, v69
	ds_load_b128 v[59:62], v42 offset:4128
	v_mul_f32_e32 v73, v75, v54
	v_fmac_f32_e32 v63, v75, v51
	v_fmac_f32_e32 v78, v75, v53
	v_add_f32_e32 v72, v65, v72
	s_delay_alu instid0(VALU_DEP_4) | instskip(NEXT) | instid1(VALU_DEP_4)
	v_fma_f32 v73, v74, v53, -v73
	v_add_f32_e32 v79, v64, v63
	s_delay_alu instid0(VALU_DEP_2)
	v_dual_add_f32 v68, v68, v73 :: v_dual_add_f32 v35, v35, v66
	ds_load_b128 v[63:66], v42 offset:4144
	s_wait_dscnt 0x1
	v_mul_f32_e32 v74, v60, v52
	v_dual_mul_f32 v52, v59, v52 :: v_dual_mul_f32 v73, v60, v54
	v_dual_mul_f32 v75, v59, v54 :: v_dual_mul_f32 v54, v77, v56
	s_delay_alu instid0(VALU_DEP_3) | instskip(NEXT) | instid1(VALU_DEP_3)
	v_fma_f32 v74, v59, v51, -v74
	v_fmac_f32_e32 v52, v60, v51
	s_delay_alu instid0(VALU_DEP_4) | instskip(NEXT) | instid1(VALU_DEP_4)
	v_fma_f32 v51, v59, v53, -v73
	v_fmac_f32_e32 v75, v60, v53
	s_delay_alu instid0(VALU_DEP_3)
	v_dual_add_f32 v59, v70, v74 :: v_dual_add_f32 v70, v71, v52
	v_fma_f32 v71, v76, v55, -v54
	v_mul_f32_e32 v74, v62, v56
	v_add_f32_e32 v60, v67, v51
	ds_load_2addr_b64 v[51:54], v41 offset0:192 offset1:208
	v_mul_f32_e32 v67, v76, v56
	v_mul_f32_e32 v73, v77, v58
	v_add_f32_e32 v71, v72, v71
	v_mul_f32_e32 v72, v76, v58
	v_mul_f32_e32 v56, v61, v56
	v_fmac_f32_e32 v67, v77, v55
	v_fma_f32 v73, v76, v57, -v73
	s_delay_alu instid0(VALU_DEP_4) | instskip(NEXT) | instid1(VALU_DEP_4)
	v_fmac_f32_e32 v72, v77, v57
	v_dual_fmac_f32 v56, v62, v55 :: v_dual_add_f32 v69, v69, v78
	s_delay_alu instid0(VALU_DEP_3) | instskip(SKIP_2) | instid1(VALU_DEP_4)
	v_add_f32_e32 v68, v68, v73
	v_fma_f32 v73, v61, v55, -v74
	v_mul_f32_e32 v55, v62, v58
	v_add_f32_e32 v70, v70, v56
	v_add_f32_e32 v69, v69, v72
	v_dual_mul_f32 v72, v61, v58 :: v_dual_add_f32 v35, v35, v75
	s_delay_alu instid0(VALU_DEP_4) | instskip(SKIP_2) | instid1(VALU_DEP_3)
	v_fma_f32 v61, v61, v57, -v55
	s_wait_dscnt 0x0
	v_mul_f32_e32 v74, v0, v54
	v_fmac_f32_e32 v72, v62, v57
	ds_load_2addr_b64 v[55:58], v41 offset0:224 offset1:240
	v_mul_f32_e32 v62, v0, v52
	v_fmac_f32_e32 v74, v1, v53
	v_add_f32_e32 v59, v59, v73
	v_dual_mul_f32 v73, v1, v52 :: v_dual_add_f32 v60, v60, v61
	s_delay_alu instid0(VALU_DEP_4) | instskip(NEXT) | instid1(VALU_DEP_2)
	v_fmac_f32_e32 v62, v1, v51
	v_fma_f32 v61, v0, v51, -v73
	v_mul_f32_e32 v73, v1, v54
	v_mul_f32_e32 v1, v64, v52
	;; [unrolled: 1-line block ×3, first 2 shown]
	s_delay_alu instid0(VALU_DEP_3) | instskip(SKIP_1) | instid1(VALU_DEP_4)
	v_fma_f32 v0, v0, v53, -v73
	v_add_f32_e32 v67, v79, v67
	v_fma_f32 v1, v63, v51, -v1
	s_delay_alu instid0(VALU_DEP_4) | instskip(NEXT) | instid1(VALU_DEP_4)
	v_dual_fmac_f32 v52, v64, v51 :: v_dual_add_f32 v71, v71, v61
	v_add_f32_e32 v0, v68, v0
	v_mul_f32_e32 v61, v64, v54
	v_add_f32_e32 v68, v69, v74
	v_mul_f32_e32 v69, v63, v54
	s_wait_dscnt 0x0
	v_mul_f32_e32 v54, v3, v56
	v_mul_f32_e32 v73, v3, v58
	v_fma_f32 v51, v63, v53, -v61
	v_add_f32_e32 v63, v59, v1
	v_add_f32_e32 v67, v67, v62
	v_fma_f32 v1, v2, v55, -v54
	v_fmac_f32_e32 v69, v64, v53
	s_delay_alu instid0(VALU_DEP_2)
	v_dual_add_f32 v64, v60, v51 :: v_dual_add_f32 v71, v71, v1
	v_fma_f32 v1, v2, v57, -v73
	v_add_f32_e32 v35, v35, v72
	v_add_f32_e32 v72, v70, v52
	ds_load_b128 v[51:54], v42 offset:64
	ds_load_2addr_b64 v[59:62], v46 offset1:16
	v_mul_f32_e32 v70, v2, v56
	v_add_f32_e32 v74, v0, v1
	v_add_f32_e32 v35, v35, v69
	s_delay_alu instid0(VALU_DEP_3) | instskip(NEXT) | instid1(VALU_DEP_1)
	v_fmac_f32_e32 v70, v3, v55
	v_add_f32_e32 v73, v67, v70
	v_mul_f32_e32 v70, v66, v58
	s_wait_dscnt 0x0
	v_mul_f32_e32 v78, v51, v62
	v_mul_f32_e32 v69, v2, v58
	;; [unrolled: 1-line block ×4, first 2 shown]
	s_delay_alu instid0(VALU_DEP_4) | instskip(NEXT) | instid1(VALU_DEP_4)
	v_fmac_f32_e32 v78, v52, v61
	v_fmac_f32_e32 v69, v3, v57
	s_delay_alu instid0(VALU_DEP_4)
	v_fma_f32 v67, v65, v55, -v2
	ds_load_b128 v[0:3], v42 offset:4160
	v_fmac_f32_e32 v56, v66, v55
	v_fma_f32 v55, v65, v57, -v70
	v_dual_add_f32 v75, v68, v69 :: v_dual_add_f32 v76, v63, v67
	ds_load_b128 v[67:70], v42 offset:80
	v_dual_add_f32 v72, v72, v56 :: v_dual_mul_f32 v63, v65, v58
	v_mul_f32_e32 v65, v51, v60
	s_delay_alu instid0(VALU_DEP_2) | instskip(NEXT) | instid1(VALU_DEP_2)
	v_dual_mul_f32 v58, v52, v60 :: v_dual_fmac_f32 v63, v66, v57
	v_fmac_f32_e32 v65, v52, v59
	v_mul_f32_e32 v66, v52, v62
	s_wait_dscnt 0x1
	v_mul_f32_e32 v52, v0, v60
	s_delay_alu instid0(VALU_DEP_1)
	v_dual_fmac_f32 v52, v1, v59 :: v_dual_add_f32 v75, v75, v78
	v_mul_f32_e32 v78, v0, v62
	v_add_f32_e32 v77, v64, v55
	v_fma_f32 v64, v51, v59, -v58
	ds_load_2addr_b64 v[55:58], v46 offset0:32 offset1:48
	v_fma_f32 v51, v51, v61, -v66
	v_mul_f32_e32 v79, v1, v60
	v_dual_mul_f32 v60, v1, v62 :: v_dual_add_f32 v71, v71, v64
	s_delay_alu instid0(VALU_DEP_3) | instskip(NEXT) | instid1(VALU_DEP_3)
	v_dual_fmac_f32 v78, v1, v61 :: v_dual_add_f32 v51, v74, v51
	v_fma_f32 v74, v0, v59, -v79
	s_delay_alu instid0(VALU_DEP_3) | instskip(SKIP_1) | instid1(VALU_DEP_3)
	v_fma_f32 v0, v0, v61, -v60
	v_add_f32_e32 v52, v72, v52
	v_dual_add_f32 v74, v76, v74 :: v_dual_add_f32 v35, v35, v63
	s_delay_alu instid0(VALU_DEP_3)
	v_add_f32_e32 v72, v77, v0
	v_add_f32_e32 v73, v73, v65
	ds_load_b128 v[63:66], v42 offset:4176
	s_wait_dscnt 0x1
	v_mul_f32_e32 v59, v54, v56
	v_mul_f32_e32 v76, v54, v58
	;; [unrolled: 1-line block ×3, first 2 shown]
	s_delay_alu instid0(VALU_DEP_3)
	v_fma_f32 v1, v53, v55, -v59
	ds_load_2addr_b64 v[59:62], v46 offset0:64 offset1:80
	v_dual_fmac_f32 v0, v54, v55 :: v_dual_add_f32 v71, v71, v1
	v_mul_f32_e32 v1, v53, v58
	v_fma_f32 v53, v53, v57, -v76
	v_mul_f32_e32 v76, v3, v56
	s_delay_alu instid0(VALU_DEP_2) | instskip(SKIP_1) | instid1(VALU_DEP_2)
	v_dual_mul_f32 v56, v2, v56 :: v_dual_add_f32 v51, v51, v53
	v_mul_f32_e32 v53, v3, v58
	v_fmac_f32_e32 v56, v3, v55
	s_delay_alu instid0(VALU_DEP_2) | instskip(NEXT) | instid1(VALU_DEP_2)
	v_fma_f32 v53, v2, v57, -v53
	v_add_f32_e32 v52, v52, v56
	s_wait_dscnt 0x0
	v_dual_mul_f32 v56, v68, v60 :: v_dual_fmac_f32 v1, v54, v57
	s_delay_alu instid0(VALU_DEP_3)
	v_add_f32_e32 v53, v72, v53
	v_dual_mul_f32 v72, v68, v62 :: v_dual_add_f32 v73, v73, v0
	v_fma_f32 v0, v2, v55, -v76
	v_add_f32_e32 v35, v35, v78
	v_dual_mul_f32 v55, v2, v58 :: v_dual_add_f32 v54, v75, v1
	v_fma_f32 v56, v67, v59, -v56
	s_delay_alu instid0(VALU_DEP_4) | instskip(SKIP_1) | instid1(VALU_DEP_3)
	v_add_f32_e32 v58, v74, v0
	v_mul_f32_e32 v74, v67, v62
	v_add_f32_e32 v71, v71, v56
	v_mul_f32_e32 v56, v64, v60
	s_delay_alu instid0(VALU_DEP_3)
	v_fmac_f32_e32 v74, v68, v61
	v_fmac_f32_e32 v55, v3, v57
	v_mul_f32_e32 v57, v67, v60
	ds_load_2addr_b64 v[0:3], v46 offset0:96 offset1:112
	v_dual_fmac_f32 v57, v68, v59 :: v_dual_add_f32 v68, v54, v74
	v_add_f32_e32 v35, v35, v55
	v_fma_f32 v55, v67, v61, -v72
	v_fma_f32 v54, v63, v59, -v56
	s_delay_alu instid0(VALU_DEP_4) | instskip(SKIP_1) | instid1(VALU_DEP_4)
	v_add_f32_e32 v67, v73, v57
	v_mul_f32_e32 v57, v63, v60
	v_dual_add_f32 v60, v51, v55 :: v_dual_mul_f32 v51, v64, v62
	s_delay_alu instid0(VALU_DEP_2) | instskip(SKIP_1) | instid1(VALU_DEP_3)
	v_fmac_f32_e32 v57, v64, v59
	v_mul_f32_e32 v59, v63, v62
	v_fma_f32 v51, v63, v61, -v51
	v_add_f32_e32 v63, v58, v54
	s_wait_dscnt 0x0
	v_mul_f32_e32 v55, v70, v1
	v_fmac_f32_e32 v59, v64, v61
	v_mul_f32_e32 v62, v69, v1
	v_add_f32_e32 v72, v52, v57
	v_add_f32_e32 v64, v53, v51
	v_fma_f32 v61, v69, v0, -v55
	ds_load_b128 v[51:54], v42 offset:96
	ds_load_2addr_b64 v[55:58], v46 offset0:128 offset1:144
	v_mul_f32_e32 v73, v70, v3
	v_dual_fmac_f32 v62, v70, v0 :: v_dual_add_f32 v35, v35, v59
	v_mul_f32_e32 v59, v69, v3
	v_add_f32_e32 v71, v71, v61
	s_delay_alu instid0(VALU_DEP_4) | instskip(NEXT) | instid1(VALU_DEP_4)
	v_fma_f32 v61, v69, v2, -v73
	v_add_f32_e32 v73, v67, v62
	s_delay_alu instid0(VALU_DEP_2) | instskip(NEXT) | instid1(VALU_DEP_1)
	v_dual_fmac_f32 v59, v70, v2 :: v_dual_add_f32 v74, v60, v61
	v_add_f32_e32 v75, v68, v59
	ds_load_b128 v[59:62], v42 offset:4192
	v_mul_f32_e32 v69, v66, v1
	s_wait_dscnt 0x1
	v_dual_mul_f32 v1, v65, v1 :: v_dual_mul_f32 v78, v51, v58
	s_delay_alu instid0(VALU_DEP_2) | instskip(SKIP_1) | instid1(VALU_DEP_3)
	v_fma_f32 v67, v65, v0, -v69
	v_mul_f32_e32 v69, v66, v3
	v_dual_fmac_f32 v1, v66, v0 :: v_dual_fmac_f32 v78, v52, v57
	s_delay_alu instid0(VALU_DEP_3) | instskip(NEXT) | instid1(VALU_DEP_3)
	v_add_f32_e32 v76, v63, v67
	v_fma_f32 v0, v65, v2, -v69
	ds_load_b128 v[67:70], v42 offset:112
	v_mul_f32_e32 v63, v65, v3
	v_mul_f32_e32 v3, v52, v56
	v_add_f32_e32 v72, v72, v1
	v_add_f32_e32 v77, v64, v0
	s_delay_alu instid0(VALU_DEP_4) | instskip(NEXT) | instid1(VALU_DEP_4)
	v_fmac_f32_e32 v63, v66, v2
	v_fma_f32 v64, v51, v55, -v3
	ds_load_2addr_b64 v[0:3], v46 offset0:160 offset1:176
	v_dual_mul_f32 v65, v51, v56 :: v_dual_mul_f32 v66, v52, v58
	s_wait_dscnt 0x2
	v_mul_f32_e32 v79, v60, v56
	s_delay_alu instid0(VALU_DEP_2) | instskip(NEXT) | instid1(VALU_DEP_3)
	v_dual_fmac_f32 v65, v52, v55 :: v_dual_mul_f32 v52, v59, v56
	v_fma_f32 v51, v51, v57, -v66
	v_mul_f32_e32 v56, v60, v58
	s_delay_alu instid0(VALU_DEP_3) | instskip(NEXT) | instid1(VALU_DEP_3)
	v_fmac_f32_e32 v52, v60, v55
	v_add_f32_e32 v51, v74, v51
	v_fma_f32 v74, v59, v55, -v79
	s_delay_alu instid0(VALU_DEP_4)
	v_fma_f32 v55, v59, v57, -v56
	v_add_f32_e32 v71, v71, v64
	v_add_f32_e32 v52, v72, v52
	s_wait_dscnt 0x0
	v_mul_f32_e32 v56, v54, v1
	v_mul_f32_e32 v72, v53, v1
	s_delay_alu instid0(VALU_DEP_1) | instskip(SKIP_4) | instid1(VALU_DEP_2)
	v_dual_fmac_f32 v72, v54, v0 :: v_dual_add_f32 v75, v75, v78
	v_mul_f32_e32 v78, v59, v58
	v_add_f32_e32 v59, v76, v74
	v_fma_f32 v74, v53, v0, -v56
	v_mul_f32_e32 v76, v54, v3
	v_dual_fmac_f32 v78, v60, v57 :: v_dual_add_f32 v71, v71, v74
	v_mul_f32_e32 v74, v53, v3
	s_delay_alu instid0(VALU_DEP_3) | instskip(SKIP_1) | instid1(VALU_DEP_3)
	v_fma_f32 v53, v53, v2, -v76
	v_mul_f32_e32 v76, v62, v1
	v_dual_mul_f32 v1, v61, v1 :: v_dual_fmac_f32 v74, v54, v2
	s_delay_alu instid0(VALU_DEP_3) | instskip(NEXT) | instid1(VALU_DEP_3)
	v_add_f32_e32 v51, v51, v53
	v_fma_f32 v53, v61, v0, -v76
	s_delay_alu instid0(VALU_DEP_3)
	v_fmac_f32_e32 v1, v62, v0
	v_mul_f32_e32 v0, v62, v3
	v_add_f32_e32 v54, v75, v74
	v_add_f32_e32 v60, v77, v55
	ds_load_2addr_b64 v[55:58], v46 offset0:192 offset1:208
	v_add_f32_e32 v73, v73, v65
	v_add_f32_e32 v52, v52, v1
	s_wait_dscnt 0x0
	v_mul_f32_e32 v74, v67, v58
	s_delay_alu instid0(VALU_DEP_3) | instskip(NEXT) | instid1(VALU_DEP_2)
	v_add_f32_e32 v72, v73, v72
	v_dual_mul_f32 v73, v61, v3 :: v_dual_fmac_f32 v74, v68, v57
	s_delay_alu instid0(VALU_DEP_1) | instskip(NEXT) | instid1(VALU_DEP_1)
	v_dual_fmac_f32 v73, v62, v2 :: v_dual_mul_f32 v62, v67, v56
	v_fmac_f32_e32 v62, v68, v55
	v_add_f32_e32 v35, v35, v63
	ds_load_b128 v[63:66], v42 offset:4208
	v_dual_add_f32 v62, v72, v62 :: v_dual_add_f32 v53, v59, v53
	v_fma_f32 v59, v61, v2, -v0
	ds_load_2addr_b64 v[0:3], v46 offset0:224 offset1:240
	v_mul_f32_e32 v61, v68, v56
	v_add_f32_e32 v59, v60, v59
	s_delay_alu instid0(VALU_DEP_2) | instskip(SKIP_2) | instid1(VALU_DEP_2)
	v_fma_f32 v60, v67, v55, -v61
	v_mul_f32_e32 v61, v68, v58
	v_add_f32_e32 v68, v54, v74
	v_fma_f32 v61, v67, v57, -v61
	s_wait_dscnt 0x1
	v_mul_f32_e32 v67, v64, v56
	v_mul_f32_e32 v56, v63, v56
	v_add_f32_e32 v35, v35, v78
	s_delay_alu instid0(VALU_DEP_3) | instskip(SKIP_4) | instid1(VALU_DEP_3)
	v_fma_f32 v54, v63, v55, -v67
	s_wait_dscnt 0x0
	v_mul_f32_e32 v72, v69, v1
	v_dual_fmac_f32 v56, v64, v55 :: v_dual_mul_f32 v55, v70, v1
	v_add_f32_e32 v60, v71, v60
	v_dual_fmac_f32 v72, v70, v0 :: v_dual_add_f32 v61, v51, v61
	v_mul_f32_e32 v51, v64, v58
	s_delay_alu instid0(VALU_DEP_4) | instskip(NEXT) | instid1(VALU_DEP_3)
	v_add_f32_e32 v71, v52, v56
	v_dual_add_f32 v72, v62, v72 :: v_dual_mul_f32 v67, v63, v58
	s_delay_alu instid0(VALU_DEP_3) | instskip(SKIP_1) | instid1(VALU_DEP_2)
	v_fma_f32 v51, v63, v57, -v51
	v_add_f32_e32 v63, v53, v54
	v_dual_fmac_f32 v67, v64, v57 :: v_dual_add_f32 v64, v59, v51
	v_fma_f32 v59, v69, v0, -v55
	ds_load_b128 v[51:54], v42 offset:128
	ds_load_2addr_b64 v[55:58], v47 offset1:16
	v_add_f32_e32 v35, v35, v73
	v_mul_f32_e32 v73, v70, v3
	v_add_f32_e32 v74, v60, v59
	s_delay_alu instid0(VALU_DEP_3) | instskip(NEXT) | instid1(VALU_DEP_3)
	v_dual_mul_f32 v60, v66, v1 :: v_dual_add_f32 v35, v35, v67
	v_fma_f32 v59, v69, v2, -v73
	v_mul_f32_e32 v67, v69, v3
	v_mul_f32_e32 v1, v65, v1
	s_delay_alu instid0(VALU_DEP_4) | instskip(NEXT) | instid1(VALU_DEP_4)
	v_fma_f32 v69, v65, v0, -v60
	v_add_f32_e32 v73, v61, v59
	ds_load_b128 v[59:62], v42 offset:4224
	v_fmac_f32_e32 v67, v70, v2
	v_mul_f32_e32 v70, v66, v3
	v_fmac_f32_e32 v1, v66, v0
	s_wait_dscnt 0x1
	s_delay_alu instid0(VALU_DEP_3) | instskip(NEXT) | instid1(VALU_DEP_3)
	v_dual_add_f32 v75, v68, v67 :: v_dual_mul_f32 v78, v51, v58
	v_fma_f32 v0, v65, v2, -v70
	s_delay_alu instid0(VALU_DEP_2)
	v_fmac_f32_e32 v78, v52, v57
	v_dual_add_f32 v76, v63, v69 :: v_dual_mul_f32 v63, v65, v3
	ds_load_b128 v[67:70], v42 offset:144
	v_mul_f32_e32 v3, v52, v56
	v_mul_f32_e32 v65, v51, v56
	v_add_f32_e32 v77, v64, v0
	v_fmac_f32_e32 v63, v66, v2
	v_mul_f32_e32 v66, v52, v58
	v_fma_f32 v64, v51, v55, -v3
	v_fmac_f32_e32 v65, v52, v55
	s_wait_dscnt 0x1
	v_mul_f32_e32 v79, v60, v56
	v_mul_f32_e32 v52, v59, v56
	v_fma_f32 v51, v51, v57, -v66
	v_mul_f32_e32 v56, v60, v58
	v_add_f32_e32 v75, v75, v78
	v_mul_f32_e32 v78, v59, v58
	v_fmac_f32_e32 v52, v60, v55
	v_add_f32_e32 v51, v73, v51
	v_fma_f32 v73, v59, v55, -v79
	v_fma_f32 v55, v59, v57, -v56
	v_fmac_f32_e32 v78, v60, v57
	v_add_f32_e32 v74, v74, v64
	v_add_f32_e32 v72, v72, v65
	s_delay_alu instid0(VALU_DEP_4)
	v_dual_add_f32 v59, v76, v73 :: v_dual_add_f32 v60, v77, v55
	v_add_f32_e32 v71, v71, v1
	ds_load_2addr_b64 v[0:3], v47 offset0:32 offset1:48
	v_add_f32_e32 v52, v71, v52
	s_wait_dscnt 0x0
	v_mul_f32_e32 v56, v54, v1
	v_mul_f32_e32 v76, v54, v3
	s_delay_alu instid0(VALU_DEP_2) | instskip(SKIP_3) | instid1(VALU_DEP_2)
	v_fma_f32 v73, v53, v0, -v56
	ds_load_2addr_b64 v[55:58], v47 offset0:64 offset1:80
	v_mul_f32_e32 v71, v53, v1
	v_dual_add_f32 v73, v74, v73 :: v_dual_mul_f32 v74, v53, v3
	v_fmac_f32_e32 v71, v54, v0
	v_fma_f32 v53, v53, v2, -v76
	v_mul_f32_e32 v76, v62, v1
	s_delay_alu instid0(VALU_DEP_4) | instskip(NEXT) | instid1(VALU_DEP_4)
	v_dual_mul_f32 v1, v61, v1 :: v_dual_fmac_f32 v74, v54, v2
	v_add_f32_e32 v71, v72, v71
	s_delay_alu instid0(VALU_DEP_4) | instskip(NEXT) | instid1(VALU_DEP_4)
	v_dual_mul_f32 v72, v61, v3 :: v_dual_add_f32 v51, v51, v53
	v_fma_f32 v53, v61, v0, -v76
	s_delay_alu instid0(VALU_DEP_4) | instskip(SKIP_1) | instid1(VALU_DEP_3)
	v_fmac_f32_e32 v1, v62, v0
	v_mul_f32_e32 v0, v62, v3
	v_dual_fmac_f32 v72, v62, v2 :: v_dual_add_f32 v53, v59, v53
	s_wait_dscnt 0x0
	v_mul_f32_e32 v62, v67, v56
	s_delay_alu instid0(VALU_DEP_3)
	v_fma_f32 v59, v61, v2, -v0
	v_mul_f32_e32 v61, v68, v56
	v_add_f32_e32 v52, v52, v1
	ds_load_2addr_b64 v[0:3], v47 offset0:96 offset1:112
	v_fmac_f32_e32 v62, v68, v55
	v_add_f32_e32 v54, v75, v74
	v_mul_f32_e32 v74, v67, v58
	v_add_f32_e32 v35, v35, v63
	ds_load_b128 v[63:66], v42 offset:4240
	v_add_f32_e32 v59, v60, v59
	v_fma_f32 v60, v67, v55, -v61
	v_mul_f32_e32 v61, v68, v58
	v_dual_fmac_f32 v74, v68, v57 :: v_dual_add_f32 v35, v35, v78
	s_delay_alu instid0(VALU_DEP_3) | instskip(NEXT) | instid1(VALU_DEP_3)
	v_add_f32_e32 v60, v73, v60
	v_fma_f32 v61, v67, v57, -v61
	s_delay_alu instid0(VALU_DEP_3)
	v_dual_add_f32 v68, v54, v74 :: v_dual_add_f32 v35, v35, v72
	s_wait_dscnt 0x1
	v_dual_mul_f32 v72, v69, v1 :: v_dual_mul_f32 v73, v70, v3
	s_wait_dscnt 0x0
	v_mul_f32_e32 v67, v64, v56
	v_mul_f32_e32 v56, v63, v56
	s_delay_alu instid0(VALU_DEP_3) | instskip(NEXT) | instid1(VALU_DEP_3)
	v_fmac_f32_e32 v72, v70, v0
	v_fma_f32 v54, v63, v55, -v67
	s_delay_alu instid0(VALU_DEP_3) | instskip(SKIP_1) | instid1(VALU_DEP_2)
	v_dual_mul_f32 v67, v63, v58 :: v_dual_fmac_f32 v56, v64, v55
	v_mul_f32_e32 v55, v70, v1
	v_fmac_f32_e32 v67, v64, v57
	s_delay_alu instid0(VALU_DEP_1) | instskip(SKIP_1) | instid1(VALU_DEP_1)
	v_add_f32_e32 v35, v35, v67
	v_mul_f32_e32 v67, v69, v3
	v_fmac_f32_e32 v67, v70, v2
	v_dual_mul_f32 v70, v66, v3 :: v_dual_add_f32 v61, v51, v61
	v_mul_f32_e32 v51, v64, v58
	s_delay_alu instid0(VALU_DEP_3) | instskip(NEXT) | instid1(VALU_DEP_2)
	v_add_f32_e32 v75, v68, v67
	v_fma_f32 v51, v63, v57, -v51
	s_delay_alu instid0(VALU_DEP_1) | instskip(SKIP_1) | instid1(VALU_DEP_1)
	v_dual_add_f32 v63, v53, v54 :: v_dual_add_f32 v64, v59, v51
	v_fma_f32 v59, v69, v0, -v55
	v_add_f32_e32 v74, v60, v59
	v_mul_f32_e32 v60, v66, v1
	v_mul_f32_e32 v1, v65, v1
	v_fma_f32 v59, v69, v2, -v73
	v_add_f32_e32 v62, v71, v62
	s_delay_alu instid0(VALU_DEP_4) | instskip(NEXT) | instid1(VALU_DEP_4)
	v_fma_f32 v69, v65, v0, -v60
	v_fmac_f32_e32 v1, v66, v0
	v_fma_f32 v0, v65, v2, -v70
	s_delay_alu instid0(VALU_DEP_4) | instskip(NEXT) | instid1(VALU_DEP_4)
	v_add_f32_e32 v72, v62, v72
	v_dual_add_f32 v76, v63, v69 :: v_dual_mul_f32 v63, v65, v3
	s_delay_alu instid0(VALU_DEP_3)
	v_add_f32_e32 v77, v64, v0
	v_add_f32_e32 v71, v52, v56
	ds_load_b128 v[51:54], v42 offset:160
	ds_load_2addr_b64 v[55:58], v47 offset0:128 offset1:144
	ds_load_b128 v[67:70], v42 offset:176
	v_fmac_f32_e32 v63, v66, v2
	s_wait_dscnt 0x1
	v_dual_mul_f32 v78, v51, v58 :: v_dual_mul_f32 v3, v52, v56
	v_dual_mul_f32 v65, v51, v56 :: v_dual_mul_f32 v66, v52, v58
	s_delay_alu instid0(VALU_DEP_2) | instskip(NEXT) | instid1(VALU_DEP_3)
	v_fmac_f32_e32 v78, v52, v57
	v_fma_f32 v64, v51, v55, -v3
	s_delay_alu instid0(VALU_DEP_3) | instskip(NEXT) | instid1(VALU_DEP_4)
	v_fmac_f32_e32 v65, v52, v55
	v_fma_f32 v51, v51, v57, -v66
	s_delay_alu instid0(VALU_DEP_4)
	v_add_f32_e32 v75, v75, v78
	v_add_f32_e32 v73, v61, v59
	ds_load_b128 v[59:62], v42 offset:4256
	v_add_f32_e32 v74, v74, v64
	v_dual_add_f32 v72, v72, v65 :: v_dual_add_f32 v51, v73, v51
	s_wait_dscnt 0x0
	v_mul_f32_e32 v79, v60, v56
	v_mul_f32_e32 v52, v59, v56
	;; [unrolled: 1-line block ×4, first 2 shown]
	s_delay_alu instid0(VALU_DEP_4) | instskip(NEXT) | instid1(VALU_DEP_4)
	v_fma_f32 v73, v59, v55, -v79
	v_fmac_f32_e32 v52, v60, v55
	s_delay_alu instid0(VALU_DEP_4) | instskip(NEXT) | instid1(VALU_DEP_4)
	v_fma_f32 v55, v59, v57, -v56
	v_fmac_f32_e32 v78, v60, v57
	s_delay_alu instid0(VALU_DEP_2)
	v_dual_add_f32 v59, v76, v73 :: v_dual_add_f32 v60, v77, v55
	v_add_f32_e32 v71, v71, v1
	ds_load_2addr_b64 v[0:3], v47 offset0:160 offset1:176
	v_add_f32_e32 v52, v71, v52
	s_wait_dscnt 0x0
	v_mul_f32_e32 v56, v54, v1
	v_dual_mul_f32 v71, v53, v1 :: v_dual_mul_f32 v76, v54, v3
	s_delay_alu instid0(VALU_DEP_2)
	v_fma_f32 v73, v53, v0, -v56
	ds_load_2addr_b64 v[55:58], v47 offset0:192 offset1:208
	v_fmac_f32_e32 v71, v54, v0
	v_dual_add_f32 v73, v74, v73 :: v_dual_mul_f32 v74, v53, v3
	v_fma_f32 v53, v53, v2, -v76
	v_mul_f32_e32 v76, v62, v1
	v_mul_f32_e32 v1, v61, v1
	s_delay_alu instid0(VALU_DEP_4) | instskip(NEXT) | instid1(VALU_DEP_4)
	v_dual_add_f32 v71, v72, v71 :: v_dual_fmac_f32 v74, v54, v2
	v_dual_mul_f32 v72, v61, v3 :: v_dual_add_f32 v51, v51, v53
	s_delay_alu instid0(VALU_DEP_4) | instskip(NEXT) | instid1(VALU_DEP_3)
	v_fma_f32 v53, v61, v0, -v76
	v_dual_fmac_f32 v1, v62, v0 :: v_dual_add_f32 v54, v75, v74
	v_mul_f32_e32 v0, v62, v3
	s_delay_alu instid0(VALU_DEP_3) | instskip(NEXT) | instid1(VALU_DEP_3)
	v_dual_fmac_f32 v72, v62, v2 :: v_dual_add_f32 v53, v59, v53
	v_add_f32_e32 v52, v52, v1
	s_wait_dscnt 0x0
	v_mul_f32_e32 v74, v67, v58
	v_mul_f32_e32 v62, v67, v56
	v_fma_f32 v59, v61, v2, -v0
	v_mul_f32_e32 v61, v68, v56
	ds_load_2addr_b64 v[0:3], v47 offset0:224 offset1:240
	v_dual_fmac_f32 v74, v68, v57 :: v_dual_add_f32 v35, v35, v63
	ds_load_b128 v[63:66], v42 offset:4272
	v_add_f32_e32 v59, v60, v59
	v_fma_f32 v60, v67, v55, -v61
	v_mul_f32_e32 v61, v68, v58
	v_fmac_f32_e32 v62, v68, v55
	v_add_f32_e32 v68, v54, v74
	s_delay_alu instid0(VALU_DEP_4) | instskip(NEXT) | instid1(VALU_DEP_4)
	v_dual_add_f32 v35, v35, v78 :: v_dual_add_f32 v60, v73, v60
	v_fma_f32 v61, v67, v57, -v61
	s_wait_dscnt 0x1
	s_delay_alu instid0(VALU_DEP_2)
	v_dual_add_f32 v35, v35, v72 :: v_dual_mul_f32 v72, v69, v1
	v_mul_f32_e32 v73, v70, v3
	s_wait_dscnt 0x0
	v_mul_f32_e32 v67, v64, v56
	v_mul_f32_e32 v56, v63, v56
	v_fmac_f32_e32 v72, v70, v0
	s_delay_alu instid0(VALU_DEP_3) | instskip(NEXT) | instid1(VALU_DEP_3)
	v_fma_f32 v54, v63, v55, -v67
	v_dual_mul_f32 v67, v63, v58 :: v_dual_fmac_f32 v56, v64, v55
	v_mul_f32_e32 v55, v70, v1
	s_delay_alu instid0(VALU_DEP_2) | instskip(NEXT) | instid1(VALU_DEP_1)
	v_fmac_f32_e32 v67, v64, v57
	v_add_f32_e32 v35, v35, v67
	v_mul_f32_e32 v67, v69, v3
	s_delay_alu instid0(VALU_DEP_1) | instskip(SKIP_2) | instid1(VALU_DEP_1)
	v_fmac_f32_e32 v67, v70, v2
	v_dual_mul_f32 v70, v66, v3 :: v_dual_add_f32 v61, v51, v61
	v_mul_f32_e32 v51, v64, v58
	v_fma_f32 v51, v63, v57, -v51
	s_delay_alu instid0(VALU_DEP_1) | instskip(SKIP_1) | instid1(VALU_DEP_1)
	v_dual_add_f32 v63, v53, v54 :: v_dual_add_f32 v64, v59, v51
	v_fma_f32 v59, v69, v0, -v55
	v_add_f32_e32 v74, v60, v59
	v_mul_f32_e32 v60, v66, v1
	v_dual_add_f32 v62, v71, v62 :: v_dual_add_f32 v71, v52, v56
	ds_load_b128 v[51:54], v42 offset:192
	ds_load_2addr_b64 v[55:58], v48 offset1:16
	v_fma_f32 v59, v69, v2, -v73
	v_fma_f32 v69, v65, v0, -v60
	s_delay_alu instid0(VALU_DEP_2) | instskip(SKIP_3) | instid1(VALU_DEP_2)
	v_dual_add_f32 v72, v62, v72 :: v_dual_add_f32 v73, v61, v59
	ds_load_b128 v[59:62], v42 offset:4288
	v_mul_f32_e32 v1, v65, v1
	v_dual_add_f32 v76, v63, v69 :: v_dual_mul_f32 v63, v65, v3
	v_fmac_f32_e32 v1, v66, v0
	v_fma_f32 v0, v65, v2, -v70
	s_delay_alu instid0(VALU_DEP_3) | instskip(NEXT) | instid1(VALU_DEP_3)
	v_fmac_f32_e32 v63, v66, v2
	v_add_f32_e32 v71, v71, v1
	s_delay_alu instid0(VALU_DEP_3) | instskip(SKIP_3) | instid1(VALU_DEP_2)
	v_add_f32_e32 v77, v64, v0
	s_wait_dscnt 0x1
	v_dual_mul_f32 v3, v52, v56 :: v_dual_mul_f32 v78, v51, v58
	v_mul_f32_e32 v66, v52, v58
	v_fma_f32 v64, v51, v55, -v3
	ds_load_2addr_b64 v[0:3], v48 offset0:32 offset1:48
	v_add_f32_e32 v75, v68, v67
	ds_load_b128 v[67:70], v42 offset:208
	v_dual_mul_f32 v65, v51, v56 :: v_dual_fmac_f32 v78, v52, v57
	v_fma_f32 v51, v51, v57, -v66
	s_wait_dscnt 0x2
	v_mul_f32_e32 v79, v60, v56
	s_delay_alu instid0(VALU_DEP_3) | instskip(SKIP_2) | instid1(VALU_DEP_4)
	v_dual_add_f32 v74, v74, v64 :: v_dual_fmac_f32 v65, v52, v55
	v_mul_f32_e32 v52, v59, v56
	v_dual_mul_f32 v56, v60, v58 :: v_dual_add_f32 v51, v73, v51
	v_fma_f32 v73, v59, v55, -v79
	s_delay_alu instid0(VALU_DEP_4) | instskip(NEXT) | instid1(VALU_DEP_4)
	v_add_f32_e32 v72, v72, v65
	v_fmac_f32_e32 v52, v60, v55
	s_delay_alu instid0(VALU_DEP_4) | instskip(SKIP_1) | instid1(VALU_DEP_2)
	v_fma_f32 v55, v59, v57, -v56
	s_wait_dscnt 0x1
	v_dual_add_f32 v52, v71, v52 :: v_dual_mul_f32 v71, v53, v1
	v_mul_f32_e32 v56, v54, v1
	s_delay_alu instid0(VALU_DEP_2) | instskip(NEXT) | instid1(VALU_DEP_1)
	v_fmac_f32_e32 v71, v54, v0
	v_add_f32_e32 v71, v72, v71
	v_mul_f32_e32 v72, v61, v3
	s_delay_alu instid0(VALU_DEP_1) | instskip(SKIP_4) | instid1(VALU_DEP_3)
	v_fmac_f32_e32 v72, v62, v2
	v_add_f32_e32 v75, v75, v78
	v_dual_mul_f32 v78, v59, v58 :: v_dual_add_f32 v59, v76, v73
	v_fma_f32 v73, v53, v0, -v56
	v_mul_f32_e32 v76, v54, v3
	v_fmac_f32_e32 v78, v60, v57
	v_add_f32_e32 v60, v77, v55
	ds_load_2addr_b64 v[55:58], v48 offset0:64 offset1:80
	v_dual_add_f32 v73, v74, v73 :: v_dual_mul_f32 v74, v53, v3
	v_fma_f32 v53, v53, v2, -v76
	v_mul_f32_e32 v76, v62, v1
	s_delay_alu instid0(VALU_DEP_3) | instskip(NEXT) | instid1(VALU_DEP_3)
	v_dual_mul_f32 v1, v61, v1 :: v_dual_fmac_f32 v74, v54, v2
	v_add_f32_e32 v51, v51, v53
	s_delay_alu instid0(VALU_DEP_3) | instskip(NEXT) | instid1(VALU_DEP_3)
	v_fma_f32 v53, v61, v0, -v76
	v_fmac_f32_e32 v1, v62, v0
	v_mul_f32_e32 v0, v62, v3
	v_add_f32_e32 v54, v75, v74
	s_delay_alu instid0(VALU_DEP_4) | instskip(NEXT) | instid1(VALU_DEP_4)
	v_add_f32_e32 v53, v59, v53
	v_add_f32_e32 v52, v52, v1
	s_delay_alu instid0(VALU_DEP_4) | instskip(SKIP_4) | instid1(VALU_DEP_2)
	v_fma_f32 v59, v61, v2, -v0
	ds_load_2addr_b64 v[0:3], v48 offset0:96 offset1:112
	s_wait_dscnt 0x1
	v_dual_mul_f32 v74, v67, v58 :: v_dual_mul_f32 v61, v68, v56
	v_dual_add_f32 v59, v60, v59 :: v_dual_mul_f32 v62, v67, v56
	v_dual_fmac_f32 v74, v68, v57 :: v_dual_add_f32 v35, v35, v63
	ds_load_b128 v[63:66], v42 offset:4304
	v_fma_f32 v60, v67, v55, -v61
	v_mul_f32_e32 v61, v68, v58
	v_fmac_f32_e32 v62, v68, v55
	v_add_f32_e32 v68, v54, v74
	s_delay_alu instid0(VALU_DEP_3) | instskip(NEXT) | instid1(VALU_DEP_3)
	v_fma_f32 v61, v67, v57, -v61
	v_add_f32_e32 v62, v71, v62
	s_delay_alu instid0(VALU_DEP_2) | instskip(SKIP_4) | instid1(VALU_DEP_2)
	v_add_f32_e32 v61, v51, v61
	v_add_f32_e32 v35, v35, v78
	s_wait_dscnt 0x0
	v_mul_f32_e32 v67, v64, v56
	v_dual_mul_f32 v56, v63, v56 :: v_dual_mul_f32 v51, v64, v58
	v_fma_f32 v54, v63, v55, -v67
	s_delay_alu instid0(VALU_DEP_2) | instskip(NEXT) | instid1(VALU_DEP_3)
	v_dual_fmac_f32 v56, v64, v55 :: v_dual_mul_f32 v67, v63, v58
	v_fma_f32 v51, v63, v57, -v51
	v_mul_f32_e32 v55, v70, v1
	s_delay_alu instid0(VALU_DEP_4) | instskip(NEXT) | instid1(VALU_DEP_4)
	v_add_f32_e32 v63, v53, v54
	v_add_f32_e32 v71, v52, v56
	s_delay_alu instid0(VALU_DEP_4) | instskip(NEXT) | instid1(VALU_DEP_4)
	v_dual_fmac_f32 v67, v64, v57 :: v_dual_add_f32 v64, v59, v51
	v_fma_f32 v59, v69, v0, -v55
	ds_load_b128 v[51:54], v42 offset:224
	ds_load_2addr_b64 v[55:58], v48 offset0:128 offset1:144
	v_dual_add_f32 v35, v35, v72 :: v_dual_mul_f32 v72, v69, v1
	s_delay_alu instid0(VALU_DEP_1) | instskip(NEXT) | instid1(VALU_DEP_2)
	v_add_f32_e32 v35, v35, v67
	v_dual_mul_f32 v67, v69, v3 :: v_dual_fmac_f32 v72, v70, v0
	s_delay_alu instid0(VALU_DEP_1) | instskip(NEXT) | instid1(VALU_DEP_1)
	v_fmac_f32_e32 v67, v70, v2
	v_dual_add_f32 v72, v62, v72 :: v_dual_add_f32 v75, v68, v67
	s_wait_dscnt 0x0
	v_dual_mul_f32 v67, v66, v3 :: v_dual_mul_f32 v78, v51, v56
	s_delay_alu instid0(VALU_DEP_1) | instskip(SKIP_1) | instid1(VALU_DEP_2)
	v_dual_mul_f32 v79, v51, v58 :: v_dual_fmac_f32 v78, v52, v55
	v_dual_add_f32 v60, v73, v60 :: v_dual_mul_f32 v73, v70, v3
	v_fmac_f32_e32 v79, v52, v57
	s_delay_alu instid0(VALU_DEP_3) | instskip(NEXT) | instid1(VALU_DEP_3)
	v_add_f32_e32 v72, v72, v78
	v_fma_f32 v69, v69, v2, -v73
	s_delay_alu instid0(VALU_DEP_4) | instskip(SKIP_2) | instid1(VALU_DEP_4)
	v_add_f32_e32 v73, v60, v59
	v_mul_f32_e32 v59, v66, v1
	v_mul_f32_e32 v1, v65, v1
	v_dual_add_f32 v75, v75, v79 :: v_dual_add_f32 v74, v61, v69
	s_delay_alu instid0(VALU_DEP_3)
	v_fma_f32 v69, v65, v0, -v59
	ds_load_b128 v[59:62], v42 offset:4320
	v_fmac_f32_e32 v1, v66, v0
	v_fma_f32 v0, v65, v2, -v67
	v_dual_add_f32 v76, v63, v69 :: v_dual_mul_f32 v63, v65, v3
	v_mul_f32_e32 v3, v52, v56
	ds_load_b128 v[67:70], v42 offset:240
	v_add_f32_e32 v71, v71, v1
	v_add_f32_e32 v77, v64, v0
	v_fmac_f32_e32 v63, v66, v2
	v_fma_f32 v64, v51, v55, -v3
	ds_load_2addr_b64 v[0:3], v48 offset0:160 offset1:176
	v_mul_f32_e32 v65, v52, v58
	v_add_f32_e32 v73, v73, v64
	s_delay_alu instid0(VALU_DEP_2) | instskip(SKIP_3) | instid1(VALU_DEP_3)
	v_fma_f32 v51, v51, v57, -v65
	s_wait_dscnt 0x2
	v_mul_f32_e32 v80, v60, v56
	v_mul_f32_e32 v52, v59, v56
	v_dual_mul_f32 v78, v59, v58 :: v_dual_add_f32 v51, v74, v51
	v_mul_f32_e32 v74, v60, v58
	s_delay_alu instid0(VALU_DEP_4) | instskip(NEXT) | instid1(VALU_DEP_4)
	v_fma_f32 v56, v59, v55, -v80
	v_fmac_f32_e32 v52, v60, v55
	s_delay_alu instid0(VALU_DEP_4) | instskip(NEXT) | instid1(VALU_DEP_4)
	v_fmac_f32_e32 v78, v60, v57
	v_fma_f32 v55, v59, v57, -v74
	s_delay_alu instid0(VALU_DEP_4) | instskip(NEXT) | instid1(VALU_DEP_4)
	v_add_f32_e32 v76, v76, v56
	v_add_f32_e32 v52, v71, v52
	s_wait_dscnt 0x0
	v_mul_f32_e32 v56, v54, v1
	v_dual_mul_f32 v59, v53, v1 :: v_dual_mul_f32 v74, v54, v3
	v_add_f32_e32 v60, v77, v55
	s_delay_alu instid0(VALU_DEP_3) | instskip(NEXT) | instid1(VALU_DEP_3)
	v_fma_f32 v71, v53, v0, -v56
	v_fmac_f32_e32 v59, v54, v0
	ds_load_2addr_b64 v[55:58], v48 offset0:192 offset1:208
	v_add_f32_e32 v71, v73, v71
	v_mul_f32_e32 v73, v53, v3
	v_fma_f32 v53, v53, v2, -v74
	v_dual_add_f32 v59, v72, v59 :: v_dual_mul_f32 v72, v62, v1
	v_mul_f32_e32 v1, v61, v1
	s_delay_alu instid0(VALU_DEP_4) | instskip(NEXT) | instid1(VALU_DEP_4)
	v_fmac_f32_e32 v73, v54, v2
	v_add_f32_e32 v51, v51, v53
	v_mul_f32_e32 v53, v62, v3
	v_fma_f32 v54, v61, v0, -v72
	s_delay_alu instid0(VALU_DEP_4) | instskip(SKIP_1) | instid1(VALU_DEP_4)
	v_dual_fmac_f32 v1, v62, v0 :: v_dual_add_f32 v72, v75, v73
	v_mul_f32_e32 v73, v61, v3
	v_fma_f32 v0, v61, v2, -v53
	s_delay_alu instid0(VALU_DEP_4) | instskip(NEXT) | instid1(VALU_DEP_4)
	v_add_f32_e32 v53, v76, v54
	v_add_f32_e32 v52, v52, v1
	s_wait_dscnt 0x0
	v_mul_f32_e32 v54, v68, v56
	v_dual_add_f32 v60, v60, v0 :: v_dual_add_f32 v35, v35, v63
	ds_load_b128 v[63:66], v42 offset:4336
	v_fmac_f32_e32 v73, v62, v2
	ds_load_2addr_b64 v[0:3], v48 offset0:224 offset1:240
	v_mul_f32_e32 v61, v67, v56
	v_fma_f32 v54, v67, v55, -v54
	v_mul_f32_e32 v62, v68, v58
	v_add_f32_e32 v35, v35, v78
	s_wait_loadcnt_dscnt 0x0
	s_delay_alu instid0(VALU_DEP_3) | instskip(NEXT) | instid1(VALU_DEP_3)
	v_dual_fmac_f32 v61, v68, v55 :: v_dual_add_f32 v54, v71, v54
	v_fma_f32 v62, v67, v57, -v62
	s_delay_alu instid0(VALU_DEP_3) | instskip(SKIP_1) | instid1(VALU_DEP_4)
	v_add_f32_e32 v35, v35, v73
	v_mul_f32_e32 v73, v67, v58
	v_add_f32_e32 v59, v59, v61
	s_barrier_signal -1
	v_add_f32_e32 v51, v51, v62
	s_barrier_wait -1
	v_fmac_f32_e32 v73, v68, v57
	global_inv scope:SCOPE_SE
	v_mul_f32_e32 v71, v64, v56
	v_mul_f32_e32 v56, v63, v56
	;; [unrolled: 1-line block ×3, first 2 shown]
	v_add_f32_e32 v67, v72, v73
	s_delay_alu instid0(VALU_DEP_4) | instskip(NEXT) | instid1(VALU_DEP_4)
	v_fma_f32 v61, v63, v55, -v71
	v_dual_fmac_f32 v56, v64, v55 :: v_dual_mul_f32 v55, v63, v58
	s_delay_alu instid0(VALU_DEP_4) | instskip(SKIP_1) | instid1(VALU_DEP_4)
	v_fma_f32 v58, v63, v57, -v62
	v_mul_f32_e32 v62, v69, v1
	v_add_f32_e32 v53, v53, v61
	s_delay_alu instid0(VALU_DEP_4) | instskip(SKIP_3) | instid1(VALU_DEP_4)
	v_dual_mul_f32 v61, v70, v1 :: v_dual_add_f32 v52, v52, v56
	v_fmac_f32_e32 v55, v64, v57
	v_add_f32_e32 v58, v60, v58
	v_fmac_f32_e32 v62, v70, v0
	v_fma_f32 v56, v69, v0, -v61
	v_mul_f32_e32 v60, v70, v3
	v_mul_f32_e32 v61, v69, v3
	v_add_f32_e32 v35, v35, v55
	s_delay_alu instid0(VALU_DEP_4) | instskip(NEXT) | instid1(VALU_DEP_4)
	v_dual_add_f32 v57, v59, v62 :: v_dual_add_f32 v56, v54, v56
	v_fma_f32 v54, v69, v2, -v60
	v_mul_f32_e32 v55, v66, v1
	v_mul_f32_e32 v1, v65, v1
	;; [unrolled: 1-line block ×4, first 2 shown]
	v_fmac_f32_e32 v61, v70, v2
	v_add_f32_e32 v54, v51, v54
	v_fma_f32 v51, v65, v0, -v55
	v_fmac_f32_e32 v1, v66, v0
	v_fma_f32 v0, v65, v2, -v59
	v_fmac_f32_e32 v3, v66, v2
	v_add_f32_e32 v55, v67, v61
	s_delay_alu instid0(VALU_DEP_4) | instskip(NEXT) | instid1(VALU_DEP_4)
	v_dual_add_f32 v53, v53, v51 :: v_dual_add_f32 v52, v52, v1
	v_add_f32_e32 v51, v58, v0
	s_delay_alu instid0(VALU_DEP_4)
	v_add_f32_e32 v35, v35, v3
	s_cbranch_scc1 .LBB77_59
.LBB77_10:                              ;   Parent Loop BB77_4 Depth=1
                                        ;     Parent Loop BB77_7 Depth=2
                                        ; =>    This Inner Loop Header: Depth=3
	s_wait_alu 0xfffe
	v_add_co_u32 v2, s5, v4, s42
	s_wait_alu 0xf1ff
	v_add_co_ci_u32_e64 v3, null, s43, v5, s5
	v_cmp_eq_u64_e64 s7, s[42:43], v[12:13]
	s_delay_alu instid0(VALU_DEP_2)
	v_cmp_le_i64_e64 s6, s[40:41], v[2:3]
	v_cmp_lt_i64_e64 s5, v[2:3], v[6:7]
	s_and_b32 s54, s49, s7
	v_add_co_u32 v0, s7, v32, s28
	s_wait_alu 0xf1ff
	v_add_co_ci_u32_e64 v1, null, s29, v33, s7
	s_or_b32 s8, s6, s5
	s_wait_alu 0xfffe
	s_or_b32 s7, s8, s54
	s_wait_alu 0xfffe
	s_nor_b32 s7, s0, s7
	s_wait_alu 0xfffe
	s_and_saveexec_b32 s8, s7
	s_wait_alu 0xfffe
	s_xor_b32 s7, exec_lo, s8
	s_cbranch_execz .LBB77_12
; %bb.11:                               ;   in Loop: Header=BB77_10 Depth=3
	global_load_b64 v[58:59], v[0:1], off
	s_wait_loadcnt 0x0
	ds_store_b64 v43, v[58:59]
.LBB77_12:                              ;   in Loop: Header=BB77_10 Depth=3
	s_wait_alu 0xfffe
	s_or_saveexec_b32 s7, s7
	s_xor_b32 s53, s54, -1
	s_wait_alu 0xfffe
	s_xor_b32 exec_lo, exec_lo, s7
	s_cbranch_execz .LBB77_18
; %bb.13:                               ;   in Loop: Header=BB77_10 Depth=3
	s_and_saveexec_b32 s8, s53
	s_wait_alu 0xfffe
	s_xor_b32 s8, exec_lo, s8
; %bb.14:                               ;   in Loop: Header=BB77_10 Depth=3
	v_dual_mov_b32 v58, v27 :: v_dual_mov_b32 v59, v27
	ds_store_b64 v43, v[58:59]
; %bb.15:                               ;   in Loop: Header=BB77_10 Depth=3
	s_wait_alu 0xfffe
	s_and_not1_saveexec_b32 s8, s8
; %bb.16:                               ;   in Loop: Header=BB77_10 Depth=3
	ds_store_b64 v43, v[26:27]
; %bb.17:                               ;   in Loop: Header=BB77_10 Depth=3
	s_wait_alu 0xfffe
	s_or_b32 exec_lo, exec_lo, s8
.LBB77_18:                              ;   in Loop: Header=BB77_10 Depth=3
	s_delay_alu instid0(SALU_CYCLE_1)
	s_or_b32 exec_lo, exec_lo, s7
	v_cmp_eq_u64_e64 s7, s[42:43], v[16:17]
	v_cmp_gt_i64_e64 s8, v[10:11], v[2:3]
	s_and_b32 s7, s49, s7
	s_or_b32 s6, s6, s8
	s_wait_alu 0xfffe
	s_or_b32 s6, s6, s7
	s_wait_alu 0xfffe
	s_nor_b32 s6, s3, s6
	s_wait_alu 0xfffe
	s_and_saveexec_b32 s8, s6
	s_wait_alu 0xfffe
	s_xor_b32 s8, exec_lo, s8
	s_cbranch_execz .LBB77_20
; %bb.19:                               ;   in Loop: Header=BB77_10 Depth=3
	v_add_co_u32 v58, s6, v30, s28
	s_wait_alu 0xf1ff
	v_add_co_ci_u32_e64 v59, null, s29, v31, s6
	global_load_b64 v[58:59], v[58:59], off
	s_wait_loadcnt 0x0
	ds_store_b64 v43, v[58:59] offset:128
.LBB77_20:                              ;   in Loop: Header=BB77_10 Depth=3
	s_wait_alu 0xfffe
	s_and_not1_saveexec_b32 s6, s8
	s_cbranch_execz .LBB77_26
; %bb.21:                               ;   in Loop: Header=BB77_10 Depth=3
	s_xor_b32 s7, s7, -1
	s_wait_alu 0xfffe
	s_and_saveexec_b32 s8, s7
	s_wait_alu 0xfffe
	s_xor_b32 s7, exec_lo, s8
; %bb.22:                               ;   in Loop: Header=BB77_10 Depth=3
	v_dual_mov_b32 v58, v27 :: v_dual_mov_b32 v59, v27
	ds_store_b64 v43, v[58:59] offset:128
; %bb.23:                               ;   in Loop: Header=BB77_10 Depth=3
	s_wait_alu 0xfffe
	s_and_not1_saveexec_b32 s7, s7
; %bb.24:                               ;   in Loop: Header=BB77_10 Depth=3
	ds_store_b64 v43, v[26:27] offset:128
; %bb.25:                               ;   in Loop: Header=BB77_10 Depth=3
	s_wait_alu 0xfffe
	s_or_b32 exec_lo, exec_lo, s7
.LBB77_26:                              ;   in Loop: Header=BB77_10 Depth=3
	s_wait_alu 0xfffe
	s_or_b32 exec_lo, exec_lo, s6
	v_add_co_u32 v2, s6, v2, 16
	s_wait_alu 0xf1ff
	v_add_co_ci_u32_e64 v3, null, 0, v3, s6
	v_cmp_eq_u64_e64 s7, s[42:43], v[18:19]
	s_delay_alu instid0(VALU_DEP_2)
	v_cmp_le_i64_e64 s6, s[40:41], v[2:3]
	v_cmp_lt_i64_e64 s8, v[2:3], v[6:7]
	s_and_b32 s55, s49, s7
	s_or_b32 s7, s6, s8
	s_wait_alu 0xfffe
	s_or_b32 s7, s7, s55
	s_wait_alu 0xfffe
	s_nor_b32 s7, s0, s7
	s_wait_alu 0xfffe
	s_and_saveexec_b32 s8, s7
	s_wait_alu 0xfffe
	s_xor_b32 s7, exec_lo, s8
	s_cbranch_execz .LBB77_28
; %bb.27:                               ;   in Loop: Header=BB77_10 Depth=3
	global_load_b64 v[0:1], v[0:1], off offset:128
	s_wait_loadcnt 0x0
	ds_store_b64 v43, v[0:1] offset:4096
.LBB77_28:                              ;   in Loop: Header=BB77_10 Depth=3
	s_wait_alu 0xfffe
	s_and_not1_saveexec_b32 s7, s7
	s_cbranch_execz .LBB77_34
; %bb.29:                               ;   in Loop: Header=BB77_10 Depth=3
	s_xor_b32 s8, s55, -1
	s_wait_alu 0xfffe
	s_and_saveexec_b32 s55, s8
	s_delay_alu instid0(SALU_CYCLE_1)
	s_xor_b32 s8, exec_lo, s55
; %bb.30:                               ;   in Loop: Header=BB77_10 Depth=3
	v_dual_mov_b32 v0, v27 :: v_dual_mov_b32 v1, v27
	ds_store_b64 v43, v[0:1] offset:4096
; %bb.31:                               ;   in Loop: Header=BB77_10 Depth=3
	s_wait_alu 0xfffe
	s_and_not1_saveexec_b32 s8, s8
; %bb.32:                               ;   in Loop: Header=BB77_10 Depth=3
	ds_store_b64 v43, v[26:27] offset:4096
; %bb.33:                               ;   in Loop: Header=BB77_10 Depth=3
	s_wait_alu 0xfffe
	s_or_b32 exec_lo, exec_lo, s8
.LBB77_34:                              ;   in Loop: Header=BB77_10 Depth=3
	s_wait_alu 0xfffe
	s_or_b32 exec_lo, exec_lo, s7
	s_or_b32 s5, s6, s5
	s_wait_alu 0xfffe
	s_or_b32 s5, s5, s54
	s_wait_alu 0xfffe
	s_nor_b32 s5, s3, s5
	s_wait_alu 0xfffe
	s_and_saveexec_b32 s6, s5
	s_wait_alu 0xfffe
	s_xor_b32 s6, exec_lo, s6
	s_cbranch_execz .LBB77_36
; %bb.35:                               ;   in Loop: Header=BB77_10 Depth=3
	v_add_co_u32 v0, s5, v30, s28
	s_wait_alu 0xf1ff
	v_add_co_ci_u32_e64 v1, null, s29, v31, s5
	global_load_b64 v[0:1], v[0:1], off offset:128
	s_wait_loadcnt 0x0
	ds_store_b64 v43, v[0:1] offset:4224
.LBB77_36:                              ;   in Loop: Header=BB77_10 Depth=3
	s_wait_alu 0xfffe
	s_and_not1_saveexec_b32 s5, s6
	s_cbranch_execz .LBB77_42
; %bb.37:                               ;   in Loop: Header=BB77_10 Depth=3
	s_and_saveexec_b32 s6, s53
	s_wait_alu 0xfffe
	s_xor_b32 s6, exec_lo, s6
; %bb.38:                               ;   in Loop: Header=BB77_10 Depth=3
	v_dual_mov_b32 v0, v27 :: v_dual_mov_b32 v1, v27
	ds_store_b64 v43, v[0:1] offset:4224
; %bb.39:                               ;   in Loop: Header=BB77_10 Depth=3
	s_wait_alu 0xfffe
	s_and_not1_saveexec_b32 s6, s6
; %bb.40:                               ;   in Loop: Header=BB77_10 Depth=3
	ds_store_b64 v43, v[26:27] offset:4224
; %bb.41:                               ;   in Loop: Header=BB77_10 Depth=3
	s_wait_alu 0xfffe
	s_or_b32 exec_lo, exec_lo, s6
.LBB77_42:                              ;   in Loop: Header=BB77_10 Depth=3
	s_wait_alu 0xfffe
	s_or_b32 exec_lo, exec_lo, s5
	v_add_co_u32 v0, s5, v6, s42
	s_wait_alu 0xf1ff
	v_add_co_ci_u32_e64 v1, null, s43, v7, s5
	s_delay_alu instid0(VALU_DEP_1)
	v_cmp_gt_i64_e64 s5, s[40:41], v[0:1]
	s_and_b32 s6, vcc_lo, s5
	s_wait_alu 0xfffe
	s_xor_b32 s6, s6, -1
	s_wait_alu 0xfffe
	s_and_saveexec_b32 s7, s6
	s_wait_alu 0xfffe
	s_xor_b32 s6, exec_lo, s7
; %bb.43:                               ;   in Loop: Header=BB77_10 Depth=3
	v_dual_mov_b32 v2, v27 :: v_dual_mov_b32 v3, v27
	ds_store_b64 v44, v[2:3]
; %bb.44:                               ;   in Loop: Header=BB77_10 Depth=3
	s_wait_alu 0xfffe
	s_or_saveexec_b32 s7, s6
	v_add_co_u32 v2, s6, v36, s28
	s_wait_alu 0xf1ff
	v_add_co_ci_u32_e64 v3, null, s29, v37, s6
	s_wait_alu 0xfffe
	s_xor_b32 exec_lo, exec_lo, s7
	s_cbranch_execz .LBB77_46
; %bb.45:                               ;   in Loop: Header=BB77_10 Depth=3
	global_load_b64 v[58:59], v[2:3], off offset:-128
	s_wait_loadcnt 0x0
	ds_store_b64 v44, v[58:59]
.LBB77_46:                              ;   in Loop: Header=BB77_10 Depth=3
	s_or_b32 exec_lo, exec_lo, s7
	v_cmp_gt_i64_e64 s6, s[22:23], v[0:1]
	s_and_b32 s7, vcc_lo, s6
	s_wait_alu 0xfffe
	s_xor_b32 s7, s7, -1
	s_wait_alu 0xfffe
	s_and_saveexec_b32 s8, s7
	s_wait_alu 0xfffe
	s_xor_b32 s7, exec_lo, s8
; %bb.47:                               ;   in Loop: Header=BB77_10 Depth=3
	v_dual_mov_b32 v0, v27 :: v_dual_mov_b32 v1, v27
                                        ; implicit-def: $vgpr2_vgpr3
	ds_store_b64 v44, v[0:1] offset:128
; %bb.48:                               ;   in Loop: Header=BB77_10 Depth=3
	s_wait_alu 0xfffe
	s_and_not1_saveexec_b32 s7, s7
	s_cbranch_execz .LBB77_50
; %bb.49:                               ;   in Loop: Header=BB77_10 Depth=3
	global_load_b64 v[0:1], v[2:3], off
	s_wait_loadcnt 0x0
	ds_store_b64 v44, v[0:1] offset:128
.LBB77_50:                              ;   in Loop: Header=BB77_10 Depth=3
	s_wait_alu 0xfffe
	s_or_b32 exec_lo, exec_lo, s7
	s_and_b32 s5, s4, s5
	s_wait_alu 0xfffe
	s_xor_b32 s5, s5, -1
	s_wait_alu 0xfffe
	s_and_saveexec_b32 s7, s5
	s_wait_alu 0xfffe
	s_xor_b32 s5, exec_lo, s7
; %bb.51:                               ;   in Loop: Header=BB77_10 Depth=3
	v_dual_mov_b32 v0, v27 :: v_dual_mov_b32 v1, v27
	ds_store_b64 v44, v[0:1] offset:4096
; %bb.52:                               ;   in Loop: Header=BB77_10 Depth=3
	s_wait_alu 0xfffe
	s_or_saveexec_b32 s7, s5
	v_add_co_u32 v0, s5, v38, s28
	s_wait_alu 0xf1ff
	v_add_co_ci_u32_e64 v1, null, s29, v39, s5
	s_wait_alu 0xfffe
	s_xor_b32 exec_lo, exec_lo, s7
	s_cbranch_execz .LBB77_54
; %bb.53:                               ;   in Loop: Header=BB77_10 Depth=3
	global_load_b64 v[2:3], v[0:1], off offset:-128
	s_wait_loadcnt 0x0
	ds_store_b64 v44, v[2:3] offset:4096
.LBB77_54:                              ;   in Loop: Header=BB77_10 Depth=3
	s_or_b32 exec_lo, exec_lo, s7
	s_and_b32 s5, s4, s6
	s_wait_alu 0xfffe
	s_xor_b32 s5, s5, -1
	s_wait_alu 0xfffe
	s_and_saveexec_b32 s6, s5
	s_wait_alu 0xfffe
	s_xor_b32 s5, exec_lo, s6
; %bb.55:                               ;   in Loop: Header=BB77_10 Depth=3
	v_dual_mov_b32 v0, v27 :: v_dual_mov_b32 v1, v27
	ds_store_b64 v44, v[0:1] offset:4224
                                        ; implicit-def: $vgpr0_vgpr1
; %bb.56:                               ;   in Loop: Header=BB77_10 Depth=3
	s_wait_alu 0xfffe
	s_and_not1_saveexec_b32 s5, s5
	s_cbranch_execz .LBB77_9
; %bb.57:                               ;   in Loop: Header=BB77_10 Depth=3
	global_load_b64 v[0:1], v[0:1], off
	s_wait_loadcnt 0x0
	ds_store_b64 v44, v[0:1] offset:4224
	s_branch .LBB77_9
.LBB77_58:                              ;   in Loop: Header=BB77_7 Depth=2
	v_dual_mov_b32 v56, 0 :: v_dual_mov_b32 v57, 0
	v_dual_mov_b32 v54, 0 :: v_dual_mov_b32 v55, 0
	;; [unrolled: 1-line block ×3, first 2 shown]
	v_mov_b32_e32 v51, 0
	v_mov_b32_e32 v35, 0
.LBB77_59:                              ;   in Loop: Header=BB77_7 Depth=2
	v_mul_lo_u32 v2, s25, v49
	v_mul_lo_u32 v3, s24, v50
	v_mad_co_u64_u32 v[0:1], null, s24, v49, 0
	v_cmp_gt_i32_e32 vcc_lo, s30, v49
	s_delay_alu instid0(VALU_DEP_2) | instskip(NEXT) | instid1(VALU_DEP_1)
	v_add3_u32 v1, v1, v3, v2
	v_lshlrev_b64_e32 v[0:1], 3, v[0:1]
	s_delay_alu instid0(VALU_DEP_1) | instskip(SKIP_1) | instid1(VALU_DEP_2)
	v_add_co_u32 v0, s4, s18, v0
	s_wait_alu 0xf1ff
	v_add_co_ci_u32_e64 v1, null, s19, v1, s4
	s_and_b32 s4, s1, vcc_lo
	s_wait_alu 0xfffe
	s_and_saveexec_b32 s5, s4
	s_cbranch_execz .LBB77_61
; %bb.60:                               ;   in Loop: Header=BB77_7 Depth=2
	v_add_co_u32 v2, s4, v0, v14
	s_wait_alu 0xf1ff
	v_add_co_ci_u32_e64 v3, null, v1, v15, s4
	global_load_b64 v[36:37], v[2:3], off
	v_mul_f32_e32 v39, s36, v57
	s_delay_alu instid0(VALU_DEP_1) | instskip(NEXT) | instid1(VALU_DEP_1)
	v_dual_mul_f32 v38, s37, v57 :: v_dual_fmac_f32 v39, s37, v56
	v_fma_f32 v38, v56, s36, -v38
	s_wait_loadcnt 0x0
	s_delay_alu instid0(VALU_DEP_1)
	v_dual_add_f32 v36, v36, v38 :: v_dual_add_f32 v37, v39, v37
	global_store_b64 v[2:3], v[36:37], off
.LBB77_61:                              ;   in Loop: Header=BB77_7 Depth=2
	s_wait_alu 0xfffe
	s_or_b32 exec_lo, exec_lo, s5
	s_and_b32 s5, s2, vcc_lo
	s_wait_alu 0xfffe
	s_and_saveexec_b32 s4, s5
	s_cbranch_execz .LBB77_63
; %bb.62:                               ;   in Loop: Header=BB77_7 Depth=2
	v_lshlrev_b64_e32 v[2:3], 3, v[8:9]
	s_delay_alu instid0(VALU_DEP_1) | instskip(SKIP_1) | instid1(VALU_DEP_2)
	v_add_co_u32 v0, vcc_lo, v0, v2
	s_wait_alu 0xfffd
	v_add_co_ci_u32_e64 v1, null, v1, v3, vcc_lo
	global_load_b64 v[2:3], v[0:1], off
	v_mul_f32_e32 v37, s36, v55
	s_delay_alu instid0(VALU_DEP_1) | instskip(NEXT) | instid1(VALU_DEP_1)
	v_dual_mul_f32 v36, s37, v55 :: v_dual_fmac_f32 v37, s37, v54
	v_fma_f32 v36, v54, s36, -v36
	s_wait_loadcnt 0x0
	s_delay_alu instid0(VALU_DEP_1)
	v_dual_add_f32 v2, v2, v36 :: v_dual_add_f32 v3, v37, v3
	global_store_b64 v[0:1], v[2:3], off
.LBB77_63:                              ;   in Loop: Header=BB77_7 Depth=2
	s_wait_alu 0xfffe
	s_or_b32 exec_lo, exec_lo, s4
	v_add_nc_u32_e32 v2, 16, v49
	s_delay_alu instid0(VALU_DEP_1) | instskip(SKIP_3) | instid1(VALU_DEP_4)
	v_ashrrev_i32_e32 v3, 31, v2
	v_mul_lo_u32 v36, s25, v2
	v_mad_co_u64_u32 v[0:1], null, s24, v2, 0
	v_cmp_gt_i32_e32 vcc_lo, s30, v2
	v_mul_lo_u32 v3, s24, v3
	s_delay_alu instid0(VALU_DEP_1) | instskip(NEXT) | instid1(VALU_DEP_1)
	v_add3_u32 v1, v1, v3, v36
	v_lshlrev_b64_e32 v[0:1], 3, v[0:1]
	s_delay_alu instid0(VALU_DEP_1) | instskip(SKIP_1) | instid1(VALU_DEP_2)
	v_add_co_u32 v0, s4, s18, v0
	s_wait_alu 0xf1ff
	v_add_co_ci_u32_e64 v1, null, s19, v1, s4
	s_and_b32 s4, s1, vcc_lo
	s_wait_alu 0xfffe
	s_and_saveexec_b32 s5, s4
	s_cbranch_execz .LBB77_65
; %bb.64:                               ;   in Loop: Header=BB77_7 Depth=2
	v_add_co_u32 v2, s4, v0, v14
	s_wait_alu 0xf1ff
	v_add_co_ci_u32_e64 v3, null, v1, v15, s4
	global_load_b64 v[36:37], v[2:3], off
	v_mul_f32_e32 v39, s36, v52
	s_delay_alu instid0(VALU_DEP_1) | instskip(NEXT) | instid1(VALU_DEP_1)
	v_dual_mul_f32 v38, s37, v52 :: v_dual_fmac_f32 v39, s37, v53
	v_fma_f32 v38, v53, s36, -v38
	s_wait_loadcnt 0x0
	s_delay_alu instid0(VALU_DEP_1)
	v_dual_add_f32 v36, v36, v38 :: v_dual_add_f32 v37, v39, v37
	global_store_b64 v[2:3], v[36:37], off
.LBB77_65:                              ;   in Loop: Header=BB77_7 Depth=2
	s_wait_alu 0xfffe
	s_or_b32 exec_lo, exec_lo, s5
	s_and_b32 s5, s2, vcc_lo
	s_wait_alu 0xfffe
	s_and_saveexec_b32 s4, s5
	s_cbranch_execz .LBB77_6
; %bb.66:                               ;   in Loop: Header=BB77_7 Depth=2
	v_lshlrev_b64_e32 v[2:3], 3, v[8:9]
	v_mul_f32_e32 v36, s37, v35
	s_delay_alu instid0(VALU_DEP_1) | instskip(NEXT) | instid1(VALU_DEP_3)
	v_fma_f32 v36, v51, s36, -v36
	v_add_co_u32 v0, vcc_lo, v0, v2
	s_wait_alu 0xfffd
	s_delay_alu instid0(VALU_DEP_4) | instskip(SKIP_3) | instid1(VALU_DEP_1)
	v_add_co_ci_u32_e64 v1, null, v1, v3, vcc_lo
	global_load_b64 v[2:3], v[0:1], off
	s_wait_loadcnt 0x0
	v_dual_mul_f32 v35, s36, v35 :: v_dual_add_f32 v2, v2, v36
	v_fmac_f32_e32 v35, s37, v51
	s_delay_alu instid0(VALU_DEP_1)
	v_add_f32_e32 v3, v35, v3
	global_store_b64 v[0:1], v[2:3], off
	s_branch .LBB77_6
.LBB77_67:
	s_endpgm
	.section	.rodata,"a",@progbits
	.p2align	6, 0x0
	.amdhsa_kernel _ZL30rocblas_trmm_outofplace_kernelI19rocblas_complex_numIfELi32ELi2ELb1ELb0ELb1ELb0ES1_KS1_S1_Ev17rocblas_diagonal_iiT6_lPT7_lllS6_lllPT8_llli
		.amdhsa_group_segment_fixed_size 16384
		.amdhsa_private_segment_fixed_size 0
		.amdhsa_kernarg_size 392
		.amdhsa_user_sgpr_count 2
		.amdhsa_user_sgpr_dispatch_ptr 0
		.amdhsa_user_sgpr_queue_ptr 0
		.amdhsa_user_sgpr_kernarg_segment_ptr 1
		.amdhsa_user_sgpr_dispatch_id 0
		.amdhsa_user_sgpr_private_segment_size 0
		.amdhsa_wavefront_size32 1
		.amdhsa_uses_dynamic_stack 0
		.amdhsa_enable_private_segment 0
		.amdhsa_system_sgpr_workgroup_id_x 1
		.amdhsa_system_sgpr_workgroup_id_y 1
		.amdhsa_system_sgpr_workgroup_id_z 1
		.amdhsa_system_sgpr_workgroup_info 0
		.amdhsa_system_vgpr_workitem_id 1
		.amdhsa_next_free_vgpr 92
		.amdhsa_next_free_sgpr 56
		.amdhsa_reserve_vcc 1
		.amdhsa_float_round_mode_32 0
		.amdhsa_float_round_mode_16_64 0
		.amdhsa_float_denorm_mode_32 3
		.amdhsa_float_denorm_mode_16_64 3
		.amdhsa_fp16_overflow 0
		.amdhsa_workgroup_processor_mode 1
		.amdhsa_memory_ordered 1
		.amdhsa_forward_progress 1
		.amdhsa_inst_pref_size 61
		.amdhsa_round_robin_scheduling 0
		.amdhsa_exception_fp_ieee_invalid_op 0
		.amdhsa_exception_fp_denorm_src 0
		.amdhsa_exception_fp_ieee_div_zero 0
		.amdhsa_exception_fp_ieee_overflow 0
		.amdhsa_exception_fp_ieee_underflow 0
		.amdhsa_exception_fp_ieee_inexact 0
		.amdhsa_exception_int_div_zero 0
	.end_amdhsa_kernel
	.section	.text._ZL30rocblas_trmm_outofplace_kernelI19rocblas_complex_numIfELi32ELi2ELb1ELb0ELb1ELb0ES1_KS1_S1_Ev17rocblas_diagonal_iiT6_lPT7_lllS6_lllPT8_llli,"axG",@progbits,_ZL30rocblas_trmm_outofplace_kernelI19rocblas_complex_numIfELi32ELi2ELb1ELb0ELb1ELb0ES1_KS1_S1_Ev17rocblas_diagonal_iiT6_lPT7_lllS6_lllPT8_llli,comdat
.Lfunc_end77:
	.size	_ZL30rocblas_trmm_outofplace_kernelI19rocblas_complex_numIfELi32ELi2ELb1ELb0ELb1ELb0ES1_KS1_S1_Ev17rocblas_diagonal_iiT6_lPT7_lllS6_lllPT8_llli, .Lfunc_end77-_ZL30rocblas_trmm_outofplace_kernelI19rocblas_complex_numIfELi32ELi2ELb1ELb0ELb1ELb0ES1_KS1_S1_Ev17rocblas_diagonal_iiT6_lPT7_lllS6_lllPT8_llli
                                        ; -- End function
	.set _ZL30rocblas_trmm_outofplace_kernelI19rocblas_complex_numIfELi32ELi2ELb1ELb0ELb1ELb0ES1_KS1_S1_Ev17rocblas_diagonal_iiT6_lPT7_lllS6_lllPT8_llli.num_vgpr, 92
	.set _ZL30rocblas_trmm_outofplace_kernelI19rocblas_complex_numIfELi32ELi2ELb1ELb0ELb1ELb0ES1_KS1_S1_Ev17rocblas_diagonal_iiT6_lPT7_lllS6_lllPT8_llli.num_agpr, 0
	.set _ZL30rocblas_trmm_outofplace_kernelI19rocblas_complex_numIfELi32ELi2ELb1ELb0ELb1ELb0ES1_KS1_S1_Ev17rocblas_diagonal_iiT6_lPT7_lllS6_lllPT8_llli.numbered_sgpr, 56
	.set _ZL30rocblas_trmm_outofplace_kernelI19rocblas_complex_numIfELi32ELi2ELb1ELb0ELb1ELb0ES1_KS1_S1_Ev17rocblas_diagonal_iiT6_lPT7_lllS6_lllPT8_llli.num_named_barrier, 0
	.set _ZL30rocblas_trmm_outofplace_kernelI19rocblas_complex_numIfELi32ELi2ELb1ELb0ELb1ELb0ES1_KS1_S1_Ev17rocblas_diagonal_iiT6_lPT7_lllS6_lllPT8_llli.private_seg_size, 0
	.set _ZL30rocblas_trmm_outofplace_kernelI19rocblas_complex_numIfELi32ELi2ELb1ELb0ELb1ELb0ES1_KS1_S1_Ev17rocblas_diagonal_iiT6_lPT7_lllS6_lllPT8_llli.uses_vcc, 1
	.set _ZL30rocblas_trmm_outofplace_kernelI19rocblas_complex_numIfELi32ELi2ELb1ELb0ELb1ELb0ES1_KS1_S1_Ev17rocblas_diagonal_iiT6_lPT7_lllS6_lllPT8_llli.uses_flat_scratch, 0
	.set _ZL30rocblas_trmm_outofplace_kernelI19rocblas_complex_numIfELi32ELi2ELb1ELb0ELb1ELb0ES1_KS1_S1_Ev17rocblas_diagonal_iiT6_lPT7_lllS6_lllPT8_llli.has_dyn_sized_stack, 0
	.set _ZL30rocblas_trmm_outofplace_kernelI19rocblas_complex_numIfELi32ELi2ELb1ELb0ELb1ELb0ES1_KS1_S1_Ev17rocblas_diagonal_iiT6_lPT7_lllS6_lllPT8_llli.has_recursion, 0
	.set _ZL30rocblas_trmm_outofplace_kernelI19rocblas_complex_numIfELi32ELi2ELb1ELb0ELb1ELb0ES1_KS1_S1_Ev17rocblas_diagonal_iiT6_lPT7_lllS6_lllPT8_llli.has_indirect_call, 0
	.section	.AMDGPU.csdata,"",@progbits
; Kernel info:
; codeLenInByte = 7788
; TotalNumSgprs: 58
; NumVgprs: 92
; ScratchSize: 0
; MemoryBound: 1
; FloatMode: 240
; IeeeMode: 1
; LDSByteSize: 16384 bytes/workgroup (compile time only)
; SGPRBlocks: 0
; VGPRBlocks: 11
; NumSGPRsForWavesPerEU: 58
; NumVGPRsForWavesPerEU: 92
; Occupancy: 16
; WaveLimiterHint : 0
; COMPUTE_PGM_RSRC2:SCRATCH_EN: 0
; COMPUTE_PGM_RSRC2:USER_SGPR: 2
; COMPUTE_PGM_RSRC2:TRAP_HANDLER: 0
; COMPUTE_PGM_RSRC2:TGID_X_EN: 1
; COMPUTE_PGM_RSRC2:TGID_Y_EN: 1
; COMPUTE_PGM_RSRC2:TGID_Z_EN: 1
; COMPUTE_PGM_RSRC2:TIDIG_COMP_CNT: 1
	.section	.text._ZL30rocblas_trmm_outofplace_kernelI19rocblas_complex_numIfELi32ELi2ELb1ELb1ELb1ELb0EPKS1_S2_S1_Ev17rocblas_diagonal_iiT6_lPT7_lllS7_lllPT8_llli,"axG",@progbits,_ZL30rocblas_trmm_outofplace_kernelI19rocblas_complex_numIfELi32ELi2ELb1ELb1ELb1ELb0EPKS1_S2_S1_Ev17rocblas_diagonal_iiT6_lPT7_lllS7_lllPT8_llli,comdat
	.globl	_ZL30rocblas_trmm_outofplace_kernelI19rocblas_complex_numIfELi32ELi2ELb1ELb1ELb1ELb0EPKS1_S2_S1_Ev17rocblas_diagonal_iiT6_lPT7_lllS7_lllPT8_llli ; -- Begin function _ZL30rocblas_trmm_outofplace_kernelI19rocblas_complex_numIfELi32ELi2ELb1ELb1ELb1ELb0EPKS1_S2_S1_Ev17rocblas_diagonal_iiT6_lPT7_lllS7_lllPT8_llli
	.p2align	8
	.type	_ZL30rocblas_trmm_outofplace_kernelI19rocblas_complex_numIfELi32ELi2ELb1ELb1ELb1ELb0EPKS1_S2_S1_Ev17rocblas_diagonal_iiT6_lPT7_lllS7_lllPT8_llli,@function
_ZL30rocblas_trmm_outofplace_kernelI19rocblas_complex_numIfELi32ELi2ELb1ELb1ELb1ELb0EPKS1_S2_S1_Ev17rocblas_diagonal_iiT6_lPT7_lllS7_lllPT8_llli: ; @_ZL30rocblas_trmm_outofplace_kernelI19rocblas_complex_numIfELi32ELi2ELb1ELb1ELb1ELb0EPKS1_S2_S1_Ev17rocblas_diagonal_iiT6_lPT7_lllS7_lllPT8_llli
; %bb.0:
	s_load_b32 s11, s[0:1], 0x80
	s_lshr_b32 s34, ttmp7, 16
	s_wait_kmcnt 0x0
	s_cmp_ge_u32 s34, s11
	s_cbranch_scc1 .LBB78_67
; %bb.1:
	s_clause 0x3
	s_load_b96 s[8:10], s[0:1], 0x0
	s_load_b256 s[36:43], s[0:1], 0x50
	s_load_b512 s[12:27], s[0:1], 0x10
	s_load_b128 s[28:31], s[0:1], 0x70
	s_add_nc_u64 s[44:45], s[0:1], 0x88
	s_and_b32 s33, ttmp7, 0xffff
	v_and_b32_e32 v41, 0x3ff, v0
	v_bfe_u32 v40, v0, 10, 10
	v_mov_b32_e32 v5, 0
	s_mov_b32 s35, 0
	s_delay_alu instid0(VALU_DEP_3) | instskip(NEXT) | instid1(VALU_DEP_3)
	v_lshlrev_b32_e32 v42, 3, v41
	v_lshlrev_b32_e32 v0, 8, v40
	v_lshl_add_u32 v46, s33, 5, v40
	s_delay_alu instid0(VALU_DEP_3) | instskip(NEXT) | instid1(VALU_DEP_3)
	v_add_nc_u32_e32 v47, 0x800, v42
	v_add_nc_u32_e32 v43, 0x2000, v0
	v_add_nc_u32_e32 v44, v42, v0
	v_add_nc_u32_e32 v48, 0x1000, v42
	s_wait_kmcnt 0x0
	s_add_co_i32 s2, s10, -1
	v_add_nc_u32_e32 v49, 0x1800, v42
	s_ashr_i32 s0, s2, 31
	v_add_nc_u32_e32 v45, v43, v42
	s_lshr_b32 s0, s0, 27
	s_mov_b32 s49, s10
	s_add_co_i32 s2, s2, s0
	s_lshl_b64 s[0:1], s[42:43], 3
	s_ashr_i32 s48, s2, 5
	s_mov_b32 s42, s9
	s_cmp_le_i32 s33, s48
	s_add_nc_u64 s[40:41], s[40:41], s[0:1]
	s_cselect_b32 s50, -1, 0
	s_lshl_b32 s51, ttmp9, 5
	s_cmp_gt_i32 ttmp9, -1
	v_add_nc_u32_e32 v6, s51, v41
	s_cselect_b32 s52, -1, 0
	s_cmp_eq_u32 s8, 0x84
	s_cselect_b32 s53, -1, 0
	s_delay_alu instid0(VALU_DEP_1) | instskip(SKIP_3) | instid1(VALU_DEP_4)
	v_ashrrev_i32_e32 v7, 31, v6
	v_add_co_u32 v8, vcc_lo, v6, 16
	v_mul_lo_u32 v22, s21, v6
	v_mad_co_u64_u32 v[2:3], null, s20, v6, 0
	v_add_co_ci_u32_e64 v9, null, 0, v7, vcc_lo
	v_sub_co_u32 v10, vcc_lo, v6, v40
	s_wait_alu 0xfffd
	v_subrev_co_ci_u32_e64 v11, null, 0, v7, vcc_lo
	v_lshlrev_b64_e32 v[14:15], 3, v[6:7]
	s_delay_alu instid0(VALU_DEP_3) | instskip(SKIP_1) | instid1(VALU_DEP_3)
	v_add_co_u32 v12, vcc_lo, v10, 16
	s_wait_alu 0xfffd
	v_add_co_ci_u32_e64 v13, null, 0, v11, vcc_lo
	v_add_co_u32 v16, vcc_lo, v10, -16
	v_mul_lo_u32 v19, s20, v7
	s_lshl_b64 s[4:5], s[26:27], 3
	s_wait_alu 0xfffd
	v_add_co_ci_u32_e64 v17, null, -1, v11, vcc_lo
	v_add_co_u32 v4, vcc_lo, 0x80, v14
	s_add_nc_u64 s[4:5], s[24:25], s[4:5]
	s_wait_alu 0xfffd
	v_add_co_ci_u32_e64 v18, null, 0, v15, vcc_lo
	v_add_co_u32 v23, s4, s4, v42
	s_wait_alu 0xf1ff
	v_add_co_ci_u32_e64 v24, null, s5, 0, s4
	s_lshl_b64 s[4:5], s[18:19], 3
	v_add3_u32 v3, v3, v19, v22
	v_mul_lo_u32 v25, s20, v18
	v_mul_lo_u32 v26, s21, v4
	s_wait_alu 0xfffe
	v_mad_co_u64_u32 v[20:21], null, s20, v4, s[4:5]
	v_lshlrev_b64_e32 v[2:3], 3, v[2:3]
	v_add_co_u32 v18, vcc_lo, 0x80, v23
	s_wait_alu 0xfffd
	v_add_co_ci_u32_e64 v19, null, 0, v24, vcc_lo
	v_add_nc_u32_e32 v0, 16, v6
	v_add3_u32 v4, v26, v21, v25
	v_lshlrev_b32_e32 v21, 3, v40
	v_add_co_u32 v2, vcc_lo, v2, s4
	s_wait_alu 0xfffd
	v_add_co_ci_u32_e64 v3, null, s5, v3, vcc_lo
	s_delay_alu instid0(VALU_DEP_3)
	v_add_co_u32 v20, vcc_lo, v20, v21
	s_wait_alu 0xfffd
	v_add_co_ci_u32_e64 v4, null, 0, v4, vcc_lo
	v_add_co_u32 v2, vcc_lo, v2, v21
	v_ashrrev_i32_e32 v1, 31, v0
	s_wait_alu 0xfffd
	v_add_co_ci_u32_e64 v3, null, 0, v3, vcc_lo
	v_add_co_u32 v20, vcc_lo, s16, v20
	s_ashr_i32 s43, s9, 31
	s_wait_alu 0xfffd
	v_add_co_ci_u32_e64 v21, null, s17, v4, vcc_lo
	v_add_co_u32 v22, vcc_lo, s16, v2
	v_cmp_le_i64_e64 s3, s[42:43], v[8:9]
	v_lshlrev_b64_e32 v[24:25], 3, v[0:1]
	v_cmp_le_i32_e64 s0, s9, v6
	v_cmp_gt_i32_e64 s1, s9, v6
	v_cmp_gt_i32_e64 s2, s9, v0
	s_wait_alu 0xfffd
	v_add_co_ci_u32_e64 v23, null, s17, v3, vcc_lo
	v_mov_b32_e32 v4, 1.0
	s_ashr_i32 s54, s10, 31
	s_add_nc_u64 s[46:47], s[42:43], -16
	s_lshl_b64 s[18:19], s[38:39], 3
	s_lshl_b64 s[16:17], s[36:37], 3
	;; [unrolled: 1-line block ×3, first 2 shown]
	s_branch .LBB78_4
.LBB78_2:                               ;   in Loop: Header=BB78_4 Depth=1
	s_add_co_i32 s34, s34, 0x10000
	s_wait_alu 0xfffe
	s_cmp_ge_u32 s34, s11
	s_cselect_b32 s4, -1, 0
.LBB78_3:                               ;   in Loop: Header=BB78_4 Depth=1
	s_wait_alu 0xfffe
	s_and_b32 vcc_lo, exec_lo, s4
	s_wait_alu 0xfffe
	s_cbranch_vccnz .LBB78_67
.LBB78_4:                               ; =>This Loop Header: Depth=1
                                        ;     Child Loop BB78_8 Depth 2
                                        ;       Child Loop BB78_11 Depth 3
	s_mul_u64 s[4:5], s[14:15], s[34:35]
	s_wait_alu 0xfffe
	s_lshl_b64 s[4:5], s[4:5], 3
	s_wait_alu 0xfffe
	s_add_nc_u64 s[4:5], s[12:13], s[4:5]
	global_load_b64 v[26:27], v5, s[4:5]
	s_mov_b32 s4, -1
	s_wait_loadcnt 0x0
	v_or_b32_e32 v0, v26, v27
	s_delay_alu instid0(VALU_DEP_1) | instskip(NEXT) | instid1(VALU_DEP_1)
	v_and_b32_e32 v0, 0x7fffffff, v0
	v_cmp_eq_u32_e32 vcc_lo, 0, v0
	s_cbranch_vccnz .LBB78_3
; %bb.5:                                ;   in Loop: Header=BB78_4 Depth=1
	s_and_not1_b32 vcc_lo, exec_lo, s50
	s_wait_alu 0xfffe
	s_cbranch_vccnz .LBB78_2
; %bb.6:                                ;   in Loop: Header=BB78_4 Depth=1
	v_mad_co_u64_u32 v[28:29], null, s18, s34, v[18:19]
	s_load_b32 s9, s[44:45], 0x4
	v_mad_co_u64_u32 v[30:31], null, s20, s34, v[20:21]
	s_mul_i32 s6, s21, s34
	v_mad_co_u64_u32 v[32:33], null, s20, s34, v[22:23]
	v_mov_b32_e32 v0, v29
	s_mul_u64 s[4:5], s[30:31], s[34:35]
	s_wait_alu 0xfffe
	v_dual_mov_b32 v34, v46 :: v_dual_add_nc_u32 v31, s6, v31
	s_lshl_b64 s[4:5], s[4:5], 3
	v_mad_co_u64_u32 v[0:1], null, s19, s34, v[0:1]
	s_delay_alu instid0(VALU_DEP_4) | instskip(SKIP_3) | instid1(VALU_DEP_2)
	v_add_nc_u32_e32 v33, s6, v33
	s_wait_alu 0xfffe
	s_add_nc_u64 s[22:23], s[40:41], s[4:5]
	s_mov_b32 s39, s33
	v_mov_b32_e32 v29, v0
	s_wait_kmcnt 0x0
	s_lshl_b32 s38, s9, 5
	s_branch .LBB78_8
.LBB78_7:                               ;   in Loop: Header=BB78_8 Depth=2
	s_wait_alu 0xfffe
	s_or_b32 exec_lo, exec_lo, s4
	v_add_nc_u32_e32 v34, s38, v34
	s_add_co_i32 s39, s9, s39
	s_wait_alu 0xfffe
	s_cmp_gt_i32 s39, s48
	s_cbranch_scc1 .LBB78_2
.LBB78_8:                               ;   Parent Loop BB78_4 Depth=1
                                        ; =>  This Loop Header: Depth=2
                                        ;       Child Loop BB78_11 Depth 3
	s_wait_alu 0xfffe
	v_lshl_add_u32 v50, s39, 5, v40
	v_dual_mov_b32 v57, 0 :: v_dual_mov_b32 v58, 0
	v_dual_mov_b32 v55, 0 :: v_dual_mov_b32 v56, 0
	s_delay_alu instid0(VALU_DEP_3)
	v_ashrrev_i32_e32 v51, 31, v50
	v_dual_mov_b32 v54, 0 :: v_dual_mov_b32 v53, 0
	v_dual_mov_b32 v52, 0 :: v_dual_mov_b32 v35, 0
	s_and_not1_b32 vcc_lo, exec_lo, s52
	s_wait_alu 0xfffe
	s_cbranch_vccnz .LBB78_59
; %bb.9:                                ;   in Loop: Header=BB78_8 Depth=2
	v_ashrrev_i32_e32 v35, 31, v34
	v_mad_co_u64_u32 v[36:37], null, s16, v34, v[28:29]
	v_mul_lo_u32 v2, s17, v34
	v_mov_b32_e32 v53, 0
	s_delay_alu instid0(VALU_DEP_4) | instskip(SKIP_3) | instid1(VALU_DEP_4)
	v_lshlrev_b64_e32 v[0:1], 3, v[34:35]
	v_mul_lo_u32 v54, s16, v35
	v_dual_mov_b32 v35, 0 :: v_dual_mov_b32 v52, 0
	v_dual_mov_b32 v58, 0 :: v_dual_mov_b32 v57, 0
	v_add_co_u32 v3, vcc_lo, 0x80, v0
	s_wait_alu 0xfffd
	v_add_co_ci_u32_e64 v38, null, 0, v1, vcc_lo
	v_sub_co_u32 v0, vcc_lo, s49, v50
	s_delay_alu instid0(VALU_DEP_3) | instskip(NEXT) | instid1(VALU_DEP_3)
	v_mul_lo_u32 v56, s37, v3
	v_mul_lo_u32 v55, s36, v38
	v_mad_co_u64_u32 v[38:39], null, s36, v3, v[28:29]
	s_wait_alu 0xfffd
	v_sub_co_ci_u32_e64 v1, null, s54, v51, vcc_lo
	v_add3_u32 v37, v2, v37, v54
	v_mov_b32_e32 v54, 0
	s_mov_b64 s[24:25], 0
	s_delay_alu instid0(VALU_DEP_3)
	v_cmp_lt_i64_e64 s4, 16, v[0:1]
	v_add3_u32 v39, v56, v39, v55
	v_dual_mov_b32 v56, 0 :: v_dual_mov_b32 v55, 0
	s_mov_b64 s[26:27], 0
	v_cmp_lt_i64_e32 vcc_lo, 0, v[0:1]
	s_branch .LBB78_11
.LBB78_10:                              ;   in Loop: Header=BB78_11 Depth=3
	s_wait_alu 0xfffe
	s_or_b32 exec_lo, exec_lo, s5
	s_wait_dscnt 0x0
	s_barrier_signal -1
	s_barrier_wait -1
	global_inv scope:SCOPE_SE
	ds_load_b128 v[59:62], v43
	ds_load_2addr_b64 v[63:66], v42 offset1:16
	ds_load_b128 v[67:70], v43 offset:4096
	ds_load_b128 v[71:74], v43 offset:16
	;; [unrolled: 1-line block ×4, first 2 shown]
	ds_load_2addr_b64 v[79:82], v42 offset0:32 offset1:48
	ds_load_b128 v[83:86], v43 offset:4112
	s_add_nc_u64 s[26:27], s[26:27], 32
	s_add_nc_u64 s[24:25], s[24:25], 0x100
	s_wait_alu 0xfffe
	s_sub_co_i32 s5, s26, 32
	s_wait_alu 0xfffe
	s_cmp_ge_i32 s5, s51
	s_wait_dscnt 0x6
	v_dual_mul_f32 v87, v60, v64 :: v_dual_mul_f32 v90, v59, v66
	v_dual_mul_f32 v88, v59, v64 :: v_dual_mul_f32 v89, v60, v66
	s_wait_dscnt 0x5
	v_mul_f32_e32 v91, v68, v64
	s_delay_alu instid0(VALU_DEP_3)
	v_fma_f32 v87, v59, v63, -v87
	v_mul_f32_e32 v64, v67, v64
	v_fmac_f32_e32 v88, v60, v63
	v_fma_f32 v59, v59, v65, -v89
	v_mul_f32_e32 v92, v68, v66
	v_mul_f32_e32 v66, v67, v66
	v_fmac_f32_e32 v90, v60, v65
	v_fma_f32 v60, v67, v63, -v91
	v_add_f32_e32 v57, v57, v87
	s_delay_alu instid0(VALU_DEP_4)
	v_dual_add_f32 v59, v55, v59 :: v_dual_fmac_f32 v66, v68, v65
	v_fmac_f32_e32 v64, v68, v63
	v_fma_f32 v63, v67, v65, -v92
	s_wait_dscnt 0x1
	v_mul_f32_e32 v67, v62, v80
	v_mul_f32_e32 v65, v61, v80
	v_add_f32_e32 v58, v58, v88
	v_add_f32_e32 v56, v56, v90
	;; [unrolled: 1-line block ×3, first 2 shown]
	v_fma_f32 v67, v61, v79, -v67
	v_dual_add_f32 v60, v54, v60 :: v_dual_add_f32 v35, v35, v66
	v_dual_fmac_f32 v65, v62, v79 :: v_dual_add_f32 v64, v53, v64
	ds_load_2addr_b64 v[52:55], v42 offset0:64 offset1:80
	v_mul_f32_e32 v68, v62, v82
	v_mul_f32_e32 v66, v61, v82
	v_add_f32_e32 v67, v57, v67
	v_dual_add_f32 v65, v58, v65 :: v_dual_mul_f32 v58, v69, v80
	s_delay_alu instid0(VALU_DEP_4) | instskip(SKIP_2) | instid1(VALU_DEP_3)
	v_fma_f32 v57, v61, v81, -v68
	v_mul_f32_e32 v61, v70, v80
	v_fmac_f32_e32 v66, v62, v81
	v_add_f32_e32 v62, v59, v57
	s_delay_alu instid0(VALU_DEP_3) | instskip(SKIP_1) | instid1(VALU_DEP_4)
	v_fma_f32 v57, v69, v79, -v61
	v_mul_f32_e32 v59, v70, v82
	v_add_f32_e32 v61, v56, v66
	v_mul_f32_e32 v66, v69, v82
	s_delay_alu instid0(VALU_DEP_3) | instskip(SKIP_2) | instid1(VALU_DEP_2)
	v_fma_f32 v56, v69, v81, -v59
	s_wait_dscnt 0x0
	v_mul_f32_e32 v68, v71, v53
	v_add_f32_e32 v63, v63, v56
	s_delay_alu instid0(VALU_DEP_2) | instskip(SKIP_2) | instid1(VALU_DEP_3)
	v_fmac_f32_e32 v68, v72, v52
	v_add_f32_e32 v60, v60, v57
	v_mul_f32_e32 v57, v72, v53
	v_dual_add_f32 v65, v65, v68 :: v_dual_mul_f32 v68, v84, v53
	s_delay_alu instid0(VALU_DEP_2) | instskip(SKIP_2) | instid1(VALU_DEP_2)
	v_fma_f32 v69, v71, v52, -v57
	v_mul_f32_e32 v53, v83, v53
	v_fmac_f32_e32 v66, v70, v81
	v_dual_fmac_f32 v58, v70, v79 :: v_dual_fmac_f32 v53, v84, v52
	s_delay_alu instid0(VALU_DEP_2) | instskip(SKIP_2) | instid1(VALU_DEP_1)
	v_add_f32_e32 v35, v35, v66
	v_add_f32_e32 v66, v67, v69
	v_mul_f32_e32 v67, v71, v55
	v_fmac_f32_e32 v67, v72, v54
	v_add_f32_e32 v64, v64, v58
	ds_load_2addr_b64 v[56:59], v42 offset0:96 offset1:112
	v_mul_f32_e32 v70, v72, v55
	v_add_f32_e32 v61, v61, v67
	s_delay_alu instid0(VALU_DEP_2) | instskip(SKIP_1) | instid1(VALU_DEP_1)
	v_fma_f32 v69, v71, v54, -v70
	v_mul_f32_e32 v70, v83, v55
	v_fmac_f32_e32 v70, v84, v54
	s_delay_alu instid0(VALU_DEP_1) | instskip(SKIP_3) | instid1(VALU_DEP_2)
	v_add_f32_e32 v35, v35, v70
	v_fma_f32 v68, v83, v52, -v68
	v_dual_add_f32 v62, v62, v69 :: v_dual_mul_f32 v69, v84, v55
	s_wait_dscnt 0x0
	v_dual_add_f32 v67, v60, v68 :: v_dual_mul_f32 v60, v74, v57
	s_delay_alu instid0(VALU_DEP_2) | instskip(SKIP_1) | instid1(VALU_DEP_3)
	v_fma_f32 v52, v83, v54, -v69
	v_mul_f32_e32 v69, v74, v59
	v_fma_f32 v60, v73, v56, -v60
	s_delay_alu instid0(VALU_DEP_3) | instskip(NEXT) | instid1(VALU_DEP_3)
	v_dual_add_f32 v68, v63, v52 :: v_dual_mul_f32 v63, v73, v57
	v_fma_f32 v69, v73, v58, -v69
	s_delay_alu instid0(VALU_DEP_3) | instskip(SKIP_1) | instid1(VALU_DEP_4)
	v_add_f32_e32 v66, v66, v60
	v_mul_f32_e32 v60, v86, v57
	v_dual_fmac_f32 v63, v74, v56 :: v_dual_add_f32 v64, v64, v53
	ds_load_2addr_b64 v[52:55], v42 offset0:128 offset1:144
	v_mul_f32_e32 v57, v85, v57
	v_mul_f32_e32 v70, v73, v59
	v_fma_f32 v71, v85, v56, -v60
	v_mul_f32_e32 v72, v86, v59
	v_add_f32_e32 v65, v65, v63
	v_fmac_f32_e32 v57, v86, v56
	s_delay_alu instid0(VALU_DEP_4) | instskip(SKIP_3) | instid1(VALU_DEP_3)
	v_dual_fmac_f32 v70, v74, v58 :: v_dual_add_f32 v71, v67, v71
	v_mul_f32_e32 v67, v85, v59
	v_add_f32_e32 v69, v62, v69
	v_fma_f32 v56, v85, v58, -v72
	v_dual_add_f32 v72, v64, v57 :: v_dual_fmac_f32 v67, v86, v58
	s_delay_alu instid0(VALU_DEP_1) | instskip(SKIP_4) | instid1(VALU_DEP_3)
	v_dual_add_f32 v68, v68, v56 :: v_dual_add_f32 v35, v35, v67
	s_wait_dscnt 0x0
	v_mul_f32_e32 v59, v76, v53
	v_mul_f32_e32 v79, v75, v55
	;; [unrolled: 1-line block ×3, first 2 shown]
	v_fma_f32 v73, v75, v52, -v59
	v_add_f32_e32 v70, v61, v70
	ds_load_b128 v[60:63], v43 offset:4128
	ds_load_2addr_b64 v[56:59], v42 offset0:160 offset1:176
	v_mul_f32_e32 v74, v76, v55
	v_fmac_f32_e32 v79, v76, v54
	v_add_f32_e32 v73, v66, v73
	s_delay_alu instid0(VALU_DEP_3) | instskip(NEXT) | instid1(VALU_DEP_1)
	v_fma_f32 v74, v75, v54, -v74
	v_dual_fmac_f32 v64, v76, v52 :: v_dual_add_f32 v69, v69, v74
	s_delay_alu instid0(VALU_DEP_1)
	v_add_f32_e32 v80, v65, v64
	ds_load_b128 v[64:67], v43 offset:4144
	s_wait_dscnt 0x2
	v_mul_f32_e32 v75, v61, v53
	v_dual_mul_f32 v53, v60, v53 :: v_dual_mul_f32 v74, v61, v55
	s_wait_dscnt 0x1
	v_dual_mul_f32 v76, v60, v55 :: v_dual_mul_f32 v55, v78, v57
	s_delay_alu instid0(VALU_DEP_3) | instskip(NEXT) | instid1(VALU_DEP_3)
	v_fma_f32 v75, v60, v52, -v75
	v_fmac_f32_e32 v53, v61, v52
	v_fma_f32 v52, v60, v54, -v74
	v_add_f32_e32 v70, v70, v79
	s_delay_alu instid0(VALU_DEP_3)
	v_dual_add_f32 v60, v71, v75 :: v_dual_add_f32 v71, v72, v53
	v_fma_f32 v72, v77, v56, -v55
	v_dual_mul_f32 v75, v63, v57 :: v_dual_fmac_f32 v76, v61, v54
	v_dual_add_f32 v61, v68, v52 :: v_dual_mul_f32 v68, v77, v57
	ds_load_2addr_b64 v[52:55], v42 offset0:192 offset1:208
	v_add_f32_e32 v72, v73, v72
	v_mul_f32_e32 v73, v77, v59
	v_mul_f32_e32 v57, v62, v57
	v_dual_mul_f32 v74, v78, v59 :: v_dual_add_f32 v35, v35, v76
	v_fmac_f32_e32 v68, v78, v56
	s_delay_alu instid0(VALU_DEP_4) | instskip(NEXT) | instid1(VALU_DEP_4)
	v_fmac_f32_e32 v73, v78, v58
	v_fmac_f32_e32 v57, v63, v56
	s_delay_alu instid0(VALU_DEP_4) | instskip(NEXT) | instid1(VALU_DEP_4)
	v_fma_f32 v74, v77, v58, -v74
	v_add_f32_e32 v68, v80, v68
	s_delay_alu instid0(VALU_DEP_4) | instskip(NEXT) | instid1(VALU_DEP_4)
	v_add_f32_e32 v70, v70, v73
	v_add_f32_e32 v71, v71, v57
	s_delay_alu instid0(VALU_DEP_4) | instskip(SKIP_2) | instid1(VALU_DEP_2)
	v_add_f32_e32 v69, v69, v74
	v_fma_f32 v74, v62, v56, -v75
	v_mul_f32_e32 v56, v63, v59
	v_dual_mul_f32 v73, v62, v59 :: v_dual_add_f32 v60, v60, v74
	s_wait_dscnt 0x0
	v_dual_mul_f32 v74, v1, v53 :: v_dual_mul_f32 v75, v0, v55
	s_delay_alu instid0(VALU_DEP_2)
	v_fmac_f32_e32 v73, v63, v58
	v_mul_f32_e32 v63, v0, v53
	v_fma_f32 v62, v62, v58, -v56
	ds_load_2addr_b64 v[56:59], v42 offset0:224 offset1:240
	v_fmac_f32_e32 v75, v1, v54
	v_fmac_f32_e32 v63, v1, v52
	v_add_f32_e32 v61, v61, v62
	v_fma_f32 v62, v0, v52, -v74
	v_mul_f32_e32 v74, v1, v55
	v_mul_f32_e32 v1, v65, v53
	v_mul_f32_e32 v53, v64, v53
	s_delay_alu instid0(VALU_DEP_4) | instskip(NEXT) | instid1(VALU_DEP_4)
	v_add_f32_e32 v72, v72, v62
	v_fma_f32 v0, v0, v54, -v74
	v_dual_add_f32 v35, v35, v73 :: v_dual_mul_f32 v62, v65, v55
	s_delay_alu instid0(VALU_DEP_4) | instskip(NEXT) | instid1(VALU_DEP_3)
	v_dual_fmac_f32 v53, v65, v52 :: v_dual_add_f32 v68, v68, v63
	v_add_f32_e32 v0, v69, v0
	s_wait_dscnt 0x0
	v_mul_f32_e32 v74, v3, v59
	v_fma_f32 v1, v64, v52, -v1
	v_add_f32_e32 v69, v70, v75
	v_mul_f32_e32 v70, v64, v55
	v_fma_f32 v52, v64, v54, -v62
	v_mul_f32_e32 v55, v3, v57
	v_add_f32_e32 v64, v60, v1
	s_delay_alu instid0(VALU_DEP_4) | instskip(NEXT) | instid1(VALU_DEP_3)
	v_fmac_f32_e32 v70, v65, v54
	v_fma_f32 v1, v2, v56, -v55
	v_add_f32_e32 v65, v61, v52
	s_delay_alu instid0(VALU_DEP_3)
	v_dual_add_f32 v35, v35, v70 :: v_dual_mul_f32 v70, v2, v59
	v_add_f32_e32 v73, v71, v53
	v_mul_f32_e32 v71, v2, v57
	ds_load_b128 v[52:55], v43 offset:64
	ds_load_2addr_b64 v[60:63], v47 offset1:16
	v_add_f32_e32 v72, v72, v1
	v_fma_f32 v1, v2, v58, -v74
	v_mul_f32_e32 v2, v67, v57
	v_fmac_f32_e32 v70, v3, v58
	s_delay_alu instid0(VALU_DEP_1) | instskip(NEXT) | instid1(VALU_DEP_1)
	v_dual_fmac_f32 v71, v3, v56 :: v_dual_add_f32 v76, v69, v70
	v_add_f32_e32 v74, v68, v71
	s_delay_alu instid0(VALU_DEP_4) | instskip(SKIP_1) | instid1(VALU_DEP_2)
	v_fma_f32 v68, v66, v56, -v2
	v_mul_f32_e32 v71, v67, v59
	v_dual_add_f32 v77, v64, v68 :: v_dual_mul_f32 v64, v66, v59
	v_mul_f32_e32 v57, v66, v57
	s_wait_dscnt 0x0
	s_delay_alu instid0(VALU_DEP_2) | instskip(NEXT) | instid1(VALU_DEP_2)
	v_dual_mul_f32 v79, v52, v63 :: v_dual_fmac_f32 v64, v67, v58
	v_fmac_f32_e32 v57, v67, v56
	v_fma_f32 v56, v66, v58, -v71
	v_mul_f32_e32 v66, v52, v61
	v_add_f32_e32 v75, v0, v1
	ds_load_b128 v[0:3], v43 offset:4160
	ds_load_b128 v[68:71], v43 offset:80
	v_add_f32_e32 v78, v65, v56
	v_fmac_f32_e32 v66, v53, v60
	v_mul_f32_e32 v59, v53, v61
	v_mul_f32_e32 v67, v53, v63
	s_delay_alu instid0(VALU_DEP_3) | instskip(NEXT) | instid1(VALU_DEP_3)
	v_dual_add_f32 v35, v35, v64 :: v_dual_add_f32 v74, v74, v66
	v_fma_f32 v65, v52, v60, -v59
	s_delay_alu instid0(VALU_DEP_3) | instskip(NEXT) | instid1(VALU_DEP_2)
	v_fma_f32 v52, v52, v62, -v67
	v_add_f32_e32 v72, v72, v65
	s_delay_alu instid0(VALU_DEP_2)
	v_dual_add_f32 v73, v73, v57 :: v_dual_add_f32 v52, v75, v52
	ds_load_2addr_b64 v[56:59], v47 offset0:32 offset1:48
	v_fmac_f32_e32 v79, v53, v62
	ds_load_b128 v[64:67], v43 offset:4176
	s_wait_dscnt 0x3
	v_mul_f32_e32 v80, v1, v61
	v_mul_f32_e32 v53, v0, v61
	v_mul_f32_e32 v61, v1, v63
	v_add_f32_e32 v76, v76, v79
	v_mul_f32_e32 v79, v0, v63
	v_fma_f32 v75, v0, v60, -v80
	v_fmac_f32_e32 v53, v1, v60
	s_delay_alu instid0(VALU_DEP_3) | instskip(NEXT) | instid1(VALU_DEP_3)
	v_fmac_f32_e32 v79, v1, v62
	v_add_f32_e32 v75, v77, v75
	s_delay_alu instid0(VALU_DEP_3) | instskip(SKIP_2) | instid1(VALU_DEP_1)
	v_add_f32_e32 v53, v73, v53
	s_wait_dscnt 0x1
	v_mul_f32_e32 v60, v55, v57
	v_fma_f32 v1, v54, v56, -v60
	s_delay_alu instid0(VALU_DEP_1)
	v_add_f32_e32 v72, v72, v1
	v_fma_f32 v0, v0, v62, -v61
	ds_load_2addr_b64 v[60:63], v47 offset0:64 offset1:80
	v_mul_f32_e32 v77, v55, v59
	v_mul_f32_e32 v1, v54, v59
	v_add_f32_e32 v73, v78, v0
	v_mul_f32_e32 v0, v54, v57
	s_delay_alu instid0(VALU_DEP_4) | instskip(NEXT) | instid1(VALU_DEP_2)
	v_fma_f32 v54, v54, v58, -v77
	v_fmac_f32_e32 v0, v55, v56
	s_delay_alu instid0(VALU_DEP_2) | instskip(SKIP_1) | instid1(VALU_DEP_3)
	v_add_f32_e32 v52, v52, v54
	v_mul_f32_e32 v54, v3, v59
	v_dual_add_f32 v74, v74, v0 :: v_dual_mul_f32 v77, v3, v57
	v_mul_f32_e32 v57, v2, v57
	s_delay_alu instid0(VALU_DEP_3) | instskip(NEXT) | instid1(VALU_DEP_3)
	v_fma_f32 v54, v2, v58, -v54
	v_fma_f32 v0, v2, v56, -v77
	s_delay_alu instid0(VALU_DEP_3) | instskip(NEXT) | instid1(VALU_DEP_2)
	v_dual_fmac_f32 v57, v3, v56 :: v_dual_mul_f32 v56, v2, v59
	v_add_f32_e32 v59, v75, v0
	s_delay_alu instid0(VALU_DEP_2) | instskip(SKIP_1) | instid1(VALU_DEP_3)
	v_add_f32_e32 v53, v53, v57
	s_wait_dscnt 0x0
	v_dual_mul_f32 v57, v69, v61 :: v_dual_fmac_f32 v56, v3, v58
	v_dual_add_f32 v35, v35, v79 :: v_dual_add_f32 v54, v73, v54
	v_mul_f32_e32 v73, v69, v63
	s_delay_alu instid0(VALU_DEP_3) | instskip(SKIP_2) | instid1(VALU_DEP_3)
	v_fma_f32 v57, v68, v60, -v57
	v_dual_fmac_f32 v1, v55, v58 :: v_dual_mul_f32 v58, v68, v61
	v_mul_f32_e32 v75, v68, v63
	v_dual_add_f32 v35, v35, v56 :: v_dual_add_f32 v72, v72, v57
	v_fma_f32 v56, v68, v62, -v73
	s_delay_alu instid0(VALU_DEP_4) | instskip(NEXT) | instid1(VALU_DEP_1)
	v_fmac_f32_e32 v58, v69, v60
	v_dual_mul_f32 v57, v65, v61 :: v_dual_add_f32 v68, v74, v58
	v_mul_f32_e32 v58, v64, v61
	v_add_f32_e32 v55, v76, v1
	ds_load_2addr_b64 v[0:3], v47 offset0:96 offset1:112
	v_fmac_f32_e32 v75, v69, v62
	s_delay_alu instid0(VALU_DEP_1) | instskip(SKIP_2) | instid1(VALU_DEP_1)
	v_dual_fmac_f32 v58, v65, v60 :: v_dual_add_f32 v69, v55, v75
	v_fma_f32 v55, v64, v60, -v57
	v_mul_f32_e32 v60, v64, v63
	v_fmac_f32_e32 v60, v65, v62
	s_wait_dscnt 0x0
	s_delay_alu instid0(VALU_DEP_1) | instskip(SKIP_3) | instid1(VALU_DEP_4)
	v_dual_add_f32 v35, v35, v60 :: v_dual_mul_f32 v60, v70, v3
	v_dual_add_f32 v61, v52, v56 :: v_dual_mul_f32 v52, v65, v63
	v_mul_f32_e32 v56, v71, v1
	v_mul_f32_e32 v74, v71, v3
	v_dual_fmac_f32 v60, v71, v2 :: v_dual_mul_f32 v63, v70, v1
	s_delay_alu instid0(VALU_DEP_4) | instskip(NEXT) | instid1(VALU_DEP_4)
	v_fma_f32 v52, v64, v62, -v52
	v_fma_f32 v62, v70, v0, -v56
	s_delay_alu instid0(VALU_DEP_2) | instskip(NEXT) | instid1(VALU_DEP_2)
	v_dual_add_f32 v64, v59, v55 :: v_dual_add_f32 v65, v54, v52
	v_dual_add_f32 v72, v72, v62 :: v_dual_fmac_f32 v63, v71, v0
	v_add_f32_e32 v73, v53, v58
	ds_load_b128 v[52:55], v43 offset:96
	ds_load_2addr_b64 v[56:59], v47 offset0:128 offset1:144
	v_fma_f32 v62, v70, v2, -v74
	v_mul_f32_e32 v70, v67, v1
	v_add_f32_e32 v74, v68, v63
	s_delay_alu instid0(VALU_DEP_2) | instskip(NEXT) | instid1(VALU_DEP_1)
	v_fma_f32 v68, v66, v0, -v70
	v_dual_mul_f32 v70, v67, v3 :: v_dual_add_f32 v77, v64, v68
	v_mul_f32_e32 v64, v66, v3
	s_delay_alu instid0(VALU_DEP_1) | instskip(NEXT) | instid1(VALU_DEP_1)
	v_dual_mul_f32 v1, v66, v1 :: v_dual_fmac_f32 v64, v67, v2
	v_fmac_f32_e32 v1, v67, v0
	s_delay_alu instid0(VALU_DEP_4)
	v_fma_f32 v0, v66, v2, -v70
	s_wait_dscnt 0x0
	v_mul_f32_e32 v79, v52, v59
	v_mul_f32_e32 v66, v52, v57
	v_add_f32_e32 v76, v69, v60
	ds_load_b128 v[68:71], v43 offset:112
	v_add_f32_e32 v78, v65, v0
	v_fmac_f32_e32 v79, v53, v58
	v_add_f32_e32 v75, v61, v62
	ds_load_b128 v[60:63], v43 offset:4192
	v_fmac_f32_e32 v66, v53, v56
	v_mul_f32_e32 v67, v53, v59
	v_dual_add_f32 v76, v76, v79 :: v_dual_mul_f32 v3, v53, v57
	s_delay_alu instid0(VALU_DEP_1) | instskip(NEXT) | instid1(VALU_DEP_3)
	v_fma_f32 v65, v52, v56, -v3
	v_fma_f32 v52, v52, v58, -v67
	s_delay_alu instid0(VALU_DEP_2) | instskip(SKIP_1) | instid1(VALU_DEP_2)
	v_add_f32_e32 v72, v72, v65
	s_wait_dscnt 0x0
	v_dual_add_f32 v52, v75, v52 :: v_dual_mul_f32 v53, v60, v57
	v_dual_add_f32 v74, v74, v66 :: v_dual_add_f32 v73, v73, v1
	ds_load_2addr_b64 v[0:3], v47 offset0:160 offset1:176
	v_mul_f32_e32 v80, v61, v57
	v_mul_f32_e32 v57, v61, v59
	v_fmac_f32_e32 v53, v61, v56
	v_mul_f32_e32 v79, v60, v59
	s_delay_alu instid0(VALU_DEP_4) | instskip(NEXT) | instid1(VALU_DEP_4)
	v_fma_f32 v75, v60, v56, -v80
	v_fma_f32 v56, v60, v58, -v57
	v_add_f32_e32 v35, v35, v64
	ds_load_b128 v[64:67], v43 offset:4208
	v_fmac_f32_e32 v79, v61, v58
	v_dual_add_f32 v60, v77, v75 :: v_dual_add_f32 v61, v78, v56
	s_wait_dscnt 0x1
	v_mul_f32_e32 v57, v55, v1
	s_delay_alu instid0(VALU_DEP_1)
	v_fma_f32 v75, v54, v0, -v57
	ds_load_2addr_b64 v[56:59], v47 offset0:192 offset1:208
	v_mul_f32_e32 v77, v55, v3
	v_dual_add_f32 v72, v72, v75 :: v_dual_add_f32 v53, v73, v53
	v_mul_f32_e32 v73, v54, v1
	v_mul_f32_e32 v75, v54, v3
	s_delay_alu instid0(VALU_DEP_4)
	v_fma_f32 v54, v54, v2, -v77
	v_mul_f32_e32 v77, v63, v1
	v_mul_f32_e32 v1, v62, v1
	v_fmac_f32_e32 v73, v55, v0
	v_fmac_f32_e32 v75, v55, v2
	v_add_f32_e32 v52, v52, v54
	v_fma_f32 v54, v62, v0, -v77
	v_fmac_f32_e32 v1, v63, v0
	v_dual_mul_f32 v0, v63, v3 :: v_dual_add_f32 v73, v74, v73
	v_mul_f32_e32 v74, v62, v3
	s_delay_alu instid0(VALU_DEP_4) | instskip(NEXT) | instid1(VALU_DEP_3)
	v_add_f32_e32 v54, v60, v54
	v_fma_f32 v60, v62, v2, -v0
	s_wait_dscnt 0x0
	v_mul_f32_e32 v62, v69, v57
	v_dual_fmac_f32 v74, v63, v2 :: v_dual_mul_f32 v63, v68, v57
	s_delay_alu instid0(VALU_DEP_3) | instskip(NEXT) | instid1(VALU_DEP_3)
	v_add_f32_e32 v60, v61, v60
	v_fma_f32 v61, v68, v56, -v62
	v_mul_f32_e32 v62, v69, v59
	s_delay_alu instid0(VALU_DEP_4) | instskip(NEXT) | instid1(VALU_DEP_2)
	v_fmac_f32_e32 v63, v69, v56
	v_fma_f32 v62, v68, v58, -v62
	s_delay_alu instid0(VALU_DEP_1) | instskip(SKIP_4) | instid1(VALU_DEP_2)
	v_dual_add_f32 v62, v52, v62 :: v_dual_add_f32 v53, v53, v1
	ds_load_2addr_b64 v[0:3], v47 offset0:224 offset1:240
	v_add_f32_e32 v55, v76, v75
	v_dual_mul_f32 v75, v68, v59 :: v_dual_mul_f32 v68, v65, v57
	v_dual_mul_f32 v57, v64, v57 :: v_dual_mul_f32 v52, v65, v59
	v_fmac_f32_e32 v75, v69, v58
	s_delay_alu instid0(VALU_DEP_2) | instskip(NEXT) | instid1(VALU_DEP_3)
	v_fmac_f32_e32 v57, v65, v56
	v_fma_f32 v52, v64, v58, -v52
	s_delay_alu instid0(VALU_DEP_3) | instskip(SKIP_3) | instid1(VALU_DEP_3)
	v_add_f32_e32 v69, v55, v75
	v_fma_f32 v55, v64, v56, -v68
	v_mul_f32_e32 v68, v64, v59
	v_add_f32_e32 v35, v35, v79
	v_add_f32_e32 v64, v54, v55
	s_delay_alu instid0(VALU_DEP_3) | instskip(SKIP_4) | instid1(VALU_DEP_3)
	v_fmac_f32_e32 v68, v65, v58
	s_wait_dscnt 0x0
	v_dual_mul_f32 v56, v71, v1 :: v_dual_add_f32 v65, v60, v52
	v_add_f32_e32 v61, v72, v61
	v_add_f32_e32 v72, v53, v57
	v_fma_f32 v60, v70, v0, -v56
	ds_load_b128 v[52:55], v43 offset:128
	ds_load_2addr_b64 v[56:59], v48 offset1:16
	v_add_f32_e32 v35, v35, v74
	v_dual_mul_f32 v74, v71, v3 :: v_dual_add_f32 v75, v61, v60
	v_mul_f32_e32 v61, v67, v1
	s_delay_alu instid0(VALU_DEP_3) | instskip(NEXT) | instid1(VALU_DEP_3)
	v_add_f32_e32 v35, v35, v68
	v_fma_f32 v60, v70, v2, -v74
	v_mul_f32_e32 v68, v70, v3
	s_delay_alu instid0(VALU_DEP_2) | instskip(SKIP_2) | instid1(VALU_DEP_4)
	v_dual_add_f32 v74, v62, v60 :: v_dual_add_f32 v63, v73, v63
	v_mul_f32_e32 v73, v70, v1
	v_fma_f32 v70, v66, v0, -v61
	v_dual_fmac_f32 v68, v71, v2 :: v_dual_mul_f32 v1, v66, v1
	s_delay_alu instid0(VALU_DEP_3) | instskip(SKIP_1) | instid1(VALU_DEP_4)
	v_fmac_f32_e32 v73, v71, v0
	v_mul_f32_e32 v71, v67, v3
	v_dual_add_f32 v77, v64, v70 :: v_dual_mul_f32 v64, v66, v3
	s_delay_alu instid0(VALU_DEP_4)
	v_fmac_f32_e32 v1, v67, v0
	s_wait_dscnt 0x0
	v_mul_f32_e32 v3, v53, v57
	v_fma_f32 v0, v66, v2, -v71
	v_mul_f32_e32 v66, v52, v57
	v_dual_fmac_f32 v64, v67, v2 :: v_dual_mul_f32 v67, v53, v59
	s_delay_alu instid0(VALU_DEP_3) | instskip(SKIP_2) | instid1(VALU_DEP_4)
	v_dual_mul_f32 v79, v52, v59 :: v_dual_add_f32 v78, v65, v0
	v_fma_f32 v65, v52, v56, -v3
	v_add_f32_e32 v72, v72, v1
	v_fma_f32 v52, v52, v58, -v67
	ds_load_2addr_b64 v[0:3], v48 offset0:32 offset1:48
	v_add_f32_e32 v76, v69, v68
	ds_load_b128 v[68:71], v43 offset:144
	v_fmac_f32_e32 v66, v53, v56
	v_dual_add_f32 v52, v74, v52 :: v_dual_add_f32 v73, v63, v73
	ds_load_b128 v[60:63], v43 offset:4224
	v_fmac_f32_e32 v79, v53, v58
	s_delay_alu instid0(VALU_DEP_1)
	v_add_f32_e32 v76, v76, v79
	s_wait_dscnt 0x0
	v_mul_f32_e32 v80, v61, v57
	v_mul_f32_e32 v53, v60, v57
	;; [unrolled: 1-line block ×4, first 2 shown]
	s_delay_alu instid0(VALU_DEP_4) | instskip(NEXT) | instid1(VALU_DEP_4)
	v_fma_f32 v74, v60, v56, -v80
	v_fmac_f32_e32 v53, v61, v56
	s_delay_alu instid0(VALU_DEP_4) | instskip(SKIP_3) | instid1(VALU_DEP_4)
	v_fma_f32 v56, v60, v58, -v57
	v_mul_f32_e32 v57, v55, v1
	v_fmac_f32_e32 v79, v61, v58
	v_dual_add_f32 v60, v77, v74 :: v_dual_mul_f32 v77, v55, v3
	v_add_f32_e32 v61, v78, v56
	s_delay_alu instid0(VALU_DEP_4) | instskip(SKIP_4) | instid1(VALU_DEP_3)
	v_fma_f32 v74, v54, v0, -v57
	ds_load_2addr_b64 v[56:59], v48 offset0:64 offset1:80
	v_add_f32_e32 v75, v75, v65
	v_add_f32_e32 v53, v72, v53
	v_mul_f32_e32 v72, v54, v1
	v_dual_add_f32 v74, v75, v74 :: v_dual_mul_f32 v75, v54, v3
	v_fma_f32 v54, v54, v2, -v77
	v_mul_f32_e32 v77, v63, v1
	s_delay_alu instid0(VALU_DEP_4) | instskip(NEXT) | instid1(VALU_DEP_4)
	v_dual_mul_f32 v1, v62, v1 :: v_dual_fmac_f32 v72, v55, v0
	v_fmac_f32_e32 v75, v55, v2
	s_delay_alu instid0(VALU_DEP_4) | instskip(NEXT) | instid1(VALU_DEP_4)
	v_add_f32_e32 v52, v52, v54
	v_fma_f32 v54, v62, v0, -v77
	s_delay_alu instid0(VALU_DEP_4) | instskip(SKIP_3) | instid1(VALU_DEP_4)
	v_fmac_f32_e32 v1, v63, v0
	v_mul_f32_e32 v0, v63, v3
	v_add_f32_e32 v35, v35, v64
	v_add_f32_e32 v55, v76, v75
	v_dual_add_f32 v54, v60, v54 :: v_dual_add_f32 v53, v53, v1
	s_delay_alu instid0(VALU_DEP_4) | instskip(SKIP_1) | instid1(VALU_DEP_1)
	v_fma_f32 v60, v62, v2, -v0
	s_wait_dscnt 0x0
	v_dual_mul_f32 v75, v68, v59 :: v_dual_add_f32 v60, v61, v60
	v_add_f32_e32 v73, v73, v66
	ds_load_b128 v[64:67], v43 offset:4240
	v_fmac_f32_e32 v75, v69, v58
	v_dual_add_f32 v72, v73, v72 :: v_dual_mul_f32 v73, v62, v3
	s_delay_alu instid0(VALU_DEP_1) | instskip(SKIP_3) | instid1(VALU_DEP_2)
	v_dual_mul_f32 v62, v69, v57 :: v_dual_fmac_f32 v73, v63, v2
	ds_load_2addr_b64 v[0:3], v48 offset0:96 offset1:112
	v_fma_f32 v61, v68, v56, -v62
	v_dual_mul_f32 v62, v69, v59 :: v_dual_mul_f32 v63, v68, v57
	v_add_f32_e32 v61, v74, v61
	s_delay_alu instid0(VALU_DEP_2) | instskip(NEXT) | instid1(VALU_DEP_3)
	v_fma_f32 v62, v68, v58, -v62
	v_fmac_f32_e32 v63, v69, v56
	s_wait_dscnt 0x1
	v_mul_f32_e32 v68, v65, v57
	v_mul_f32_e32 v57, v64, v57
	v_dual_add_f32 v69, v55, v75 :: v_dual_add_f32 v62, v52, v62
	v_mul_f32_e32 v52, v65, v59
	s_delay_alu instid0(VALU_DEP_4) | instskip(NEXT) | instid1(VALU_DEP_4)
	v_fma_f32 v55, v64, v56, -v68
	v_dual_fmac_f32 v57, v65, v56 :: v_dual_mul_f32 v68, v64, v59
	v_add_f32_e32 v63, v72, v63
	s_delay_alu instid0(VALU_DEP_4) | instskip(NEXT) | instid1(VALU_DEP_4)
	v_fma_f32 v52, v64, v58, -v52
	v_add_f32_e32 v64, v54, v55
	s_wait_dscnt 0x0
	v_mul_f32_e32 v56, v71, v1
	v_add_f32_e32 v72, v53, v57
	v_dual_fmac_f32 v68, v65, v58 :: v_dual_add_f32 v65, v60, v52
	v_mul_f32_e32 v74, v71, v3
	s_delay_alu instid0(VALU_DEP_4)
	v_fma_f32 v60, v70, v0, -v56
	ds_load_b128 v[52:55], v43 offset:160
	ds_load_2addr_b64 v[56:59], v48 offset0:128 offset1:144
	v_add_f32_e32 v35, v35, v79
	v_add_f32_e32 v75, v61, v60
	v_mul_f32_e32 v61, v67, v1
	s_delay_alu instid0(VALU_DEP_3) | instskip(SKIP_3) | instid1(VALU_DEP_4)
	v_add_f32_e32 v35, v35, v73
	v_mul_f32_e32 v73, v70, v1
	v_fma_f32 v60, v70, v2, -v74
	v_mul_f32_e32 v1, v66, v1
	v_dual_add_f32 v35, v35, v68 :: v_dual_mul_f32 v68, v70, v3
	s_delay_alu instid0(VALU_DEP_4)
	v_fmac_f32_e32 v73, v71, v0
	v_fma_f32 v70, v66, v0, -v61
	v_add_f32_e32 v74, v62, v60
	v_fmac_f32_e32 v1, v67, v0
	v_fmac_f32_e32 v68, v71, v2
	v_mul_f32_e32 v71, v67, v3
	v_add_f32_e32 v73, v63, v73
	ds_load_b128 v[60:63], v43 offset:4256
	v_dual_add_f32 v77, v64, v70 :: v_dual_mul_f32 v64, v66, v3
	v_fma_f32 v0, v66, v2, -v71
	s_wait_dscnt 0x1
	v_mul_f32_e32 v3, v53, v57
	v_add_f32_e32 v72, v72, v1
	v_mul_f32_e32 v66, v52, v57
	v_fmac_f32_e32 v64, v67, v2
	v_add_f32_e32 v78, v65, v0
	v_fma_f32 v65, v52, v56, -v3
	ds_load_2addr_b64 v[0:3], v48 offset0:160 offset1:176
	v_mul_f32_e32 v67, v53, v59
	v_dual_mul_f32 v79, v52, v59 :: v_dual_add_f32 v76, v69, v68
	ds_load_b128 v[68:71], v43 offset:176
	v_fmac_f32_e32 v66, v53, v56
	v_fma_f32 v52, v52, v58, -v67
	v_fmac_f32_e32 v79, v53, v58
	v_add_f32_e32 v75, v75, v65
	s_wait_dscnt 0x2
	v_dual_add_f32 v35, v35, v64 :: v_dual_mul_f32 v80, v61, v57
	v_mul_f32_e32 v53, v60, v57
	v_dual_mul_f32 v57, v61, v59 :: v_dual_add_f32 v52, v74, v52
	v_add_f32_e32 v76, v76, v79
	s_delay_alu instid0(VALU_DEP_4) | instskip(NEXT) | instid1(VALU_DEP_4)
	v_fma_f32 v74, v60, v56, -v80
	v_fmac_f32_e32 v53, v61, v56
	v_mul_f32_e32 v79, v60, v59
	v_fma_f32 v56, v60, v58, -v57
	v_add_f32_e32 v73, v73, v66
	s_wait_dscnt 0x1
	v_dual_mul_f32 v57, v55, v1 :: v_dual_add_f32 v60, v77, v74
	v_fmac_f32_e32 v79, v61, v58
	v_add_f32_e32 v61, v78, v56
	v_add_f32_e32 v53, v72, v53
	s_delay_alu instid0(VALU_DEP_4)
	v_fma_f32 v74, v54, v0, -v57
	ds_load_2addr_b64 v[56:59], v48 offset0:192 offset1:208
	v_dual_mul_f32 v72, v54, v1 :: v_dual_mul_f32 v77, v55, v3
	ds_load_b128 v[64:67], v43 offset:4272
	v_dual_add_f32 v74, v75, v74 :: v_dual_mul_f32 v75, v54, v3
	v_fmac_f32_e32 v72, v55, v0
	v_fma_f32 v54, v54, v2, -v77
	v_mul_f32_e32 v77, v63, v1
	v_mul_f32_e32 v1, v62, v1
	s_delay_alu instid0(VALU_DEP_4) | instskip(NEXT) | instid1(VALU_DEP_4)
	v_dual_fmac_f32 v75, v55, v2 :: v_dual_add_f32 v72, v73, v72
	v_add_f32_e32 v52, v52, v54
	s_delay_alu instid0(VALU_DEP_4) | instskip(NEXT) | instid1(VALU_DEP_4)
	v_fma_f32 v54, v62, v0, -v77
	v_fmac_f32_e32 v1, v63, v0
	v_mul_f32_e32 v0, v63, v3
	v_mul_f32_e32 v73, v62, v3
	v_add_f32_e32 v55, v76, v75
	s_delay_alu instid0(VALU_DEP_4) | instskip(NEXT) | instid1(VALU_DEP_4)
	v_dual_add_f32 v54, v60, v54 :: v_dual_add_f32 v53, v53, v1
	v_fma_f32 v60, v62, v2, -v0
	s_wait_dscnt 0x1
	v_dual_mul_f32 v62, v69, v57 :: v_dual_fmac_f32 v73, v63, v2
	ds_load_2addr_b64 v[0:3], v48 offset0:224 offset1:240
	v_dual_mul_f32 v75, v68, v59 :: v_dual_add_f32 v60, v61, v60
	v_fma_f32 v61, v68, v56, -v62
	v_dual_mul_f32 v62, v69, v59 :: v_dual_mul_f32 v63, v68, v57
	s_delay_alu instid0(VALU_DEP_3) | instskip(SKIP_1) | instid1(VALU_DEP_4)
	v_fmac_f32_e32 v75, v69, v58
	v_add_f32_e32 v35, v35, v79
	v_add_f32_e32 v61, v74, v61
	s_delay_alu instid0(VALU_DEP_4)
	v_fma_f32 v62, v68, v58, -v62
	s_wait_dscnt 0x1
	v_mul_f32_e32 v68, v65, v57
	v_mul_f32_e32 v57, v64, v57
	v_fmac_f32_e32 v63, v69, v56
	v_dual_add_f32 v69, v55, v75 :: v_dual_add_f32 v62, v52, v62
	v_mul_f32_e32 v52, v65, v59
	v_fma_f32 v55, v64, v56, -v68
	v_dual_fmac_f32 v57, v65, v56 :: v_dual_mul_f32 v68, v64, v59
	v_add_f32_e32 v63, v72, v63
	s_delay_alu instid0(VALU_DEP_4)
	v_fma_f32 v52, v64, v58, -v52
	s_wait_dscnt 0x0
	v_mul_f32_e32 v56, v71, v1
	v_add_f32_e32 v64, v54, v55
	v_add_f32_e32 v72, v53, v57
	v_dual_fmac_f32 v68, v65, v58 :: v_dual_add_f32 v65, v60, v52
	s_delay_alu instid0(VALU_DEP_4)
	v_fma_f32 v60, v70, v0, -v56
	ds_load_b128 v[52:55], v43 offset:192
	ds_load_2addr_b64 v[56:59], v49 offset1:16
	v_add_f32_e32 v35, v35, v73
	v_dual_mul_f32 v73, v70, v1 :: v_dual_mul_f32 v74, v71, v3
	v_add_f32_e32 v75, v61, v60
	v_mul_f32_e32 v61, v67, v1
	s_delay_alu instid0(VALU_DEP_4) | instskip(NEXT) | instid1(VALU_DEP_4)
	v_dual_add_f32 v35, v35, v68 :: v_dual_mul_f32 v68, v70, v3
	v_fmac_f32_e32 v73, v71, v0
	v_fma_f32 v60, v70, v2, -v74
	v_mul_f32_e32 v1, v66, v1
	v_fma_f32 v70, v66, v0, -v61
	v_fmac_f32_e32 v68, v71, v2
	v_mul_f32_e32 v71, v67, v3
	v_dual_add_f32 v73, v63, v73 :: v_dual_add_f32 v74, v62, v60
	v_fmac_f32_e32 v1, v67, v0
	ds_load_b128 v[60:63], v43 offset:4288
	v_add_f32_e32 v77, v64, v70
	v_fma_f32 v0, v66, v2, -v71
	s_wait_dscnt 0x1
	v_dual_mul_f32 v64, v66, v3 :: v_dual_mul_f32 v3, v53, v57
	v_add_f32_e32 v72, v72, v1
	v_mul_f32_e32 v66, v52, v57
	v_add_f32_e32 v78, v65, v0
	s_delay_alu instid0(VALU_DEP_4)
	v_fmac_f32_e32 v64, v67, v2
	v_fma_f32 v65, v52, v56, -v3
	ds_load_2addr_b64 v[0:3], v49 offset0:32 offset1:48
	v_mul_f32_e32 v67, v53, v59
	v_dual_mul_f32 v79, v52, v59 :: v_dual_add_f32 v76, v69, v68
	ds_load_b128 v[68:71], v43 offset:208
	v_fmac_f32_e32 v66, v53, v56
	v_fma_f32 v52, v52, v58, -v67
	v_fmac_f32_e32 v79, v53, v58
	v_add_f32_e32 v75, v75, v65
	s_wait_dscnt 0x2
	v_dual_add_f32 v35, v35, v64 :: v_dual_mul_f32 v80, v61, v57
	v_mul_f32_e32 v53, v60, v57
	v_dual_mul_f32 v57, v61, v59 :: v_dual_add_f32 v52, v74, v52
	v_add_f32_e32 v76, v76, v79
	s_delay_alu instid0(VALU_DEP_4) | instskip(NEXT) | instid1(VALU_DEP_4)
	v_fma_f32 v74, v60, v56, -v80
	v_fmac_f32_e32 v53, v61, v56
	v_mul_f32_e32 v79, v60, v59
	v_fma_f32 v56, v60, v58, -v57
	v_add_f32_e32 v73, v73, v66
	s_wait_dscnt 0x1
	v_dual_mul_f32 v57, v55, v1 :: v_dual_add_f32 v60, v77, v74
	v_fmac_f32_e32 v79, v61, v58
	v_add_f32_e32 v61, v78, v56
	v_add_f32_e32 v53, v72, v53
	s_delay_alu instid0(VALU_DEP_4)
	v_fma_f32 v74, v54, v0, -v57
	ds_load_2addr_b64 v[56:59], v49 offset0:64 offset1:80
	v_dual_mul_f32 v72, v54, v1 :: v_dual_mul_f32 v77, v55, v3
	ds_load_b128 v[64:67], v43 offset:4304
	v_dual_add_f32 v74, v75, v74 :: v_dual_mul_f32 v75, v54, v3
	v_fmac_f32_e32 v72, v55, v0
	v_fma_f32 v54, v54, v2, -v77
	v_mul_f32_e32 v77, v63, v1
	v_mul_f32_e32 v1, v62, v1
	s_delay_alu instid0(VALU_DEP_4) | instskip(NEXT) | instid1(VALU_DEP_4)
	v_dual_fmac_f32 v75, v55, v2 :: v_dual_add_f32 v72, v73, v72
	v_add_f32_e32 v52, v52, v54
	s_delay_alu instid0(VALU_DEP_4) | instskip(NEXT) | instid1(VALU_DEP_4)
	v_fma_f32 v54, v62, v0, -v77
	v_fmac_f32_e32 v1, v63, v0
	v_mul_f32_e32 v0, v63, v3
	v_mul_f32_e32 v73, v62, v3
	v_add_f32_e32 v55, v76, v75
	s_delay_alu instid0(VALU_DEP_4) | instskip(NEXT) | instid1(VALU_DEP_4)
	v_dual_add_f32 v54, v60, v54 :: v_dual_add_f32 v53, v53, v1
	v_fma_f32 v60, v62, v2, -v0
	s_wait_dscnt 0x1
	v_dual_mul_f32 v62, v69, v57 :: v_dual_fmac_f32 v73, v63, v2
	ds_load_2addr_b64 v[0:3], v49 offset0:96 offset1:112
	v_dual_mul_f32 v75, v68, v59 :: v_dual_add_f32 v60, v61, v60
	v_fma_f32 v61, v68, v56, -v62
	v_dual_mul_f32 v62, v69, v59 :: v_dual_mul_f32 v63, v68, v57
	s_delay_alu instid0(VALU_DEP_3) | instskip(SKIP_1) | instid1(VALU_DEP_4)
	v_fmac_f32_e32 v75, v69, v58
	v_add_f32_e32 v35, v35, v79
	v_add_f32_e32 v61, v74, v61
	s_delay_alu instid0(VALU_DEP_4)
	v_fma_f32 v62, v68, v58, -v62
	s_wait_dscnt 0x1
	v_mul_f32_e32 v68, v65, v57
	v_mul_f32_e32 v57, v64, v57
	v_fmac_f32_e32 v63, v69, v56
	v_dual_add_f32 v69, v55, v75 :: v_dual_add_f32 v62, v52, v62
	v_mul_f32_e32 v52, v65, v59
	v_fma_f32 v55, v64, v56, -v68
	v_dual_fmac_f32 v57, v65, v56 :: v_dual_mul_f32 v68, v64, v59
	v_add_f32_e32 v35, v35, v73
	s_delay_alu instid0(VALU_DEP_4)
	v_fma_f32 v52, v64, v58, -v52
	s_wait_dscnt 0x0
	v_dual_mul_f32 v56, v71, v1 :: v_dual_add_f32 v63, v72, v63
	v_add_f32_e32 v64, v54, v55
	v_add_f32_e32 v72, v53, v57
	v_dual_fmac_f32 v68, v65, v58 :: v_dual_add_f32 v65, v60, v52
	s_delay_alu instid0(VALU_DEP_4) | instskip(SKIP_4) | instid1(VALU_DEP_2)
	v_fma_f32 v60, v70, v0, -v56
	ds_load_b128 v[52:55], v43 offset:224
	ds_load_2addr_b64 v[56:59], v49 offset0:128 offset1:144
	v_dual_mul_f32 v73, v70, v1 :: v_dual_mul_f32 v74, v71, v3
	v_dual_add_f32 v35, v35, v68 :: v_dual_mul_f32 v68, v70, v3
	v_fmac_f32_e32 v73, v71, v0
	s_delay_alu instid0(VALU_DEP_3)
	v_fma_f32 v70, v70, v2, -v74
	v_add_f32_e32 v74, v61, v60
	v_mul_f32_e32 v60, v67, v1
	v_fmac_f32_e32 v68, v71, v2
	v_add_f32_e32 v73, v63, v73
	v_add_f32_e32 v75, v62, v70
	v_mul_f32_e32 v1, v66, v1
	v_fma_f32 v70, v66, v0, -v60
	v_add_f32_e32 v76, v69, v68
	v_mul_f32_e32 v68, v67, v3
	ds_load_b128 v[60:63], v43 offset:4320
	v_fmac_f32_e32 v1, v67, v0
	v_dual_add_f32 v77, v64, v70 :: v_dual_mul_f32 v64, v66, v3
	v_fma_f32 v0, v66, v2, -v68
	s_wait_dscnt 0x1
	v_mul_f32_e32 v3, v53, v57
	v_add_f32_e32 v72, v72, v1
	v_mul_f32_e32 v66, v53, v59
	v_fmac_f32_e32 v64, v67, v2
	v_add_f32_e32 v78, v65, v0
	v_fma_f32 v65, v52, v56, -v3
	ds_load_2addr_b64 v[0:3], v49 offset0:160 offset1:176
	ds_load_b128 v[68:71], v43 offset:240
	v_mul_f32_e32 v79, v52, v57
	v_mul_f32_e32 v80, v52, v59
	v_fma_f32 v52, v52, v58, -v66
	v_dual_add_f32 v74, v74, v65 :: v_dual_add_f32 v35, v35, v64
	s_delay_alu instid0(VALU_DEP_4) | instskip(NEXT) | instid1(VALU_DEP_4)
	v_fmac_f32_e32 v79, v53, v56
	v_fmac_f32_e32 v80, v53, v58
	s_wait_dscnt 0x2
	v_mul_f32_e32 v81, v61, v57
	v_dual_mul_f32 v53, v60, v57 :: v_dual_add_f32 v52, v75, v52
	v_mul_f32_e32 v75, v61, v59
	v_add_f32_e32 v73, v73, v79
	s_delay_alu instid0(VALU_DEP_4) | instskip(NEXT) | instid1(VALU_DEP_4)
	v_fma_f32 v57, v60, v56, -v81
	v_fmac_f32_e32 v53, v61, v56
	v_mul_f32_e32 v79, v60, v59
	v_fma_f32 v56, v60, v58, -v75
	ds_load_b128 v[64:67], v43 offset:4336
	v_add_f32_e32 v77, v77, v57
	s_wait_dscnt 0x2
	v_mul_f32_e32 v57, v55, v1
	v_add_f32_e32 v53, v72, v53
	v_dual_fmac_f32 v79, v61, v58 :: v_dual_mul_f32 v60, v54, v1
	v_add_f32_e32 v61, v78, v56
	s_delay_alu instid0(VALU_DEP_4)
	v_fma_f32 v72, v54, v0, -v57
	ds_load_2addr_b64 v[56:59], v49 offset0:192 offset1:208
	v_mul_f32_e32 v75, v55, v3
	v_fmac_f32_e32 v60, v55, v0
	v_add_f32_e32 v76, v76, v80
	v_add_f32_e32 v72, v74, v72
	v_mul_f32_e32 v74, v54, v3
	v_fma_f32 v54, v54, v2, -v75
	v_dual_add_f32 v60, v73, v60 :: v_dual_mul_f32 v73, v63, v1
	s_delay_alu instid0(VALU_DEP_3) | instskip(NEXT) | instid1(VALU_DEP_3)
	v_dual_mul_f32 v1, v62, v1 :: v_dual_fmac_f32 v74, v55, v2
	v_add_f32_e32 v52, v52, v54
	v_mul_f32_e32 v54, v63, v3
	s_delay_alu instid0(VALU_DEP_4) | instskip(NEXT) | instid1(VALU_DEP_4)
	v_fma_f32 v55, v62, v0, -v73
	v_fmac_f32_e32 v1, v63, v0
	v_dual_add_f32 v73, v76, v74 :: v_dual_mul_f32 v74, v62, v3
	s_delay_alu instid0(VALU_DEP_4) | instskip(NEXT) | instid1(VALU_DEP_4)
	v_fma_f32 v0, v62, v2, -v54
	v_add_f32_e32 v54, v77, v55
	s_delay_alu instid0(VALU_DEP_4)
	v_add_f32_e32 v53, v53, v1
	s_wait_dscnt 0x0
	v_dual_mul_f32 v55, v69, v57 :: v_dual_fmac_f32 v74, v63, v2
	v_add_f32_e32 v61, v61, v0
	ds_load_2addr_b64 v[0:3], v49 offset0:224 offset1:240
	v_mul_f32_e32 v62, v68, v57
	v_fma_f32 v55, v68, v56, -v55
	v_mul_f32_e32 v63, v69, v59
	v_add_f32_e32 v35, v35, v79
	s_wait_loadcnt_dscnt 0x0
	s_delay_alu instid0(VALU_DEP_3) | instskip(SKIP_3) | instid1(VALU_DEP_4)
	v_dual_fmac_f32 v62, v69, v56 :: v_dual_add_f32 v55, v72, v55
	v_mul_f32_e32 v72, v65, v57
	v_fma_f32 v63, v68, v58, -v63
	v_mul_f32_e32 v57, v64, v57
	v_add_f32_e32 v60, v60, v62
	v_add_f32_e32 v35, v35, v74
	v_fma_f32 v62, v64, v56, -v72
	v_add_f32_e32 v52, v52, v63
	v_mul_f32_e32 v63, v65, v59
	v_dual_mul_f32 v74, v68, v59 :: v_dual_fmac_f32 v57, v65, v56
	s_delay_alu instid0(VALU_DEP_4) | instskip(SKIP_1) | instid1(VALU_DEP_4)
	v_add_f32_e32 v54, v54, v62
	v_mul_f32_e32 v56, v64, v59
	v_fma_f32 v59, v64, v58, -v63
	v_mul_f32_e32 v62, v71, v1
	v_mul_f32_e32 v63, v70, v1
	v_add_f32_e32 v53, v53, v57
	v_fmac_f32_e32 v56, v65, v58
	v_add_f32_e32 v59, v61, v59
	v_fma_f32 v57, v70, v0, -v62
	v_fmac_f32_e32 v63, v71, v0
	v_dual_mul_f32 v61, v71, v3 :: v_dual_fmac_f32 v74, v69, v58
	v_dual_mul_f32 v62, v70, v3 :: v_dual_add_f32 v35, v35, v56
	s_delay_alu instid0(VALU_DEP_3) | instskip(NEXT) | instid1(VALU_DEP_3)
	v_dual_add_f32 v57, v55, v57 :: v_dual_add_f32 v58, v60, v63
	v_fma_f32 v55, v70, v2, -v61
	v_mul_f32_e32 v56, v67, v1
	v_dual_mul_f32 v1, v66, v1 :: v_dual_mul_f32 v60, v67, v3
	v_dual_mul_f32 v3, v66, v3 :: v_dual_add_f32 v68, v73, v74
	s_delay_alu instid0(VALU_DEP_4) | instskip(NEXT) | instid1(VALU_DEP_4)
	v_dual_fmac_f32 v62, v71, v2 :: v_dual_add_f32 v55, v52, v55
	v_fma_f32 v52, v66, v0, -v56
	s_delay_alu instid0(VALU_DEP_4) | instskip(SKIP_3) | instid1(VALU_DEP_4)
	v_fmac_f32_e32 v1, v67, v0
	v_fma_f32 v0, v66, v2, -v60
	v_fmac_f32_e32 v3, v67, v2
	v_add_f32_e32 v56, v68, v62
	v_dual_add_f32 v54, v54, v52 :: v_dual_add_f32 v53, v53, v1
	s_delay_alu instid0(VALU_DEP_4) | instskip(NEXT) | instid1(VALU_DEP_4)
	v_add_f32_e32 v52, v59, v0
	v_add_f32_e32 v35, v35, v3
	s_barrier_signal -1
	s_barrier_wait -1
	global_inv scope:SCOPE_SE
	s_cbranch_scc1 .LBB78_59
.LBB78_11:                              ;   Parent Loop BB78_4 Depth=1
                                        ;     Parent Loop BB78_8 Depth=2
                                        ; =>    This Inner Loop Header: Depth=3
	s_wait_alu 0xfffe
	v_add_co_u32 v2, s5, v40, s26
	s_wait_alu 0xf1ff
	v_add_co_ci_u32_e64 v3, null, 0, s27, s5
	v_cmp_eq_u64_e64 s7, s[26:27], v[10:11]
	s_delay_alu instid0(VALU_DEP_2)
	v_cmp_le_i64_e64 s6, s[42:43], v[2:3]
	v_cmp_gt_i64_e64 s5, v[2:3], v[6:7]
	s_and_b32 s56, s53, s7
	v_add_co_u32 v0, s7, v32, s24
	s_wait_alu 0xf1ff
	v_add_co_ci_u32_e64 v1, null, s25, v33, s7
	s_or_b32 s8, s6, s5
	s_wait_alu 0xfffe
	s_or_b32 s7, s8, s56
	s_wait_alu 0xfffe
	s_nor_b32 s7, s0, s7
	s_wait_alu 0xfffe
	s_and_saveexec_b32 s8, s7
	s_wait_alu 0xfffe
	s_xor_b32 s7, exec_lo, s8
	s_cbranch_execz .LBB78_13
; %bb.12:                               ;   in Loop: Header=BB78_11 Depth=3
	global_load_b64 v[59:60], v[0:1], off
	s_wait_loadcnt 0x0
	ds_store_b64 v44, v[59:60]
.LBB78_13:                              ;   in Loop: Header=BB78_11 Depth=3
	s_wait_alu 0xfffe
	s_or_saveexec_b32 s7, s7
	s_xor_b32 s55, s56, -1
	s_wait_alu 0xfffe
	s_xor_b32 exec_lo, exec_lo, s7
	s_cbranch_execz .LBB78_19
; %bb.14:                               ;   in Loop: Header=BB78_11 Depth=3
	s_and_saveexec_b32 s8, s55
	s_wait_alu 0xfffe
	s_xor_b32 s8, exec_lo, s8
; %bb.15:                               ;   in Loop: Header=BB78_11 Depth=3
	v_dual_mov_b32 v59, v5 :: v_dual_mov_b32 v60, v5
	ds_store_b64 v44, v[59:60]
; %bb.16:                               ;   in Loop: Header=BB78_11 Depth=3
	s_wait_alu 0xfffe
	s_and_not1_saveexec_b32 s8, s8
; %bb.17:                               ;   in Loop: Header=BB78_11 Depth=3
	ds_store_b64 v44, v[4:5]
; %bb.18:                               ;   in Loop: Header=BB78_11 Depth=3
	s_wait_alu 0xfffe
	s_or_b32 exec_lo, exec_lo, s8
.LBB78_19:                              ;   in Loop: Header=BB78_11 Depth=3
	s_delay_alu instid0(SALU_CYCLE_1)
	s_or_b32 exec_lo, exec_lo, s7
	v_cmp_eq_u64_e64 s7, s[26:27], v[12:13]
	v_cmp_lt_i64_e64 s8, v[8:9], v[2:3]
	s_and_b32 s7, s53, s7
	s_or_b32 s6, s6, s8
	s_wait_alu 0xfffe
	s_or_b32 s6, s6, s7
	s_wait_alu 0xfffe
	s_nor_b32 s6, s3, s6
	s_wait_alu 0xfffe
	s_and_saveexec_b32 s8, s6
	s_wait_alu 0xfffe
	s_xor_b32 s8, exec_lo, s8
	s_cbranch_execz .LBB78_21
; %bb.20:                               ;   in Loop: Header=BB78_11 Depth=3
	v_add_co_u32 v59, s6, v30, s24
	s_wait_alu 0xf1ff
	v_add_co_ci_u32_e64 v60, null, s25, v31, s6
	global_load_b64 v[59:60], v[59:60], off
	s_wait_loadcnt 0x0
	ds_store_b64 v44, v[59:60] offset:128
.LBB78_21:                              ;   in Loop: Header=BB78_11 Depth=3
	s_wait_alu 0xfffe
	s_and_not1_saveexec_b32 s6, s8
	s_cbranch_execz .LBB78_27
; %bb.22:                               ;   in Loop: Header=BB78_11 Depth=3
	s_xor_b32 s7, s7, -1
	s_wait_alu 0xfffe
	s_and_saveexec_b32 s8, s7
	s_wait_alu 0xfffe
	s_xor_b32 s7, exec_lo, s8
; %bb.23:                               ;   in Loop: Header=BB78_11 Depth=3
	v_dual_mov_b32 v59, v5 :: v_dual_mov_b32 v60, v5
	ds_store_b64 v44, v[59:60] offset:128
; %bb.24:                               ;   in Loop: Header=BB78_11 Depth=3
	s_wait_alu 0xfffe
	s_and_not1_saveexec_b32 s7, s7
; %bb.25:                               ;   in Loop: Header=BB78_11 Depth=3
	ds_store_b64 v44, v[4:5] offset:128
; %bb.26:                               ;   in Loop: Header=BB78_11 Depth=3
	s_wait_alu 0xfffe
	s_or_b32 exec_lo, exec_lo, s7
.LBB78_27:                              ;   in Loop: Header=BB78_11 Depth=3
	s_wait_alu 0xfffe
	s_or_b32 exec_lo, exec_lo, s6
	v_add_co_u32 v2, s6, v2, 16
	s_wait_alu 0xf1ff
	v_add_co_ci_u32_e64 v3, null, 0, v3, s6
	v_cmp_eq_u64_e64 s7, s[26:27], v[16:17]
	s_delay_alu instid0(VALU_DEP_2)
	v_cmp_le_i64_e64 s6, s[42:43], v[2:3]
	v_cmp_gt_i64_e64 s8, v[2:3], v[6:7]
	s_and_b32 s57, s53, s7
	s_or_b32 s7, s6, s8
	s_wait_alu 0xfffe
	s_or_b32 s7, s7, s57
	s_wait_alu 0xfffe
	s_nor_b32 s7, s0, s7
	s_wait_alu 0xfffe
	s_and_saveexec_b32 s8, s7
	s_wait_alu 0xfffe
	s_xor_b32 s7, exec_lo, s8
	s_cbranch_execz .LBB78_29
; %bb.28:                               ;   in Loop: Header=BB78_11 Depth=3
	global_load_b64 v[0:1], v[0:1], off offset:128
	s_wait_loadcnt 0x0
	ds_store_b64 v44, v[0:1] offset:4096
.LBB78_29:                              ;   in Loop: Header=BB78_11 Depth=3
	s_wait_alu 0xfffe
	s_and_not1_saveexec_b32 s7, s7
	s_cbranch_execz .LBB78_35
; %bb.30:                               ;   in Loop: Header=BB78_11 Depth=3
	s_xor_b32 s8, s57, -1
	s_wait_alu 0xfffe
	s_and_saveexec_b32 s57, s8
	s_delay_alu instid0(SALU_CYCLE_1)
	s_xor_b32 s8, exec_lo, s57
; %bb.31:                               ;   in Loop: Header=BB78_11 Depth=3
	v_dual_mov_b32 v0, v5 :: v_dual_mov_b32 v1, v5
	ds_store_b64 v44, v[0:1] offset:4096
; %bb.32:                               ;   in Loop: Header=BB78_11 Depth=3
	s_wait_alu 0xfffe
	s_and_not1_saveexec_b32 s8, s8
; %bb.33:                               ;   in Loop: Header=BB78_11 Depth=3
	ds_store_b64 v44, v[4:5] offset:4096
; %bb.34:                               ;   in Loop: Header=BB78_11 Depth=3
	s_wait_alu 0xfffe
	s_or_b32 exec_lo, exec_lo, s8
.LBB78_35:                              ;   in Loop: Header=BB78_11 Depth=3
	s_wait_alu 0xfffe
	s_or_b32 exec_lo, exec_lo, s7
	s_or_b32 s5, s6, s5
	s_wait_alu 0xfffe
	s_or_b32 s5, s5, s56
	s_wait_alu 0xfffe
	s_nor_b32 s5, s3, s5
	s_wait_alu 0xfffe
	s_and_saveexec_b32 s6, s5
	s_wait_alu 0xfffe
	s_xor_b32 s6, exec_lo, s6
	s_cbranch_execz .LBB78_37
; %bb.36:                               ;   in Loop: Header=BB78_11 Depth=3
	v_add_co_u32 v0, s5, v30, s24
	s_wait_alu 0xf1ff
	v_add_co_ci_u32_e64 v1, null, s25, v31, s5
	global_load_b64 v[0:1], v[0:1], off offset:128
	s_wait_loadcnt 0x0
	ds_store_b64 v44, v[0:1] offset:4224
.LBB78_37:                              ;   in Loop: Header=BB78_11 Depth=3
	s_wait_alu 0xfffe
	s_and_not1_saveexec_b32 s5, s6
	s_cbranch_execz .LBB78_43
; %bb.38:                               ;   in Loop: Header=BB78_11 Depth=3
	s_and_saveexec_b32 s6, s55
	s_wait_alu 0xfffe
	s_xor_b32 s6, exec_lo, s6
; %bb.39:                               ;   in Loop: Header=BB78_11 Depth=3
	v_dual_mov_b32 v0, v5 :: v_dual_mov_b32 v1, v5
	ds_store_b64 v44, v[0:1] offset:4224
; %bb.40:                               ;   in Loop: Header=BB78_11 Depth=3
	s_wait_alu 0xfffe
	s_and_not1_saveexec_b32 s6, s6
; %bb.41:                               ;   in Loop: Header=BB78_11 Depth=3
	ds_store_b64 v44, v[4:5] offset:4224
; %bb.42:                               ;   in Loop: Header=BB78_11 Depth=3
	s_wait_alu 0xfffe
	s_or_b32 exec_lo, exec_lo, s6
.LBB78_43:                              ;   in Loop: Header=BB78_11 Depth=3
	s_wait_alu 0xfffe
	s_or_b32 exec_lo, exec_lo, s5
	v_add_co_u32 v0, s5, v41, s26
	s_wait_alu 0xf1ff
	v_add_co_ci_u32_e64 v1, null, 0, s27, s5
	s_delay_alu instid0(VALU_DEP_1)
	v_cmp_gt_i64_e64 s5, s[42:43], v[0:1]
	s_and_b32 s6, vcc_lo, s5
	s_wait_alu 0xfffe
	s_xor_b32 s6, s6, -1
	s_wait_alu 0xfffe
	s_and_saveexec_b32 s7, s6
	s_wait_alu 0xfffe
	s_xor_b32 s6, exec_lo, s7
; %bb.44:                               ;   in Loop: Header=BB78_11 Depth=3
	v_dual_mov_b32 v2, v5 :: v_dual_mov_b32 v3, v5
	ds_store_b64 v45, v[2:3]
; %bb.45:                               ;   in Loop: Header=BB78_11 Depth=3
	s_wait_alu 0xfffe
	s_or_saveexec_b32 s7, s6
	v_add_co_u32 v2, s6, v36, s24
	s_wait_alu 0xf1ff
	v_add_co_ci_u32_e64 v3, null, s25, v37, s6
	s_wait_alu 0xfffe
	s_xor_b32 exec_lo, exec_lo, s7
	s_cbranch_execz .LBB78_47
; %bb.46:                               ;   in Loop: Header=BB78_11 Depth=3
	global_load_b64 v[59:60], v[2:3], off offset:-128
	s_wait_loadcnt 0x0
	ds_store_b64 v45, v[59:60]
.LBB78_47:                              ;   in Loop: Header=BB78_11 Depth=3
	s_or_b32 exec_lo, exec_lo, s7
	v_cmp_gt_i64_e64 s6, s[46:47], v[0:1]
	s_and_b32 s7, vcc_lo, s6
	s_wait_alu 0xfffe
	s_xor_b32 s7, s7, -1
	s_wait_alu 0xfffe
	s_and_saveexec_b32 s8, s7
	s_wait_alu 0xfffe
	s_xor_b32 s7, exec_lo, s8
; %bb.48:                               ;   in Loop: Header=BB78_11 Depth=3
	v_dual_mov_b32 v0, v5 :: v_dual_mov_b32 v1, v5
                                        ; implicit-def: $vgpr2_vgpr3
	ds_store_b64 v45, v[0:1] offset:128
; %bb.49:                               ;   in Loop: Header=BB78_11 Depth=3
	s_wait_alu 0xfffe
	s_and_not1_saveexec_b32 s7, s7
	s_cbranch_execz .LBB78_51
; %bb.50:                               ;   in Loop: Header=BB78_11 Depth=3
	global_load_b64 v[0:1], v[2:3], off
	s_wait_loadcnt 0x0
	ds_store_b64 v45, v[0:1] offset:128
.LBB78_51:                              ;   in Loop: Header=BB78_11 Depth=3
	s_wait_alu 0xfffe
	s_or_b32 exec_lo, exec_lo, s7
	s_and_b32 s5, s4, s5
	s_wait_alu 0xfffe
	s_xor_b32 s5, s5, -1
	s_wait_alu 0xfffe
	s_and_saveexec_b32 s7, s5
	s_wait_alu 0xfffe
	s_xor_b32 s5, exec_lo, s7
; %bb.52:                               ;   in Loop: Header=BB78_11 Depth=3
	v_dual_mov_b32 v0, v5 :: v_dual_mov_b32 v1, v5
	ds_store_b64 v45, v[0:1] offset:4096
; %bb.53:                               ;   in Loop: Header=BB78_11 Depth=3
	s_wait_alu 0xfffe
	s_or_saveexec_b32 s7, s5
	v_add_co_u32 v0, s5, v38, s24
	s_wait_alu 0xf1ff
	v_add_co_ci_u32_e64 v1, null, s25, v39, s5
	s_wait_alu 0xfffe
	s_xor_b32 exec_lo, exec_lo, s7
	s_cbranch_execz .LBB78_55
; %bb.54:                               ;   in Loop: Header=BB78_11 Depth=3
	global_load_b64 v[2:3], v[0:1], off offset:-128
	s_wait_loadcnt 0x0
	ds_store_b64 v45, v[2:3] offset:4096
.LBB78_55:                              ;   in Loop: Header=BB78_11 Depth=3
	s_or_b32 exec_lo, exec_lo, s7
	s_and_b32 s5, s4, s6
	s_wait_alu 0xfffe
	s_xor_b32 s5, s5, -1
	s_wait_alu 0xfffe
	s_and_saveexec_b32 s6, s5
	s_wait_alu 0xfffe
	s_xor_b32 s5, exec_lo, s6
; %bb.56:                               ;   in Loop: Header=BB78_11 Depth=3
	v_dual_mov_b32 v0, v5 :: v_dual_mov_b32 v1, v5
	ds_store_b64 v45, v[0:1] offset:4224
                                        ; implicit-def: $vgpr0_vgpr1
; %bb.57:                               ;   in Loop: Header=BB78_11 Depth=3
	s_wait_alu 0xfffe
	s_and_not1_saveexec_b32 s5, s5
	s_cbranch_execz .LBB78_10
; %bb.58:                               ;   in Loop: Header=BB78_11 Depth=3
	global_load_b64 v[0:1], v[0:1], off
	s_wait_loadcnt 0x0
	ds_store_b64 v45, v[0:1] offset:4224
	s_branch .LBB78_10
.LBB78_59:                              ;   in Loop: Header=BB78_8 Depth=2
	v_mul_lo_u32 v2, s29, v50
	v_mul_lo_u32 v3, s28, v51
	v_mad_co_u64_u32 v[0:1], null, s28, v50, 0
	v_cmp_gt_i32_e32 vcc_lo, s10, v50
	s_delay_alu instid0(VALU_DEP_2) | instskip(NEXT) | instid1(VALU_DEP_1)
	v_add3_u32 v1, v1, v3, v2
	v_lshlrev_b64_e32 v[0:1], 3, v[0:1]
	s_delay_alu instid0(VALU_DEP_1) | instskip(SKIP_1) | instid1(VALU_DEP_2)
	v_add_co_u32 v0, s4, s22, v0
	s_wait_alu 0xf1ff
	v_add_co_ci_u32_e64 v1, null, s23, v1, s4
	s_and_b32 s4, s1, vcc_lo
	s_wait_alu 0xfffe
	s_and_saveexec_b32 s5, s4
	s_cbranch_execz .LBB78_61
; %bb.60:                               ;   in Loop: Header=BB78_8 Depth=2
	v_add_co_u32 v2, s4, v0, v14
	s_wait_alu 0xf1ff
	v_add_co_ci_u32_e64 v3, null, v1, v15, s4
	v_mul_f32_e32 v39, v58, v26
	global_load_b64 v[36:37], v[2:3], off
	v_fmac_f32_e32 v39, v57, v27
	s_wait_loadcnt 0x0
	s_delay_alu instid0(VALU_DEP_1) | instskip(NEXT) | instid1(VALU_DEP_1)
	v_dual_mul_f32 v38, v58, v27 :: v_dual_add_f32 v37, v39, v37
	v_fma_f32 v38, v57, v26, -v38
	s_delay_alu instid0(VALU_DEP_1)
	v_add_f32_e32 v36, v36, v38
	global_store_b64 v[2:3], v[36:37], off
.LBB78_61:                              ;   in Loop: Header=BB78_8 Depth=2
	s_wait_alu 0xfffe
	s_or_b32 exec_lo, exec_lo, s5
	s_and_b32 s5, s2, vcc_lo
	s_wait_alu 0xfffe
	s_and_saveexec_b32 s4, s5
	s_cbranch_execz .LBB78_63
; %bb.62:                               ;   in Loop: Header=BB78_8 Depth=2
	v_add_co_u32 v0, vcc_lo, v0, v24
	s_wait_alu 0xfffd
	v_add_co_ci_u32_e64 v1, null, v1, v25, vcc_lo
	v_mul_f32_e32 v36, v56, v27
	global_load_b64 v[2:3], v[0:1], off
	v_fma_f32 v36, v55, v26, -v36
	s_wait_loadcnt 0x0
	s_delay_alu instid0(VALU_DEP_1) | instskip(NEXT) | instid1(VALU_DEP_1)
	v_dual_mul_f32 v37, v56, v26 :: v_dual_add_f32 v2, v2, v36
	v_fmac_f32_e32 v37, v55, v27
	s_delay_alu instid0(VALU_DEP_1)
	v_add_f32_e32 v3, v37, v3
	global_store_b64 v[0:1], v[2:3], off
.LBB78_63:                              ;   in Loop: Header=BB78_8 Depth=2
	s_wait_alu 0xfffe
	s_or_b32 exec_lo, exec_lo, s4
	v_add_nc_u32_e32 v2, 16, v50
	s_delay_alu instid0(VALU_DEP_1) | instskip(SKIP_3) | instid1(VALU_DEP_4)
	v_ashrrev_i32_e32 v3, 31, v2
	v_mul_lo_u32 v36, s29, v2
	v_mad_co_u64_u32 v[0:1], null, s28, v2, 0
	v_cmp_gt_i32_e32 vcc_lo, s10, v2
	v_mul_lo_u32 v3, s28, v3
	s_delay_alu instid0(VALU_DEP_1) | instskip(NEXT) | instid1(VALU_DEP_1)
	v_add3_u32 v1, v1, v3, v36
	v_lshlrev_b64_e32 v[0:1], 3, v[0:1]
	s_delay_alu instid0(VALU_DEP_1) | instskip(SKIP_1) | instid1(VALU_DEP_2)
	v_add_co_u32 v0, s4, s22, v0
	s_wait_alu 0xf1ff
	v_add_co_ci_u32_e64 v1, null, s23, v1, s4
	s_and_b32 s4, s1, vcc_lo
	s_wait_alu 0xfffe
	s_and_saveexec_b32 s5, s4
	s_cbranch_execz .LBB78_65
; %bb.64:                               ;   in Loop: Header=BB78_8 Depth=2
	v_add_co_u32 v2, s4, v0, v14
	s_wait_alu 0xf1ff
	v_add_co_ci_u32_e64 v3, null, v1, v15, s4
	v_mul_f32_e32 v39, v53, v26
	global_load_b64 v[36:37], v[2:3], off
	v_fmac_f32_e32 v39, v54, v27
	s_wait_loadcnt 0x0
	s_delay_alu instid0(VALU_DEP_1) | instskip(NEXT) | instid1(VALU_DEP_1)
	v_dual_mul_f32 v38, v53, v27 :: v_dual_add_f32 v37, v39, v37
	v_fma_f32 v38, v54, v26, -v38
	s_delay_alu instid0(VALU_DEP_1)
	v_add_f32_e32 v36, v36, v38
	global_store_b64 v[2:3], v[36:37], off
.LBB78_65:                              ;   in Loop: Header=BB78_8 Depth=2
	s_wait_alu 0xfffe
	s_or_b32 exec_lo, exec_lo, s5
	s_and_b32 s5, s2, vcc_lo
	s_wait_alu 0xfffe
	s_and_saveexec_b32 s4, s5
	s_cbranch_execz .LBB78_7
; %bb.66:                               ;   in Loop: Header=BB78_8 Depth=2
	v_add_co_u32 v0, vcc_lo, v0, v24
	s_wait_alu 0xfffd
	v_add_co_ci_u32_e64 v1, null, v1, v25, vcc_lo
	v_mul_f32_e32 v36, v35, v27
	global_load_b64 v[2:3], v[0:1], off
	v_fma_f32 v36, v52, v26, -v36
	s_wait_loadcnt 0x0
	s_delay_alu instid0(VALU_DEP_1) | instskip(NEXT) | instid1(VALU_DEP_1)
	v_dual_mul_f32 v35, v35, v26 :: v_dual_add_f32 v2, v2, v36
	v_fmac_f32_e32 v35, v52, v27
	s_delay_alu instid0(VALU_DEP_1)
	v_add_f32_e32 v3, v35, v3
	global_store_b64 v[0:1], v[2:3], off
	s_branch .LBB78_7
.LBB78_67:
	s_endpgm
	.section	.rodata,"a",@progbits
	.p2align	6, 0x0
	.amdhsa_kernel _ZL30rocblas_trmm_outofplace_kernelI19rocblas_complex_numIfELi32ELi2ELb1ELb1ELb1ELb0EPKS1_S2_S1_Ev17rocblas_diagonal_iiT6_lPT7_lllS7_lllPT8_llli
		.amdhsa_group_segment_fixed_size 16384
		.amdhsa_private_segment_fixed_size 0
		.amdhsa_kernarg_size 392
		.amdhsa_user_sgpr_count 2
		.amdhsa_user_sgpr_dispatch_ptr 0
		.amdhsa_user_sgpr_queue_ptr 0
		.amdhsa_user_sgpr_kernarg_segment_ptr 1
		.amdhsa_user_sgpr_dispatch_id 0
		.amdhsa_user_sgpr_private_segment_size 0
		.amdhsa_wavefront_size32 1
		.amdhsa_uses_dynamic_stack 0
		.amdhsa_enable_private_segment 0
		.amdhsa_system_sgpr_workgroup_id_x 1
		.amdhsa_system_sgpr_workgroup_id_y 1
		.amdhsa_system_sgpr_workgroup_id_z 1
		.amdhsa_system_sgpr_workgroup_info 0
		.amdhsa_system_vgpr_workitem_id 1
		.amdhsa_next_free_vgpr 93
		.amdhsa_next_free_sgpr 58
		.amdhsa_reserve_vcc 1
		.amdhsa_float_round_mode_32 0
		.amdhsa_float_round_mode_16_64 0
		.amdhsa_float_denorm_mode_32 3
		.amdhsa_float_denorm_mode_16_64 3
		.amdhsa_fp16_overflow 0
		.amdhsa_workgroup_processor_mode 1
		.amdhsa_memory_ordered 1
		.amdhsa_forward_progress 1
		.amdhsa_inst_pref_size 61
		.amdhsa_round_robin_scheduling 0
		.amdhsa_exception_fp_ieee_invalid_op 0
		.amdhsa_exception_fp_denorm_src 0
		.amdhsa_exception_fp_ieee_div_zero 0
		.amdhsa_exception_fp_ieee_overflow 0
		.amdhsa_exception_fp_ieee_underflow 0
		.amdhsa_exception_fp_ieee_inexact 0
		.amdhsa_exception_int_div_zero 0
	.end_amdhsa_kernel
	.section	.text._ZL30rocblas_trmm_outofplace_kernelI19rocblas_complex_numIfELi32ELi2ELb1ELb1ELb1ELb0EPKS1_S2_S1_Ev17rocblas_diagonal_iiT6_lPT7_lllS7_lllPT8_llli,"axG",@progbits,_ZL30rocblas_trmm_outofplace_kernelI19rocblas_complex_numIfELi32ELi2ELb1ELb1ELb1ELb0EPKS1_S2_S1_Ev17rocblas_diagonal_iiT6_lPT7_lllS7_lllPT8_llli,comdat
.Lfunc_end78:
	.size	_ZL30rocblas_trmm_outofplace_kernelI19rocblas_complex_numIfELi32ELi2ELb1ELb1ELb1ELb0EPKS1_S2_S1_Ev17rocblas_diagonal_iiT6_lPT7_lllS7_lllPT8_llli, .Lfunc_end78-_ZL30rocblas_trmm_outofplace_kernelI19rocblas_complex_numIfELi32ELi2ELb1ELb1ELb1ELb0EPKS1_S2_S1_Ev17rocblas_diagonal_iiT6_lPT7_lllS7_lllPT8_llli
                                        ; -- End function
	.set _ZL30rocblas_trmm_outofplace_kernelI19rocblas_complex_numIfELi32ELi2ELb1ELb1ELb1ELb0EPKS1_S2_S1_Ev17rocblas_diagonal_iiT6_lPT7_lllS7_lllPT8_llli.num_vgpr, 93
	.set _ZL30rocblas_trmm_outofplace_kernelI19rocblas_complex_numIfELi32ELi2ELb1ELb1ELb1ELb0EPKS1_S2_S1_Ev17rocblas_diagonal_iiT6_lPT7_lllS7_lllPT8_llli.num_agpr, 0
	.set _ZL30rocblas_trmm_outofplace_kernelI19rocblas_complex_numIfELi32ELi2ELb1ELb1ELb1ELb0EPKS1_S2_S1_Ev17rocblas_diagonal_iiT6_lPT7_lllS7_lllPT8_llli.numbered_sgpr, 58
	.set _ZL30rocblas_trmm_outofplace_kernelI19rocblas_complex_numIfELi32ELi2ELb1ELb1ELb1ELb0EPKS1_S2_S1_Ev17rocblas_diagonal_iiT6_lPT7_lllS7_lllPT8_llli.num_named_barrier, 0
	.set _ZL30rocblas_trmm_outofplace_kernelI19rocblas_complex_numIfELi32ELi2ELb1ELb1ELb1ELb0EPKS1_S2_S1_Ev17rocblas_diagonal_iiT6_lPT7_lllS7_lllPT8_llli.private_seg_size, 0
	.set _ZL30rocblas_trmm_outofplace_kernelI19rocblas_complex_numIfELi32ELi2ELb1ELb1ELb1ELb0EPKS1_S2_S1_Ev17rocblas_diagonal_iiT6_lPT7_lllS7_lllPT8_llli.uses_vcc, 1
	.set _ZL30rocblas_trmm_outofplace_kernelI19rocblas_complex_numIfELi32ELi2ELb1ELb1ELb1ELb0EPKS1_S2_S1_Ev17rocblas_diagonal_iiT6_lPT7_lllS7_lllPT8_llli.uses_flat_scratch, 0
	.set _ZL30rocblas_trmm_outofplace_kernelI19rocblas_complex_numIfELi32ELi2ELb1ELb1ELb1ELb0EPKS1_S2_S1_Ev17rocblas_diagonal_iiT6_lPT7_lllS7_lllPT8_llli.has_dyn_sized_stack, 0
	.set _ZL30rocblas_trmm_outofplace_kernelI19rocblas_complex_numIfELi32ELi2ELb1ELb1ELb1ELb0EPKS1_S2_S1_Ev17rocblas_diagonal_iiT6_lPT7_lllS7_lllPT8_llli.has_recursion, 0
	.set _ZL30rocblas_trmm_outofplace_kernelI19rocblas_complex_numIfELi32ELi2ELb1ELb1ELb1ELb0EPKS1_S2_S1_Ev17rocblas_diagonal_iiT6_lPT7_lllS7_lllPT8_llli.has_indirect_call, 0
	.section	.AMDGPU.csdata,"",@progbits
; Kernel info:
; codeLenInByte = 7752
; TotalNumSgprs: 60
; NumVgprs: 93
; ScratchSize: 0
; MemoryBound: 1
; FloatMode: 240
; IeeeMode: 1
; LDSByteSize: 16384 bytes/workgroup (compile time only)
; SGPRBlocks: 0
; VGPRBlocks: 11
; NumSGPRsForWavesPerEU: 60
; NumVGPRsForWavesPerEU: 93
; Occupancy: 16
; WaveLimiterHint : 0
; COMPUTE_PGM_RSRC2:SCRATCH_EN: 0
; COMPUTE_PGM_RSRC2:USER_SGPR: 2
; COMPUTE_PGM_RSRC2:TRAP_HANDLER: 0
; COMPUTE_PGM_RSRC2:TGID_X_EN: 1
; COMPUTE_PGM_RSRC2:TGID_Y_EN: 1
; COMPUTE_PGM_RSRC2:TGID_Z_EN: 1
; COMPUTE_PGM_RSRC2:TIDIG_COMP_CNT: 1
	.section	.text._ZL30rocblas_trmm_outofplace_kernelI19rocblas_complex_numIfELi32ELi2ELb1ELb1ELb1ELb0ES1_KS1_S1_Ev17rocblas_diagonal_iiT6_lPT7_lllS6_lllPT8_llli,"axG",@progbits,_ZL30rocblas_trmm_outofplace_kernelI19rocblas_complex_numIfELi32ELi2ELb1ELb1ELb1ELb0ES1_KS1_S1_Ev17rocblas_diagonal_iiT6_lPT7_lllS6_lllPT8_llli,comdat
	.globl	_ZL30rocblas_trmm_outofplace_kernelI19rocblas_complex_numIfELi32ELi2ELb1ELb1ELb1ELb0ES1_KS1_S1_Ev17rocblas_diagonal_iiT6_lPT7_lllS6_lllPT8_llli ; -- Begin function _ZL30rocblas_trmm_outofplace_kernelI19rocblas_complex_numIfELi32ELi2ELb1ELb1ELb1ELb0ES1_KS1_S1_Ev17rocblas_diagonal_iiT6_lPT7_lllS6_lllPT8_llli
	.p2align	8
	.type	_ZL30rocblas_trmm_outofplace_kernelI19rocblas_complex_numIfELi32ELi2ELb1ELb1ELb1ELb0ES1_KS1_S1_Ev17rocblas_diagonal_iiT6_lPT7_lllS6_lllPT8_llli,@function
_ZL30rocblas_trmm_outofplace_kernelI19rocblas_complex_numIfELi32ELi2ELb1ELb1ELb1ELb0ES1_KS1_S1_Ev17rocblas_diagonal_iiT6_lPT7_lllS6_lllPT8_llli: ; @_ZL30rocblas_trmm_outofplace_kernelI19rocblas_complex_numIfELi32ELi2ELb1ELb1ELb1ELb0ES1_KS1_S1_Ev17rocblas_diagonal_iiT6_lPT7_lllS6_lllPT8_llli
; %bb.0:
	s_load_b32 s31, s[0:1], 0x80
	s_lshr_b32 s34, ttmp7, 16
	s_wait_kmcnt 0x0
	s_cmp_ge_u32 s34, s31
	s_cbranch_scc1 .LBB79_66
; %bb.1:
	s_load_b64 s[36:37], s[0:1], 0xc
	s_mov_b32 s35, 0
	s_wait_kmcnt 0x0
	s_or_b32 s2, s36, s37
	s_delay_alu instid0(SALU_CYCLE_1) | instskip(NEXT) | instid1(SALU_CYCLE_1)
	s_bitset0_b32 s2, 31
	s_cmp_eq_u32 s2, 0
	s_cbranch_scc1 .LBB79_66
; %bb.2:
	s_load_b96 s[28:30], s[0:1], 0x0
	s_and_b32 s33, ttmp7, 0xffff
	s_load_b512 s[4:19], s[0:1], 0x20
	v_and_b32_e32 v39, 0x3ff, v0
	v_bfe_u32 v38, v0, 10, 10
	s_load_b256 s[20:27], s[0:1], 0x60
	v_mov_b32_e32 v5, 0
	s_add_nc_u64 s[38:39], s[0:1], 0x88
	v_lshlrev_b32_e32 v40, 3, v39
	v_lshlrev_b32_e32 v0, 8, v38
	v_lshl_add_u32 v44, s33, 5, v38
	s_delay_alu instid0(VALU_DEP_3) | instskip(NEXT) | instid1(VALU_DEP_3)
	v_add_nc_u32_e32 v45, 0x800, v40
	v_add_nc_u32_e32 v41, 0x2000, v0
	;; [unrolled: 1-line block ×5, first 2 shown]
	s_delay_alu instid0(VALU_DEP_4)
	v_add_nc_u32_e32 v43, v41, v40
	s_wait_kmcnt 0x0
	s_add_co_i32 s2, s30, -1
	s_mov_b32 s40, s29
	s_ashr_i32 s3, s2, 31
	s_mov_b32 s47, s30
	s_lshr_b32 s3, s3, 27
	s_delay_alu instid0(SALU_CYCLE_1) | instskip(NEXT) | instid1(SALU_CYCLE_1)
	s_add_co_i32 s2, s2, s3
	s_ashr_i32 s44, s2, 5
	s_delay_alu instid0(SALU_CYCLE_1)
	s_cmp_le_i32 s33, s44
	s_cselect_b32 s45, -1, 0
	s_lshl_b32 s46, ttmp9, 5
	s_cmp_gt_i32 ttmp9, -1
	v_add_nc_u32_e32 v6, s46, v39
	s_cselect_b32 s48, -1, 0
	s_cmp_eq_u32 s28, 0x84
	s_cselect_b32 s49, -1, 0
	s_delay_alu instid0(VALU_DEP_1) | instskip(SKIP_3) | instid1(VALU_DEP_4)
	v_ashrrev_i32_e32 v7, 31, v6
	v_add_co_u32 v8, vcc_lo, v6, 16
	v_mul_lo_u32 v22, s9, v6
	v_mad_co_u64_u32 v[2:3], null, s8, v6, 0
	v_add_co_ci_u32_e64 v9, null, 0, v7, vcc_lo
	v_sub_co_u32 v10, vcc_lo, v6, v38
	v_lshlrev_b64_e32 v[12:13], 3, v[6:7]
	s_wait_alu 0xfffd
	v_subrev_co_ci_u32_e64 v11, null, 0, v7, vcc_lo
	s_delay_alu instid0(VALU_DEP_3) | instskip(SKIP_2) | instid1(VALU_DEP_3)
	v_add_co_u32 v14, vcc_lo, v10, 16
	v_mul_lo_u32 v19, s8, v7
	s_wait_alu 0xfffd
	v_add_co_ci_u32_e64 v15, null, 0, v11, vcc_lo
	v_add_co_u32 v4, vcc_lo, 0x80, v12
	s_wait_alu 0xfffd
	v_add_co_ci_u32_e64 v18, null, 0, v13, vcc_lo
	s_lshl_b64 s[6:7], s[6:7], 3
	s_lshl_b64 s[14:15], s[14:15], 3
	v_add3_u32 v3, v3, v19, v22
	v_mul_lo_u32 v23, s8, v18
	v_mul_lo_u32 v24, s9, v4
	v_mad_co_u64_u32 v[20:21], null, s8, v4, s[6:7]
	s_add_nc_u64 s[12:13], s[12:13], s[14:15]
	v_lshlrev_b64_e32 v[2:3], 3, v[2:3]
	v_add_co_u32 v4, s8, s12, v40
	s_wait_alu 0xf1ff
	v_add_co_ci_u32_e64 v19, null, s13, 0, s8
	v_add_co_u32 v16, vcc_lo, v10, -16
	s_wait_alu 0xfffd
	v_add_co_ci_u32_e64 v17, null, -1, v11, vcc_lo
	v_add_co_u32 v18, vcc_lo, 0x80, v4
	v_add3_u32 v4, v24, v21, v23
	v_lshlrev_b32_e32 v21, 3, v38
	s_wait_alu 0xfffd
	v_add_co_ci_u32_e64 v19, null, 0, v19, vcc_lo
	v_add_co_u32 v2, vcc_lo, v2, s6
	v_add_nc_u32_e32 v0, 16, v6
	s_wait_alu 0xfffd
	v_add_co_ci_u32_e64 v3, null, s7, v3, vcc_lo
	v_add_co_u32 v20, vcc_lo, v20, v21
	s_wait_alu 0xfffd
	v_add_co_ci_u32_e64 v4, null, 0, v4, vcc_lo
	v_add_co_u32 v2, vcc_lo, v2, v21
	v_ashrrev_i32_e32 v1, 31, v0
	s_wait_alu 0xfffd
	v_add_co_ci_u32_e64 v3, null, 0, v3, vcc_lo
	v_add_co_u32 v20, vcc_lo, s4, v20
	s_ashr_i32 s41, s29, 31
	s_lshl_b64 s[0:1], s[22:23], 3
	s_wait_alu 0xfffd
	v_add_co_ci_u32_e64 v21, null, s5, v4, vcc_lo
	v_add_co_u32 v22, vcc_lo, s4, v2
	v_cmp_le_i64_e64 s3, s[40:41], v[8:9]
	v_lshlrev_b64_e32 v[24:25], 3, v[0:1]
	s_add_nc_u64 s[20:21], s[20:21], s[0:1]
	v_cmp_le_i32_e64 s0, s29, v6
	v_cmp_gt_i32_e64 s1, s29, v6
	v_cmp_gt_i32_e64 s2, s29, v0
	s_wait_alu 0xfffd
	v_add_co_ci_u32_e64 v23, null, s5, v3, vcc_lo
	v_mov_b32_e32 v4, 1.0
	s_ashr_i32 s50, s30, 31
	s_add_nc_u64 s[22:23], s[40:41], -16
	s_lshl_b64 s[12:13], s[18:19], 3
	s_lshl_b64 s[14:15], s[16:17], 3
	;; [unrolled: 1-line block ×3, first 2 shown]
	s_branch .LBB79_4
.LBB79_3:                               ;   in Loop: Header=BB79_4 Depth=1
	s_add_co_i32 s34, s34, 0x10000
	s_wait_alu 0xfffe
	s_cmp_ge_u32 s34, s31
	s_cbranch_scc1 .LBB79_66
.LBB79_4:                               ; =>This Loop Header: Depth=1
                                        ;     Child Loop BB79_7 Depth 2
                                        ;       Child Loop BB79_10 Depth 3
	s_and_not1_b32 vcc_lo, exec_lo, s45
	s_wait_alu 0xfffe
	s_cbranch_vccnz .LBB79_3
; %bb.5:                                ;   in Loop: Header=BB79_4 Depth=1
	v_mad_co_u64_u32 v[26:27], null, s12, s34, v[18:19]
	s_load_b32 s9, s[38:39], 0x4
	v_mad_co_u64_u32 v[28:29], null, s10, s34, v[20:21]
	s_mul_i32 s6, s11, s34
	v_mad_co_u64_u32 v[30:31], null, s10, s34, v[22:23]
	v_mov_b32_e32 v0, v27
	s_mul_u64 s[4:5], s[26:27], s[34:35]
	s_wait_alu 0xfffe
	v_dual_mov_b32 v32, v44 :: v_dual_add_nc_u32 v29, s6, v29
	s_lshl_b64 s[4:5], s[4:5], 3
	v_mad_co_u64_u32 v[0:1], null, s13, s34, v[0:1]
	s_delay_alu instid0(VALU_DEP_4) | instskip(SKIP_3) | instid1(VALU_DEP_2)
	v_add_nc_u32_e32 v31, s6, v31
	s_wait_alu 0xfffe
	s_add_nc_u64 s[18:19], s[20:21], s[4:5]
	s_mov_b32 s52, s33
	v_mov_b32_e32 v27, v0
	s_wait_kmcnt 0x0
	s_lshl_b32 s51, s9, 5
	s_branch .LBB79_7
.LBB79_6:                               ;   in Loop: Header=BB79_7 Depth=2
	s_wait_alu 0xfffe
	s_or_b32 exec_lo, exec_lo, s4
	v_add_nc_u32_e32 v32, s51, v32
	s_add_co_i32 s52, s9, s52
	s_wait_alu 0xfffe
	s_cmp_gt_i32 s52, s44
	s_cbranch_scc1 .LBB79_3
.LBB79_7:                               ;   Parent Loop BB79_4 Depth=1
                                        ; =>  This Loop Header: Depth=2
                                        ;       Child Loop BB79_10 Depth 3
	s_wait_alu 0xfffe
	v_lshl_add_u32 v48, s52, 5, v38
	v_dual_mov_b32 v55, 0 :: v_dual_mov_b32 v56, 0
	v_dual_mov_b32 v53, 0 :: v_dual_mov_b32 v54, 0
	s_delay_alu instid0(VALU_DEP_3)
	v_ashrrev_i32_e32 v49, 31, v48
	v_dual_mov_b32 v52, 0 :: v_dual_mov_b32 v51, 0
	v_dual_mov_b32 v50, 0 :: v_dual_mov_b32 v33, 0
	s_and_not1_b32 vcc_lo, exec_lo, s48
	s_wait_alu 0xfffe
	s_cbranch_vccnz .LBB79_58
; %bb.8:                                ;   in Loop: Header=BB79_7 Depth=2
	v_ashrrev_i32_e32 v33, 31, v32
	v_mad_co_u64_u32 v[34:35], null, s14, v32, v[26:27]
	v_mul_lo_u32 v2, s15, v32
	v_mov_b32_e32 v51, 0
	s_delay_alu instid0(VALU_DEP_4) | instskip(SKIP_3) | instid1(VALU_DEP_4)
	v_lshlrev_b64_e32 v[0:1], 3, v[32:33]
	v_mul_lo_u32 v52, s14, v33
	v_dual_mov_b32 v33, 0 :: v_dual_mov_b32 v50, 0
	v_dual_mov_b32 v56, 0 :: v_dual_mov_b32 v55, 0
	v_add_co_u32 v3, vcc_lo, 0x80, v0
	s_wait_alu 0xfffd
	v_add_co_ci_u32_e64 v36, null, 0, v1, vcc_lo
	v_sub_co_u32 v0, vcc_lo, s47, v48
	s_delay_alu instid0(VALU_DEP_3) | instskip(NEXT) | instid1(VALU_DEP_3)
	v_mul_lo_u32 v54, s17, v3
	v_mul_lo_u32 v53, s16, v36
	v_mad_co_u64_u32 v[36:37], null, s16, v3, v[26:27]
	s_wait_alu 0xfffd
	v_sub_co_ci_u32_e64 v1, null, s50, v49, vcc_lo
	v_add3_u32 v35, v2, v35, v52
	v_mov_b32_e32 v52, 0
	s_mov_b64 s[28:29], 0
	s_delay_alu instid0(VALU_DEP_3)
	v_cmp_lt_i64_e64 s4, 16, v[0:1]
	v_add3_u32 v37, v54, v37, v53
	v_dual_mov_b32 v54, 0 :: v_dual_mov_b32 v53, 0
	s_mov_b64 s[42:43], 0
	v_cmp_lt_i64_e32 vcc_lo, 0, v[0:1]
	s_branch .LBB79_10
.LBB79_9:                               ;   in Loop: Header=BB79_10 Depth=3
	s_wait_alu 0xfffe
	s_or_b32 exec_lo, exec_lo, s5
	s_wait_dscnt 0x0
	s_barrier_signal -1
	s_barrier_wait -1
	global_inv scope:SCOPE_SE
	ds_load_b128 v[57:60], v41
	ds_load_2addr_b64 v[61:64], v40 offset1:16
	ds_load_b128 v[65:68], v41 offset:4096
	ds_load_b128 v[69:72], v41 offset:16
	;; [unrolled: 1-line block ×4, first 2 shown]
	ds_load_2addr_b64 v[77:80], v40 offset0:32 offset1:48
	ds_load_b128 v[81:84], v41 offset:4112
	s_add_nc_u64 s[42:43], s[42:43], 32
	s_add_nc_u64 s[28:29], s[28:29], 0x100
	s_wait_alu 0xfffe
	s_sub_co_i32 s5, s42, 32
	s_wait_alu 0xfffe
	s_cmp_ge_i32 s5, s46
	s_wait_dscnt 0x6
	v_dual_mul_f32 v85, v58, v62 :: v_dual_mul_f32 v88, v57, v64
	v_dual_mul_f32 v86, v57, v62 :: v_dual_mul_f32 v87, v58, v64
	s_wait_dscnt 0x5
	v_mul_f32_e32 v89, v66, v62
	s_delay_alu instid0(VALU_DEP_3)
	v_fma_f32 v85, v57, v61, -v85
	v_mul_f32_e32 v62, v65, v62
	v_fmac_f32_e32 v86, v58, v61
	v_fma_f32 v57, v57, v63, -v87
	v_mul_f32_e32 v90, v66, v64
	v_mul_f32_e32 v64, v65, v64
	v_fmac_f32_e32 v88, v58, v63
	v_fma_f32 v58, v65, v61, -v89
	v_add_f32_e32 v55, v55, v85
	s_delay_alu instid0(VALU_DEP_4)
	v_dual_add_f32 v57, v53, v57 :: v_dual_fmac_f32 v64, v66, v63
	v_fmac_f32_e32 v62, v66, v61
	v_fma_f32 v61, v65, v63, -v90
	s_wait_dscnt 0x1
	v_mul_f32_e32 v65, v60, v78
	v_mul_f32_e32 v63, v59, v78
	v_add_f32_e32 v56, v56, v86
	v_add_f32_e32 v54, v54, v88
	;; [unrolled: 1-line block ×3, first 2 shown]
	v_fma_f32 v65, v59, v77, -v65
	v_dual_add_f32 v58, v52, v58 :: v_dual_add_f32 v33, v33, v64
	v_dual_fmac_f32 v63, v60, v77 :: v_dual_add_f32 v62, v51, v62
	ds_load_2addr_b64 v[50:53], v40 offset0:64 offset1:80
	v_mul_f32_e32 v66, v60, v80
	v_mul_f32_e32 v64, v59, v80
	v_add_f32_e32 v65, v55, v65
	v_dual_add_f32 v63, v56, v63 :: v_dual_mul_f32 v56, v67, v78
	s_delay_alu instid0(VALU_DEP_4) | instskip(SKIP_2) | instid1(VALU_DEP_3)
	v_fma_f32 v55, v59, v79, -v66
	v_mul_f32_e32 v59, v68, v78
	v_fmac_f32_e32 v64, v60, v79
	v_add_f32_e32 v60, v57, v55
	s_delay_alu instid0(VALU_DEP_3) | instskip(SKIP_1) | instid1(VALU_DEP_4)
	v_fma_f32 v55, v67, v77, -v59
	v_mul_f32_e32 v57, v68, v80
	v_add_f32_e32 v59, v54, v64
	v_mul_f32_e32 v64, v67, v80
	s_delay_alu instid0(VALU_DEP_3) | instskip(SKIP_2) | instid1(VALU_DEP_2)
	v_fma_f32 v54, v67, v79, -v57
	s_wait_dscnt 0x0
	v_mul_f32_e32 v66, v69, v51
	v_add_f32_e32 v61, v61, v54
	s_delay_alu instid0(VALU_DEP_2) | instskip(SKIP_2) | instid1(VALU_DEP_3)
	v_fmac_f32_e32 v66, v70, v50
	v_add_f32_e32 v58, v58, v55
	v_mul_f32_e32 v55, v70, v51
	v_dual_add_f32 v63, v63, v66 :: v_dual_mul_f32 v66, v82, v51
	s_delay_alu instid0(VALU_DEP_2) | instskip(SKIP_2) | instid1(VALU_DEP_2)
	v_fma_f32 v67, v69, v50, -v55
	v_mul_f32_e32 v51, v81, v51
	v_fmac_f32_e32 v64, v68, v79
	v_dual_fmac_f32 v56, v68, v77 :: v_dual_fmac_f32 v51, v82, v50
	s_delay_alu instid0(VALU_DEP_2) | instskip(SKIP_2) | instid1(VALU_DEP_1)
	v_add_f32_e32 v33, v33, v64
	v_add_f32_e32 v64, v65, v67
	v_mul_f32_e32 v65, v69, v53
	v_fmac_f32_e32 v65, v70, v52
	v_add_f32_e32 v62, v62, v56
	ds_load_2addr_b64 v[54:57], v40 offset0:96 offset1:112
	v_mul_f32_e32 v68, v70, v53
	v_add_f32_e32 v59, v59, v65
	s_delay_alu instid0(VALU_DEP_2) | instskip(SKIP_1) | instid1(VALU_DEP_1)
	v_fma_f32 v67, v69, v52, -v68
	v_mul_f32_e32 v68, v81, v53
	v_fmac_f32_e32 v68, v82, v52
	s_delay_alu instid0(VALU_DEP_1) | instskip(SKIP_3) | instid1(VALU_DEP_2)
	v_add_f32_e32 v33, v33, v68
	v_fma_f32 v66, v81, v50, -v66
	v_dual_add_f32 v60, v60, v67 :: v_dual_mul_f32 v67, v82, v53
	s_wait_dscnt 0x0
	v_dual_add_f32 v65, v58, v66 :: v_dual_mul_f32 v58, v72, v55
	s_delay_alu instid0(VALU_DEP_2) | instskip(SKIP_1) | instid1(VALU_DEP_3)
	v_fma_f32 v50, v81, v52, -v67
	v_mul_f32_e32 v67, v72, v57
	v_fma_f32 v58, v71, v54, -v58
	s_delay_alu instid0(VALU_DEP_3) | instskip(NEXT) | instid1(VALU_DEP_3)
	v_dual_add_f32 v66, v61, v50 :: v_dual_mul_f32 v61, v71, v55
	v_fma_f32 v67, v71, v56, -v67
	s_delay_alu instid0(VALU_DEP_3) | instskip(SKIP_1) | instid1(VALU_DEP_4)
	v_add_f32_e32 v64, v64, v58
	v_mul_f32_e32 v58, v84, v55
	v_dual_fmac_f32 v61, v72, v54 :: v_dual_add_f32 v62, v62, v51
	ds_load_2addr_b64 v[50:53], v40 offset0:128 offset1:144
	v_mul_f32_e32 v55, v83, v55
	v_mul_f32_e32 v68, v71, v57
	v_fma_f32 v69, v83, v54, -v58
	v_mul_f32_e32 v70, v84, v57
	v_add_f32_e32 v63, v63, v61
	v_fmac_f32_e32 v55, v84, v54
	s_delay_alu instid0(VALU_DEP_4) | instskip(SKIP_3) | instid1(VALU_DEP_3)
	v_dual_fmac_f32 v68, v72, v56 :: v_dual_add_f32 v69, v65, v69
	v_mul_f32_e32 v65, v83, v57
	v_add_f32_e32 v67, v60, v67
	v_fma_f32 v54, v83, v56, -v70
	v_dual_add_f32 v70, v62, v55 :: v_dual_fmac_f32 v65, v84, v56
	s_delay_alu instid0(VALU_DEP_1) | instskip(SKIP_4) | instid1(VALU_DEP_3)
	v_dual_add_f32 v66, v66, v54 :: v_dual_add_f32 v33, v33, v65
	s_wait_dscnt 0x0
	v_mul_f32_e32 v57, v74, v51
	v_mul_f32_e32 v77, v73, v53
	;; [unrolled: 1-line block ×3, first 2 shown]
	v_fma_f32 v71, v73, v50, -v57
	v_add_f32_e32 v68, v59, v68
	ds_load_b128 v[58:61], v41 offset:4128
	ds_load_2addr_b64 v[54:57], v40 offset0:160 offset1:176
	v_mul_f32_e32 v72, v74, v53
	v_fmac_f32_e32 v77, v74, v52
	v_add_f32_e32 v71, v64, v71
	s_delay_alu instid0(VALU_DEP_3) | instskip(NEXT) | instid1(VALU_DEP_1)
	v_fma_f32 v72, v73, v52, -v72
	v_dual_fmac_f32 v62, v74, v50 :: v_dual_add_f32 v67, v67, v72
	s_delay_alu instid0(VALU_DEP_1)
	v_add_f32_e32 v78, v63, v62
	ds_load_b128 v[62:65], v41 offset:4144
	s_wait_dscnt 0x2
	v_mul_f32_e32 v73, v59, v51
	v_dual_mul_f32 v51, v58, v51 :: v_dual_mul_f32 v72, v59, v53
	s_wait_dscnt 0x1
	v_dual_mul_f32 v74, v58, v53 :: v_dual_mul_f32 v53, v76, v55
	s_delay_alu instid0(VALU_DEP_3) | instskip(NEXT) | instid1(VALU_DEP_3)
	v_fma_f32 v73, v58, v50, -v73
	v_fmac_f32_e32 v51, v59, v50
	v_fma_f32 v50, v58, v52, -v72
	v_add_f32_e32 v68, v68, v77
	s_delay_alu instid0(VALU_DEP_3)
	v_dual_add_f32 v58, v69, v73 :: v_dual_add_f32 v69, v70, v51
	v_fma_f32 v70, v75, v54, -v53
	v_dual_mul_f32 v73, v61, v55 :: v_dual_fmac_f32 v74, v59, v52
	v_dual_add_f32 v59, v66, v50 :: v_dual_mul_f32 v66, v75, v55
	ds_load_2addr_b64 v[50:53], v40 offset0:192 offset1:208
	v_add_f32_e32 v70, v71, v70
	v_mul_f32_e32 v71, v75, v57
	v_mul_f32_e32 v55, v60, v55
	v_dual_mul_f32 v72, v76, v57 :: v_dual_add_f32 v33, v33, v74
	v_fmac_f32_e32 v66, v76, v54
	s_delay_alu instid0(VALU_DEP_4) | instskip(NEXT) | instid1(VALU_DEP_4)
	v_fmac_f32_e32 v71, v76, v56
	v_fmac_f32_e32 v55, v61, v54
	s_delay_alu instid0(VALU_DEP_4) | instskip(NEXT) | instid1(VALU_DEP_4)
	v_fma_f32 v72, v75, v56, -v72
	v_add_f32_e32 v66, v78, v66
	s_delay_alu instid0(VALU_DEP_2) | instskip(SKIP_2) | instid1(VALU_DEP_2)
	v_dual_add_f32 v68, v68, v71 :: v_dual_add_f32 v67, v67, v72
	v_fma_f32 v72, v60, v54, -v73
	v_mul_f32_e32 v54, v61, v57
	v_dual_mul_f32 v71, v60, v57 :: v_dual_add_f32 v58, v58, v72
	s_wait_dscnt 0x0
	v_mul_f32_e32 v73, v0, v53
	s_delay_alu instid0(VALU_DEP_2) | instskip(SKIP_4) | instid1(VALU_DEP_4)
	v_fmac_f32_e32 v71, v61, v56
	v_mul_f32_e32 v61, v0, v51
	v_fma_f32 v60, v60, v56, -v54
	v_mul_f32_e32 v72, v1, v51
	v_fmac_f32_e32 v73, v1, v52
	v_fmac_f32_e32 v61, v1, v50
	s_delay_alu instid0(VALU_DEP_4) | instskip(NEXT) | instid1(VALU_DEP_4)
	v_add_f32_e32 v59, v59, v60
	v_fma_f32 v60, v0, v50, -v72
	v_add_f32_e32 v69, v69, v55
	ds_load_2addr_b64 v[54:57], v40 offset0:224 offset1:240
	v_dual_mul_f32 v72, v1, v53 :: v_dual_mul_f32 v1, v63, v51
	v_add_f32_e32 v70, v70, v60
	v_dual_mul_f32 v51, v62, v51 :: v_dual_mul_f32 v60, v63, v53
	s_delay_alu instid0(VALU_DEP_3) | instskip(NEXT) | instid1(VALU_DEP_4)
	v_fma_f32 v0, v0, v52, -v72
	v_fma_f32 v1, v62, v50, -v1
	s_delay_alu instid0(VALU_DEP_2) | instskip(SKIP_2) | instid1(VALU_DEP_2)
	v_dual_add_f32 v0, v67, v0 :: v_dual_add_f32 v67, v68, v73
	v_dual_mul_f32 v68, v62, v53 :: v_dual_add_f32 v33, v33, v71
	v_add_f32_e32 v66, v66, v61
	v_fmac_f32_e32 v68, v63, v52
	s_wait_dscnt 0x0
	v_mul_f32_e32 v53, v3, v55
	v_mul_f32_e32 v72, v3, v57
	v_fmac_f32_e32 v51, v63, v50
	v_fma_f32 v50, v62, v52, -v60
	v_add_f32_e32 v62, v58, v1
	v_fma_f32 v1, v2, v54, -v53
	v_add_f32_e32 v33, v33, v68
	v_dual_add_f32 v71, v69, v51 :: v_dual_mul_f32 v68, v2, v57
	s_delay_alu instid0(VALU_DEP_3)
	v_dual_add_f32 v63, v59, v50 :: v_dual_add_f32 v70, v70, v1
	ds_load_b128 v[50:53], v41 offset:64
	ds_load_2addr_b64 v[58:61], v45 offset1:16
	v_dual_mul_f32 v69, v2, v55 :: v_dual_fmac_f32 v68, v3, v56
	v_fma_f32 v1, v2, v56, -v72
	v_mul_f32_e32 v2, v65, v55
	v_mul_f32_e32 v55, v64, v55
	s_delay_alu instid0(VALU_DEP_4) | instskip(NEXT) | instid1(VALU_DEP_4)
	v_fmac_f32_e32 v69, v3, v54
	v_dual_add_f32 v74, v67, v68 :: v_dual_add_f32 v73, v0, v1
	s_delay_alu instid0(VALU_DEP_2)
	v_dual_fmac_f32 v55, v65, v54 :: v_dual_add_f32 v72, v66, v69
	v_fma_f32 v66, v64, v54, -v2
	v_mul_f32_e32 v69, v65, v57
	ds_load_b128 v[0:3], v41 offset:4160
	v_add_f32_e32 v75, v62, v66
	v_fma_f32 v54, v64, v56, -v69
	v_mul_f32_e32 v62, v64, v57
	s_wait_dscnt 0x1
	v_mul_f32_e32 v64, v50, v59
	v_mul_f32_e32 v77, v50, v61
	ds_load_b128 v[66:69], v41 offset:80
	v_add_f32_e32 v76, v63, v54
	v_fmac_f32_e32 v62, v65, v56
	v_fmac_f32_e32 v64, v51, v58
	v_mul_f32_e32 v57, v51, v59
	s_delay_alu instid0(VALU_DEP_2) | instskip(NEXT) | instid1(VALU_DEP_2)
	v_dual_mul_f32 v65, v51, v61 :: v_dual_add_f32 v72, v72, v64
	v_fma_f32 v63, v50, v58, -v57
	s_wait_dscnt 0x1
	v_mul_f32_e32 v78, v1, v59
	s_delay_alu instid0(VALU_DEP_3) | instskip(NEXT) | instid1(VALU_DEP_3)
	v_fma_f32 v50, v50, v60, -v65
	v_add_f32_e32 v70, v70, v63
	v_add_f32_e32 v71, v71, v55
	ds_load_2addr_b64 v[54:57], v45 offset0:32 offset1:48
	v_fmac_f32_e32 v77, v51, v60
	v_dual_mul_f32 v51, v0, v59 :: v_dual_add_f32 v50, v73, v50
	v_mul_f32_e32 v59, v1, v61
	v_fma_f32 v73, v0, v58, -v78
	s_delay_alu instid0(VALU_DEP_3)
	v_fmac_f32_e32 v51, v1, v58
	s_wait_dscnt 0x0
	v_mul_f32_e32 v58, v53, v55
	v_dual_add_f32 v33, v33, v62 :: v_dual_add_f32 v74, v74, v77
	v_mul_f32_e32 v77, v0, v61
	v_fma_f32 v0, v0, v60, -v59
	ds_load_b128 v[62:65], v41 offset:4176
	v_fmac_f32_e32 v77, v1, v60
	v_fma_f32 v1, v52, v54, -v58
	ds_load_2addr_b64 v[58:61], v45 offset0:64 offset1:80
	v_dual_add_f32 v70, v70, v1 :: v_dual_add_f32 v51, v71, v51
	v_add_f32_e32 v71, v76, v0
	v_mul_f32_e32 v0, v52, v55
	s_delay_alu instid0(VALU_DEP_1) | instskip(SKIP_1) | instid1(VALU_DEP_2)
	v_dual_mul_f32 v1, v52, v57 :: v_dual_fmac_f32 v0, v53, v54
	v_add_f32_e32 v73, v75, v73
	v_dual_mul_f32 v75, v53, v57 :: v_dual_add_f32 v72, v72, v0
	s_delay_alu instid0(VALU_DEP_1) | instskip(SKIP_2) | instid1(VALU_DEP_3)
	v_fma_f32 v52, v52, v56, -v75
	v_mul_f32_e32 v75, v3, v55
	v_mul_f32_e32 v55, v2, v55
	v_add_f32_e32 v50, v50, v52
	s_delay_alu instid0(VALU_DEP_3) | instskip(NEXT) | instid1(VALU_DEP_3)
	v_fma_f32 v0, v2, v54, -v75
	v_fmac_f32_e32 v55, v3, v54
	v_mul_f32_e32 v52, v3, v57
	s_delay_alu instid0(VALU_DEP_3) | instskip(NEXT) | instid1(VALU_DEP_3)
	v_dual_mul_f32 v54, v2, v57 :: v_dual_add_f32 v57, v73, v0
	v_add_f32_e32 v51, v51, v55
	s_wait_dscnt 0x0
	v_mul_f32_e32 v55, v67, v59
	v_fma_f32 v52, v2, v56, -v52
	v_dual_fmac_f32 v54, v3, v56 :: v_dual_mul_f32 v73, v66, v61
	s_delay_alu instid0(VALU_DEP_3) | instskip(SKIP_1) | instid1(VALU_DEP_4)
	v_fma_f32 v55, v66, v58, -v55
	v_dual_fmac_f32 v1, v53, v56 :: v_dual_mul_f32 v56, v66, v59
	v_dual_add_f32 v33, v33, v77 :: v_dual_add_f32 v52, v71, v52
	s_delay_alu instid0(VALU_DEP_3) | instskip(NEXT) | instid1(VALU_DEP_3)
	v_dual_mul_f32 v71, v67, v61 :: v_dual_add_f32 v70, v70, v55
	v_fmac_f32_e32 v56, v67, v58
	s_delay_alu instid0(VALU_DEP_3) | instskip(SKIP_1) | instid1(VALU_DEP_4)
	v_add_f32_e32 v33, v33, v54
	v_mul_f32_e32 v55, v63, v59
	v_fma_f32 v54, v66, v60, -v71
	s_delay_alu instid0(VALU_DEP_4)
	v_add_f32_e32 v66, v72, v56
	v_mul_f32_e32 v56, v62, v59
	v_add_f32_e32 v53, v74, v1
	ds_load_2addr_b64 v[0:3], v45 offset0:96 offset1:112
	v_fmac_f32_e32 v73, v67, v60
	v_dual_add_f32 v59, v50, v54 :: v_dual_mul_f32 v50, v63, v61
	s_delay_alu instid0(VALU_DEP_2) | instskip(SKIP_2) | instid1(VALU_DEP_4)
	v_dual_fmac_f32 v56, v63, v58 :: v_dual_add_f32 v67, v53, v73
	v_fma_f32 v53, v62, v58, -v55
	v_mul_f32_e32 v58, v62, v61
	v_fma_f32 v50, v62, v60, -v50
	s_delay_alu instid0(VALU_DEP_3) | instskip(NEXT) | instid1(VALU_DEP_2)
	v_add_f32_e32 v62, v57, v53
	v_dual_fmac_f32 v58, v63, v60 :: v_dual_add_f32 v63, v52, v50
	s_delay_alu instid0(VALU_DEP_1) | instskip(SKIP_4) | instid1(VALU_DEP_3)
	v_add_f32_e32 v33, v33, v58
	s_wait_dscnt 0x0
	v_mul_f32_e32 v54, v69, v1
	v_mul_f32_e32 v58, v68, v3
	v_dual_mul_f32 v61, v68, v1 :: v_dual_mul_f32 v72, v69, v3
	v_fma_f32 v60, v68, v0, -v54
	s_delay_alu instid0(VALU_DEP_3) | instskip(NEXT) | instid1(VALU_DEP_3)
	v_fmac_f32_e32 v58, v69, v2
	v_fmac_f32_e32 v61, v69, v0
	v_add_f32_e32 v71, v51, v56
	ds_load_b128 v[50:53], v41 offset:96
	ds_load_2addr_b64 v[54:57], v45 offset0:128 offset1:144
	v_add_f32_e32 v70, v70, v60
	v_fma_f32 v60, v68, v2, -v72
	v_mul_f32_e32 v68, v65, v1
	v_add_f32_e32 v72, v66, v61
	s_delay_alu instid0(VALU_DEP_2) | instskip(NEXT) | instid1(VALU_DEP_1)
	v_fma_f32 v66, v64, v0, -v68
	v_dual_mul_f32 v68, v65, v3 :: v_dual_add_f32 v75, v62, v66
	v_mul_f32_e32 v62, v64, v3
	v_dual_mul_f32 v1, v64, v1 :: v_dual_add_f32 v74, v67, v58
	s_delay_alu instid0(VALU_DEP_2) | instskip(NEXT) | instid1(VALU_DEP_2)
	v_fmac_f32_e32 v62, v65, v2
	v_fmac_f32_e32 v1, v65, v0
	v_fma_f32 v0, v64, v2, -v68
	s_wait_dscnt 0x0
	v_mul_f32_e32 v3, v51, v55
	v_mul_f32_e32 v64, v50, v55
	ds_load_b128 v[66:69], v41 offset:112
	v_add_f32_e32 v76, v63, v0
	v_fma_f32 v63, v50, v54, -v3
	v_add_f32_e32 v73, v59, v60
	ds_load_b128 v[58:61], v41 offset:4192
	v_mul_f32_e32 v65, v51, v57
	v_dual_mul_f32 v77, v50, v57 :: v_dual_fmac_f32 v64, v51, v54
	v_dual_add_f32 v70, v70, v63 :: v_dual_add_f32 v33, v33, v62
	s_delay_alu instid0(VALU_DEP_3) | instskip(NEXT) | instid1(VALU_DEP_3)
	v_fma_f32 v50, v50, v56, -v65
	v_fmac_f32_e32 v77, v51, v56
	s_delay_alu instid0(VALU_DEP_4)
	v_add_f32_e32 v72, v72, v64
	ds_load_b128 v[62:65], v41 offset:4208
	v_dual_add_f32 v50, v73, v50 :: v_dual_add_f32 v71, v71, v1
	ds_load_2addr_b64 v[0:3], v45 offset0:160 offset1:176
	s_wait_dscnt 0x2
	v_mul_f32_e32 v78, v59, v55
	s_delay_alu instid0(VALU_DEP_1) | instskip(SKIP_4) | instid1(VALU_DEP_4)
	v_fma_f32 v73, v58, v54, -v78
	v_mul_f32_e32 v51, v58, v55
	v_mul_f32_e32 v55, v59, v57
	v_add_f32_e32 v74, v74, v77
	v_mul_f32_e32 v77, v58, v57
	v_fmac_f32_e32 v51, v59, v54
	s_delay_alu instid0(VALU_DEP_4) | instskip(SKIP_1) | instid1(VALU_DEP_4)
	v_fma_f32 v54, v58, v56, -v55
	v_add_f32_e32 v58, v75, v73
	v_fmac_f32_e32 v77, v59, v56
	s_wait_dscnt 0x0
	v_mul_f32_e32 v75, v53, v3
	v_add_f32_e32 v51, v71, v51
	v_add_f32_e32 v59, v76, v54
	v_mul_f32_e32 v55, v53, v1
	s_delay_alu instid0(VALU_DEP_1)
	v_fma_f32 v73, v52, v0, -v55
	ds_load_2addr_b64 v[54:57], v45 offset0:192 offset1:208
	v_mul_f32_e32 v71, v52, v1
	v_dual_add_f32 v70, v70, v73 :: v_dual_mul_f32 v73, v52, v3
	v_fma_f32 v52, v52, v2, -v75
	v_mul_f32_e32 v75, v61, v1
	v_mul_f32_e32 v1, v60, v1
	v_fmac_f32_e32 v71, v53, v0
	s_delay_alu instid0(VALU_DEP_4) | instskip(NEXT) | instid1(VALU_DEP_4)
	v_add_f32_e32 v50, v50, v52
	v_fma_f32 v52, v60, v0, -v75
	s_delay_alu instid0(VALU_DEP_4) | instskip(SKIP_4) | instid1(VALU_DEP_4)
	v_fmac_f32_e32 v1, v61, v0
	v_mul_f32_e32 v0, v61, v3
	v_add_f32_e32 v71, v72, v71
	v_mul_f32_e32 v72, v60, v3
	v_dual_add_f32 v52, v58, v52 :: v_dual_fmac_f32 v73, v53, v2
	v_fma_f32 v58, v60, v2, -v0
	s_wait_dscnt 0x0
	v_mul_f32_e32 v60, v67, v55
	v_dual_fmac_f32 v72, v61, v2 :: v_dual_add_f32 v51, v51, v1
	ds_load_2addr_b64 v[0:3], v45 offset0:224 offset1:240
	v_add_f32_e32 v58, v59, v58
	v_fma_f32 v59, v66, v54, -v60
	v_dual_mul_f32 v60, v67, v57 :: v_dual_mul_f32 v61, v66, v55
	s_delay_alu instid0(VALU_DEP_1) | instskip(NEXT) | instid1(VALU_DEP_1)
	v_fma_f32 v60, v66, v56, -v60
	v_dual_fmac_f32 v61, v67, v54 :: v_dual_add_f32 v60, v50, v60
	v_add_f32_e32 v53, v74, v73
	v_dual_mul_f32 v73, v66, v57 :: v_dual_mul_f32 v66, v63, v55
	v_dual_mul_f32 v55, v62, v55 :: v_dual_mul_f32 v50, v63, v57
	s_delay_alu instid0(VALU_DEP_2) | instskip(NEXT) | instid1(VALU_DEP_2)
	v_fmac_f32_e32 v73, v67, v56
	v_fmac_f32_e32 v55, v63, v54
	s_delay_alu instid0(VALU_DEP_3) | instskip(NEXT) | instid1(VALU_DEP_3)
	v_fma_f32 v50, v62, v56, -v50
	v_add_f32_e32 v67, v53, v73
	v_fma_f32 v53, v62, v54, -v66
	v_mul_f32_e32 v66, v62, v57
	v_add_f32_e32 v33, v33, v77
	s_wait_dscnt 0x0
	v_mul_f32_e32 v54, v69, v1
	v_add_f32_e32 v62, v52, v53
	v_dual_fmac_f32 v66, v63, v56 :: v_dual_add_f32 v63, v58, v50
	v_add_f32_e32 v59, v70, v59
	v_add_f32_e32 v70, v51, v55
	v_fma_f32 v58, v68, v0, -v54
	ds_load_b128 v[50:53], v41 offset:128
	ds_load_2addr_b64 v[54:57], v46 offset1:16
	v_add_f32_e32 v33, v33, v72
	v_dual_mul_f32 v72, v69, v3 :: v_dual_add_f32 v73, v59, v58
	v_mul_f32_e32 v59, v65, v1
	s_delay_alu instid0(VALU_DEP_3) | instskip(NEXT) | instid1(VALU_DEP_3)
	v_dual_add_f32 v33, v33, v66 :: v_dual_mul_f32 v66, v68, v3
	v_fma_f32 v58, v68, v2, -v72
	s_delay_alu instid0(VALU_DEP_2) | instskip(NEXT) | instid1(VALU_DEP_2)
	v_fmac_f32_e32 v66, v69, v2
	v_dual_add_f32 v72, v60, v58 :: v_dual_add_f32 v61, v71, v61
	v_mul_f32_e32 v71, v68, v1
	v_fma_f32 v68, v64, v0, -v59
	s_delay_alu instid0(VALU_DEP_4) | instskip(NEXT) | instid1(VALU_DEP_3)
	v_dual_mul_f32 v1, v64, v1 :: v_dual_add_f32 v74, v67, v66
	v_fmac_f32_e32 v71, v69, v0
	v_mul_f32_e32 v69, v65, v3
	s_delay_alu instid0(VALU_DEP_4) | instskip(NEXT) | instid1(VALU_DEP_4)
	v_dual_add_f32 v75, v62, v68 :: v_dual_mul_f32 v62, v64, v3
	v_fmac_f32_e32 v1, v65, v0
	s_wait_dscnt 0x0
	v_mul_f32_e32 v3, v51, v55
	v_fma_f32 v0, v64, v2, -v69
	v_mul_f32_e32 v64, v50, v55
	v_dual_fmac_f32 v62, v65, v2 :: v_dual_mul_f32 v65, v51, v57
	s_delay_alu instid0(VALU_DEP_3) | instskip(SKIP_2) | instid1(VALU_DEP_4)
	v_dual_mul_f32 v77, v50, v57 :: v_dual_add_f32 v76, v63, v0
	v_fma_f32 v63, v50, v54, -v3
	v_add_f32_e32 v70, v70, v1
	v_fma_f32 v50, v50, v56, -v65
	ds_load_2addr_b64 v[0:3], v46 offset0:32 offset1:48
	ds_load_b128 v[66:69], v41 offset:144
	v_fmac_f32_e32 v64, v51, v54
	v_dual_fmac_f32 v77, v51, v56 :: v_dual_add_f32 v50, v72, v50
	v_add_f32_e32 v71, v61, v71
	ds_load_b128 v[58:61], v41 offset:4224
	v_add_f32_e32 v74, v74, v77
	s_wait_dscnt 0x0
	v_mul_f32_e32 v78, v59, v55
	v_mul_f32_e32 v51, v58, v55
	;; [unrolled: 1-line block ×4, first 2 shown]
	s_delay_alu instid0(VALU_DEP_4) | instskip(NEXT) | instid1(VALU_DEP_4)
	v_fma_f32 v72, v58, v54, -v78
	v_fmac_f32_e32 v51, v59, v54
	s_delay_alu instid0(VALU_DEP_4) | instskip(SKIP_3) | instid1(VALU_DEP_4)
	v_fma_f32 v54, v58, v56, -v55
	v_mul_f32_e32 v55, v53, v1
	v_fmac_f32_e32 v77, v59, v56
	v_dual_add_f32 v58, v75, v72 :: v_dual_mul_f32 v75, v53, v3
	v_add_f32_e32 v59, v76, v54
	s_delay_alu instid0(VALU_DEP_4) | instskip(SKIP_3) | instid1(VALU_DEP_2)
	v_fma_f32 v72, v52, v0, -v55
	ds_load_2addr_b64 v[54:57], v46 offset0:64 offset1:80
	v_add_f32_e32 v73, v73, v63
	v_dual_add_f32 v51, v70, v51 :: v_dual_mul_f32 v70, v52, v1
	v_dual_add_f32 v72, v73, v72 :: v_dual_mul_f32 v73, v52, v3
	v_fma_f32 v52, v52, v2, -v75
	v_mul_f32_e32 v75, v61, v1
	s_delay_alu instid0(VALU_DEP_4) | instskip(NEXT) | instid1(VALU_DEP_3)
	v_dual_fmac_f32 v70, v53, v0 :: v_dual_mul_f32 v1, v60, v1
	v_dual_fmac_f32 v73, v53, v2 :: v_dual_add_f32 v50, v50, v52
	s_delay_alu instid0(VALU_DEP_3) | instskip(SKIP_1) | instid1(VALU_DEP_4)
	v_fma_f32 v52, v60, v0, -v75
	v_add_f32_e32 v33, v33, v62
	v_fmac_f32_e32 v1, v61, v0
	s_delay_alu instid0(VALU_DEP_4) | instskip(NEXT) | instid1(VALU_DEP_4)
	v_dual_mul_f32 v0, v61, v3 :: v_dual_add_f32 v53, v74, v73
	v_add_f32_e32 v52, v58, v52
	v_add_f32_e32 v71, v71, v64
	ds_load_b128 v[62:65], v41 offset:4240
	v_add_f32_e32 v51, v51, v1
	v_fma_f32 v58, v60, v2, -v0
	s_wait_dscnt 0x1
	v_dual_mul_f32 v73, v66, v57 :: v_dual_add_f32 v70, v71, v70
	v_mul_f32_e32 v71, v60, v3
	v_mul_f32_e32 v60, v67, v55
	v_add_f32_e32 v58, v59, v58
	s_delay_alu instid0(VALU_DEP_4) | instskip(NEXT) | instid1(VALU_DEP_4)
	v_fmac_f32_e32 v73, v67, v56
	v_fmac_f32_e32 v71, v61, v2
	ds_load_2addr_b64 v[0:3], v46 offset0:96 offset1:112
	v_fma_f32 v59, v66, v54, -v60
	v_dual_mul_f32 v60, v67, v57 :: v_dual_mul_f32 v61, v66, v55
	s_delay_alu instid0(VALU_DEP_2) | instskip(NEXT) | instid1(VALU_DEP_2)
	v_add_f32_e32 v59, v72, v59
	v_fma_f32 v60, v66, v56, -v60
	s_delay_alu instid0(VALU_DEP_3)
	v_fmac_f32_e32 v61, v67, v54
	s_wait_dscnt 0x1
	v_mul_f32_e32 v66, v63, v55
	v_mul_f32_e32 v55, v62, v55
	v_dual_add_f32 v67, v53, v73 :: v_dual_add_f32 v60, v50, v60
	v_mul_f32_e32 v50, v63, v57
	s_delay_alu instid0(VALU_DEP_4) | instskip(NEXT) | instid1(VALU_DEP_4)
	v_fma_f32 v53, v62, v54, -v66
	v_dual_fmac_f32 v55, v63, v54 :: v_dual_mul_f32 v66, v62, v57
	v_add_f32_e32 v61, v70, v61
	s_delay_alu instid0(VALU_DEP_4) | instskip(NEXT) | instid1(VALU_DEP_4)
	v_fma_f32 v50, v62, v56, -v50
	v_add_f32_e32 v62, v52, v53
	s_wait_dscnt 0x0
	v_mul_f32_e32 v54, v69, v1
	v_add_f32_e32 v70, v51, v55
	v_dual_fmac_f32 v66, v63, v56 :: v_dual_add_f32 v63, v58, v50
	v_mul_f32_e32 v72, v69, v3
	s_delay_alu instid0(VALU_DEP_4)
	v_fma_f32 v58, v68, v0, -v54
	ds_load_b128 v[50:53], v41 offset:160
	ds_load_2addr_b64 v[54:57], v46 offset0:128 offset1:144
	v_add_f32_e32 v33, v33, v77
	v_add_f32_e32 v73, v59, v58
	v_mul_f32_e32 v59, v65, v1
	s_delay_alu instid0(VALU_DEP_3) | instskip(SKIP_3) | instid1(VALU_DEP_4)
	v_add_f32_e32 v33, v33, v71
	v_mul_f32_e32 v71, v68, v1
	v_fma_f32 v58, v68, v2, -v72
	v_mul_f32_e32 v1, v64, v1
	v_dual_add_f32 v33, v33, v66 :: v_dual_mul_f32 v66, v68, v3
	s_delay_alu instid0(VALU_DEP_4) | instskip(SKIP_1) | instid1(VALU_DEP_4)
	v_fmac_f32_e32 v71, v69, v0
	v_fma_f32 v68, v64, v0, -v59
	v_dual_add_f32 v72, v60, v58 :: v_dual_fmac_f32 v1, v65, v0
	s_delay_alu instid0(VALU_DEP_4)
	v_fmac_f32_e32 v66, v69, v2
	v_mul_f32_e32 v69, v65, v3
	v_add_f32_e32 v71, v61, v71
	ds_load_b128 v[58:61], v41 offset:4256
	v_dual_add_f32 v75, v62, v68 :: v_dual_mul_f32 v62, v64, v3
	v_fma_f32 v0, v64, v2, -v69
	s_wait_dscnt 0x1
	v_dual_mul_f32 v3, v51, v55 :: v_dual_add_f32 v70, v70, v1
	v_mul_f32_e32 v64, v50, v55
	v_fmac_f32_e32 v62, v65, v2
	v_add_f32_e32 v76, v63, v0
	s_delay_alu instid0(VALU_DEP_4)
	v_fma_f32 v63, v50, v54, -v3
	ds_load_2addr_b64 v[0:3], v46 offset0:160 offset1:176
	v_mul_f32_e32 v65, v51, v57
	v_dual_mul_f32 v77, v50, v57 :: v_dual_add_f32 v74, v67, v66
	ds_load_b128 v[66:69], v41 offset:176
	v_fmac_f32_e32 v64, v51, v54
	v_fma_f32 v50, v50, v56, -v65
	v_fmac_f32_e32 v77, v51, v56
	v_add_f32_e32 v73, v73, v63
	s_wait_dscnt 0x2
	v_dual_add_f32 v33, v33, v62 :: v_dual_mul_f32 v78, v59, v55
	v_mul_f32_e32 v51, v58, v55
	v_dual_mul_f32 v55, v59, v57 :: v_dual_add_f32 v50, v72, v50
	v_add_f32_e32 v74, v74, v77
	s_delay_alu instid0(VALU_DEP_4) | instskip(NEXT) | instid1(VALU_DEP_4)
	v_fma_f32 v72, v58, v54, -v78
	v_fmac_f32_e32 v51, v59, v54
	v_mul_f32_e32 v77, v58, v57
	v_fma_f32 v54, v58, v56, -v55
	v_add_f32_e32 v71, v71, v64
	s_wait_dscnt 0x1
	v_dual_mul_f32 v55, v53, v1 :: v_dual_add_f32 v58, v75, v72
	v_fmac_f32_e32 v77, v59, v56
	v_add_f32_e32 v59, v76, v54
	v_add_f32_e32 v51, v70, v51
	s_delay_alu instid0(VALU_DEP_4)
	v_fma_f32 v72, v52, v0, -v55
	ds_load_2addr_b64 v[54:57], v46 offset0:192 offset1:208
	v_dual_mul_f32 v70, v52, v1 :: v_dual_mul_f32 v75, v53, v3
	ds_load_b128 v[62:65], v41 offset:4272
	v_dual_add_f32 v72, v73, v72 :: v_dual_mul_f32 v73, v52, v3
	v_fmac_f32_e32 v70, v53, v0
	v_fma_f32 v52, v52, v2, -v75
	v_mul_f32_e32 v75, v61, v1
	v_mul_f32_e32 v1, v60, v1
	v_fmac_f32_e32 v73, v53, v2
	v_add_f32_e32 v70, v71, v70
	v_add_f32_e32 v50, v50, v52
	v_fma_f32 v52, v60, v0, -v75
	v_fmac_f32_e32 v1, v61, v0
	v_mul_f32_e32 v0, v61, v3
	v_mul_f32_e32 v71, v60, v3
	v_add_f32_e32 v53, v74, v73
	s_delay_alu instid0(VALU_DEP_4) | instskip(NEXT) | instid1(VALU_DEP_4)
	v_dual_add_f32 v52, v58, v52 :: v_dual_add_f32 v51, v51, v1
	v_fma_f32 v58, v60, v2, -v0
	s_wait_dscnt 0x1
	v_dual_mul_f32 v60, v67, v55 :: v_dual_fmac_f32 v71, v61, v2
	ds_load_2addr_b64 v[0:3], v46 offset0:224 offset1:240
	v_dual_mul_f32 v73, v66, v57 :: v_dual_add_f32 v58, v59, v58
	v_fma_f32 v59, v66, v54, -v60
	v_dual_mul_f32 v60, v67, v57 :: v_dual_mul_f32 v61, v66, v55
	s_delay_alu instid0(VALU_DEP_3) | instskip(SKIP_1) | instid1(VALU_DEP_4)
	v_fmac_f32_e32 v73, v67, v56
	v_add_f32_e32 v33, v33, v77
	v_add_f32_e32 v59, v72, v59
	s_delay_alu instid0(VALU_DEP_4)
	v_fma_f32 v60, v66, v56, -v60
	s_wait_dscnt 0x1
	v_mul_f32_e32 v66, v63, v55
	v_mul_f32_e32 v55, v62, v55
	v_fmac_f32_e32 v61, v67, v54
	v_dual_add_f32 v67, v53, v73 :: v_dual_add_f32 v60, v50, v60
	v_mul_f32_e32 v50, v63, v57
	v_fma_f32 v53, v62, v54, -v66
	v_dual_fmac_f32 v55, v63, v54 :: v_dual_mul_f32 v66, v62, v57
	v_add_f32_e32 v61, v70, v61
	s_delay_alu instid0(VALU_DEP_4)
	v_fma_f32 v50, v62, v56, -v50
	s_wait_dscnt 0x0
	v_mul_f32_e32 v54, v69, v1
	v_add_f32_e32 v62, v52, v53
	v_add_f32_e32 v70, v51, v55
	v_dual_fmac_f32 v66, v63, v56 :: v_dual_add_f32 v63, v58, v50
	s_delay_alu instid0(VALU_DEP_4)
	v_fma_f32 v58, v68, v0, -v54
	ds_load_b128 v[50:53], v41 offset:192
	ds_load_2addr_b64 v[54:57], v47 offset1:16
	v_add_f32_e32 v33, v33, v71
	v_dual_mul_f32 v71, v68, v1 :: v_dual_mul_f32 v72, v69, v3
	v_add_f32_e32 v73, v59, v58
	v_mul_f32_e32 v59, v65, v1
	s_delay_alu instid0(VALU_DEP_4) | instskip(NEXT) | instid1(VALU_DEP_4)
	v_dual_add_f32 v33, v33, v66 :: v_dual_mul_f32 v66, v68, v3
	v_fmac_f32_e32 v71, v69, v0
	v_fma_f32 v58, v68, v2, -v72
	v_mul_f32_e32 v1, v64, v1
	v_fma_f32 v68, v64, v0, -v59
	v_fmac_f32_e32 v66, v69, v2
	v_mul_f32_e32 v69, v65, v3
	v_dual_add_f32 v71, v61, v71 :: v_dual_add_f32 v72, v60, v58
	v_fmac_f32_e32 v1, v65, v0
	ds_load_b128 v[58:61], v41 offset:4288
	v_add_f32_e32 v75, v62, v68
	v_fma_f32 v0, v64, v2, -v69
	v_mul_f32_e32 v62, v64, v3
	s_wait_dscnt 0x1
	v_dual_mul_f32 v3, v51, v55 :: v_dual_add_f32 v70, v70, v1
	v_mul_f32_e32 v64, v50, v55
	v_add_f32_e32 v76, v63, v0
	v_fmac_f32_e32 v62, v65, v2
	s_delay_alu instid0(VALU_DEP_4)
	v_fma_f32 v63, v50, v54, -v3
	ds_load_2addr_b64 v[0:3], v47 offset0:32 offset1:48
	v_mul_f32_e32 v65, v51, v57
	v_dual_mul_f32 v77, v50, v57 :: v_dual_add_f32 v74, v67, v66
	ds_load_b128 v[66:69], v41 offset:208
	v_fmac_f32_e32 v64, v51, v54
	v_fma_f32 v50, v50, v56, -v65
	v_fmac_f32_e32 v77, v51, v56
	v_add_f32_e32 v73, v73, v63
	s_wait_dscnt 0x2
	v_dual_add_f32 v33, v33, v62 :: v_dual_mul_f32 v78, v59, v55
	v_mul_f32_e32 v51, v58, v55
	v_dual_mul_f32 v55, v59, v57 :: v_dual_add_f32 v50, v72, v50
	v_add_f32_e32 v74, v74, v77
	s_delay_alu instid0(VALU_DEP_4) | instskip(NEXT) | instid1(VALU_DEP_4)
	v_fma_f32 v72, v58, v54, -v78
	v_fmac_f32_e32 v51, v59, v54
	v_mul_f32_e32 v77, v58, v57
	v_fma_f32 v54, v58, v56, -v55
	v_add_f32_e32 v71, v71, v64
	s_wait_dscnt 0x1
	v_dual_mul_f32 v55, v53, v1 :: v_dual_add_f32 v58, v75, v72
	v_fmac_f32_e32 v77, v59, v56
	v_add_f32_e32 v59, v76, v54
	v_add_f32_e32 v51, v70, v51
	s_delay_alu instid0(VALU_DEP_4)
	v_fma_f32 v72, v52, v0, -v55
	ds_load_2addr_b64 v[54:57], v47 offset0:64 offset1:80
	v_dual_mul_f32 v70, v52, v1 :: v_dual_mul_f32 v75, v53, v3
	ds_load_b128 v[62:65], v41 offset:4304
	v_dual_add_f32 v72, v73, v72 :: v_dual_mul_f32 v73, v52, v3
	v_fmac_f32_e32 v70, v53, v0
	v_fma_f32 v52, v52, v2, -v75
	v_mul_f32_e32 v75, v61, v1
	v_mul_f32_e32 v1, v60, v1
	v_fmac_f32_e32 v73, v53, v2
	v_add_f32_e32 v70, v71, v70
	v_add_f32_e32 v50, v50, v52
	v_fma_f32 v52, v60, v0, -v75
	v_fmac_f32_e32 v1, v61, v0
	v_mul_f32_e32 v0, v61, v3
	v_mul_f32_e32 v71, v60, v3
	v_add_f32_e32 v53, v74, v73
	s_delay_alu instid0(VALU_DEP_4) | instskip(NEXT) | instid1(VALU_DEP_4)
	v_dual_add_f32 v52, v58, v52 :: v_dual_add_f32 v51, v51, v1
	v_fma_f32 v58, v60, v2, -v0
	s_wait_dscnt 0x1
	v_dual_mul_f32 v60, v67, v55 :: v_dual_fmac_f32 v71, v61, v2
	ds_load_2addr_b64 v[0:3], v47 offset0:96 offset1:112
	v_dual_mul_f32 v73, v66, v57 :: v_dual_add_f32 v58, v59, v58
	v_fma_f32 v59, v66, v54, -v60
	v_dual_mul_f32 v60, v67, v57 :: v_dual_mul_f32 v61, v66, v55
	s_delay_alu instid0(VALU_DEP_3) | instskip(SKIP_1) | instid1(VALU_DEP_4)
	v_fmac_f32_e32 v73, v67, v56
	v_add_f32_e32 v33, v33, v77
	v_add_f32_e32 v59, v72, v59
	s_delay_alu instid0(VALU_DEP_4)
	v_fma_f32 v60, v66, v56, -v60
	s_wait_dscnt 0x1
	v_mul_f32_e32 v66, v63, v55
	v_mul_f32_e32 v55, v62, v55
	v_fmac_f32_e32 v61, v67, v54
	v_dual_add_f32 v67, v53, v73 :: v_dual_add_f32 v60, v50, v60
	v_mul_f32_e32 v50, v63, v57
	v_fma_f32 v53, v62, v54, -v66
	v_dual_fmac_f32 v55, v63, v54 :: v_dual_mul_f32 v66, v62, v57
	v_add_f32_e32 v33, v33, v71
	s_delay_alu instid0(VALU_DEP_4)
	v_fma_f32 v50, v62, v56, -v50
	s_wait_dscnt 0x0
	v_mul_f32_e32 v54, v69, v1
	v_add_f32_e32 v61, v70, v61
	v_add_f32_e32 v62, v52, v53
	;; [unrolled: 1-line block ×3, first 2 shown]
	v_dual_fmac_f32 v66, v63, v56 :: v_dual_add_f32 v63, v58, v50
	v_fma_f32 v58, v68, v0, -v54
	ds_load_b128 v[50:53], v41 offset:224
	ds_load_2addr_b64 v[54:57], v47 offset0:128 offset1:144
	v_dual_mul_f32 v71, v68, v1 :: v_dual_mul_f32 v72, v69, v3
	v_dual_add_f32 v33, v33, v66 :: v_dual_mul_f32 v66, v68, v3
	s_delay_alu instid0(VALU_DEP_2) | instskip(NEXT) | instid1(VALU_DEP_3)
	v_fmac_f32_e32 v71, v69, v0
	v_fma_f32 v68, v68, v2, -v72
	v_add_f32_e32 v72, v59, v58
	v_mul_f32_e32 v58, v65, v1
	v_fmac_f32_e32 v66, v69, v2
	v_add_f32_e32 v71, v61, v71
	v_add_f32_e32 v73, v60, v68
	v_mul_f32_e32 v1, v64, v1
	v_fma_f32 v68, v64, v0, -v58
	v_add_f32_e32 v74, v67, v66
	v_mul_f32_e32 v66, v65, v3
	ds_load_b128 v[58:61], v41 offset:4320
	v_fmac_f32_e32 v1, v65, v0
	v_dual_add_f32 v75, v62, v68 :: v_dual_mul_f32 v62, v64, v3
	v_fma_f32 v0, v64, v2, -v66
	s_wait_dscnt 0x1
	s_delay_alu instid0(VALU_DEP_3) | instskip(SKIP_3) | instid1(VALU_DEP_4)
	v_dual_mul_f32 v3, v51, v55 :: v_dual_add_f32 v70, v70, v1
	v_mul_f32_e32 v64, v51, v57
	v_fmac_f32_e32 v62, v65, v2
	v_add_f32_e32 v76, v63, v0
	v_fma_f32 v63, v50, v54, -v3
	ds_load_2addr_b64 v[0:3], v47 offset0:160 offset1:176
	ds_load_b128 v[66:69], v41 offset:240
	v_mul_f32_e32 v77, v50, v55
	v_mul_f32_e32 v78, v50, v57
	v_fma_f32 v50, v50, v56, -v64
	v_dual_add_f32 v72, v72, v63 :: v_dual_add_f32 v33, v33, v62
	s_delay_alu instid0(VALU_DEP_4) | instskip(NEXT) | instid1(VALU_DEP_4)
	v_fmac_f32_e32 v77, v51, v54
	v_fmac_f32_e32 v78, v51, v56
	s_wait_dscnt 0x2
	v_mul_f32_e32 v79, v59, v55
	v_dual_mul_f32 v51, v58, v55 :: v_dual_add_f32 v50, v73, v50
	v_mul_f32_e32 v73, v59, v57
	v_add_f32_e32 v71, v71, v77
	s_delay_alu instid0(VALU_DEP_4) | instskip(NEXT) | instid1(VALU_DEP_4)
	v_fma_f32 v55, v58, v54, -v79
	v_fmac_f32_e32 v51, v59, v54
	v_mul_f32_e32 v77, v58, v57
	v_fma_f32 v54, v58, v56, -v73
	ds_load_b128 v[62:65], v41 offset:4336
	v_add_f32_e32 v75, v75, v55
	s_wait_dscnt 0x2
	v_mul_f32_e32 v55, v53, v1
	v_add_f32_e32 v51, v70, v51
	v_dual_fmac_f32 v77, v59, v56 :: v_dual_mul_f32 v58, v52, v1
	v_add_f32_e32 v59, v76, v54
	s_delay_alu instid0(VALU_DEP_4)
	v_fma_f32 v70, v52, v0, -v55
	ds_load_2addr_b64 v[54:57], v47 offset0:192 offset1:208
	v_mul_f32_e32 v73, v53, v3
	v_fmac_f32_e32 v58, v53, v0
	v_add_f32_e32 v74, v74, v78
	v_add_f32_e32 v70, v72, v70
	v_mul_f32_e32 v72, v52, v3
	v_fma_f32 v52, v52, v2, -v73
	v_dual_add_f32 v58, v71, v58 :: v_dual_mul_f32 v71, v61, v1
	s_delay_alu instid0(VALU_DEP_3) | instskip(NEXT) | instid1(VALU_DEP_3)
	v_dual_mul_f32 v1, v60, v1 :: v_dual_fmac_f32 v72, v53, v2
	v_add_f32_e32 v50, v50, v52
	v_mul_f32_e32 v52, v61, v3
	s_delay_alu instid0(VALU_DEP_4) | instskip(NEXT) | instid1(VALU_DEP_4)
	v_fma_f32 v53, v60, v0, -v71
	v_fmac_f32_e32 v1, v61, v0
	v_dual_add_f32 v71, v74, v72 :: v_dual_mul_f32 v72, v60, v3
	s_delay_alu instid0(VALU_DEP_4) | instskip(NEXT) | instid1(VALU_DEP_4)
	v_fma_f32 v0, v60, v2, -v52
	v_add_f32_e32 v52, v75, v53
	s_delay_alu instid0(VALU_DEP_4)
	v_add_f32_e32 v51, v51, v1
	s_wait_dscnt 0x0
	v_dual_mul_f32 v53, v67, v55 :: v_dual_fmac_f32 v72, v61, v2
	v_add_f32_e32 v59, v59, v0
	ds_load_2addr_b64 v[0:3], v47 offset0:224 offset1:240
	v_mul_f32_e32 v60, v66, v55
	v_fma_f32 v53, v66, v54, -v53
	v_mul_f32_e32 v61, v67, v57
	v_add_f32_e32 v33, v33, v77
	s_wait_loadcnt_dscnt 0x0
	s_delay_alu instid0(VALU_DEP_3) | instskip(SKIP_3) | instid1(VALU_DEP_4)
	v_dual_fmac_f32 v60, v67, v54 :: v_dual_add_f32 v53, v70, v53
	v_mul_f32_e32 v70, v63, v55
	v_fma_f32 v61, v66, v56, -v61
	v_mul_f32_e32 v55, v62, v55
	v_add_f32_e32 v58, v58, v60
	v_add_f32_e32 v33, v33, v72
	v_fma_f32 v60, v62, v54, -v70
	v_add_f32_e32 v50, v50, v61
	v_mul_f32_e32 v61, v63, v57
	v_dual_mul_f32 v72, v66, v57 :: v_dual_fmac_f32 v55, v63, v54
	s_delay_alu instid0(VALU_DEP_4) | instskip(SKIP_1) | instid1(VALU_DEP_4)
	v_add_f32_e32 v52, v52, v60
	v_mul_f32_e32 v54, v62, v57
	v_fma_f32 v57, v62, v56, -v61
	v_mul_f32_e32 v60, v69, v1
	v_mul_f32_e32 v61, v68, v1
	v_add_f32_e32 v51, v51, v55
	v_fmac_f32_e32 v54, v63, v56
	v_add_f32_e32 v57, v59, v57
	v_fma_f32 v55, v68, v0, -v60
	v_fmac_f32_e32 v61, v69, v0
	v_dual_mul_f32 v59, v69, v3 :: v_dual_fmac_f32 v72, v67, v56
	v_dual_mul_f32 v60, v68, v3 :: v_dual_add_f32 v33, v33, v54
	s_delay_alu instid0(VALU_DEP_3) | instskip(NEXT) | instid1(VALU_DEP_3)
	v_dual_add_f32 v55, v53, v55 :: v_dual_add_f32 v56, v58, v61
	v_fma_f32 v53, v68, v2, -v59
	v_mul_f32_e32 v54, v65, v1
	v_dual_mul_f32 v1, v64, v1 :: v_dual_mul_f32 v58, v65, v3
	v_dual_mul_f32 v3, v64, v3 :: v_dual_add_f32 v66, v71, v72
	s_delay_alu instid0(VALU_DEP_4) | instskip(NEXT) | instid1(VALU_DEP_4)
	v_dual_fmac_f32 v60, v69, v2 :: v_dual_add_f32 v53, v50, v53
	v_fma_f32 v50, v64, v0, -v54
	s_delay_alu instid0(VALU_DEP_4) | instskip(SKIP_1) | instid1(VALU_DEP_4)
	v_fmac_f32_e32 v1, v65, v0
	v_fma_f32 v0, v64, v2, -v58
	v_dual_fmac_f32 v3, v65, v2 :: v_dual_add_f32 v54, v66, v60
	s_delay_alu instid0(VALU_DEP_3) | instskip(NEXT) | instid1(VALU_DEP_3)
	v_dual_add_f32 v52, v52, v50 :: v_dual_add_f32 v51, v51, v1
	v_add_f32_e32 v50, v57, v0
	s_delay_alu instid0(VALU_DEP_3)
	v_add_f32_e32 v33, v33, v3
	s_barrier_signal -1
	s_barrier_wait -1
	global_inv scope:SCOPE_SE
	s_cbranch_scc1 .LBB79_58
.LBB79_10:                              ;   Parent Loop BB79_4 Depth=1
                                        ;     Parent Loop BB79_7 Depth=2
                                        ; =>    This Inner Loop Header: Depth=3
	s_wait_alu 0xfffe
	v_add_co_u32 v2, s5, v38, s42
	s_wait_alu 0xf1ff
	v_add_co_ci_u32_e64 v3, null, 0, s43, s5
	v_cmp_eq_u64_e64 s7, s[42:43], v[10:11]
	s_delay_alu instid0(VALU_DEP_2)
	v_cmp_le_i64_e64 s6, s[40:41], v[2:3]
	v_cmp_gt_i64_e64 s5, v[2:3], v[6:7]
	s_and_b32 s54, s49, s7
	v_add_co_u32 v0, s7, v30, s28
	s_wait_alu 0xf1ff
	v_add_co_ci_u32_e64 v1, null, s29, v31, s7
	s_or_b32 s8, s6, s5
	s_wait_alu 0xfffe
	s_or_b32 s7, s8, s54
	s_wait_alu 0xfffe
	s_nor_b32 s7, s0, s7
	s_wait_alu 0xfffe
	s_and_saveexec_b32 s8, s7
	s_wait_alu 0xfffe
	s_xor_b32 s7, exec_lo, s8
	s_cbranch_execz .LBB79_12
; %bb.11:                               ;   in Loop: Header=BB79_10 Depth=3
	global_load_b64 v[57:58], v[0:1], off
	s_wait_loadcnt 0x0
	ds_store_b64 v42, v[57:58]
.LBB79_12:                              ;   in Loop: Header=BB79_10 Depth=3
	s_wait_alu 0xfffe
	s_or_saveexec_b32 s7, s7
	s_xor_b32 s53, s54, -1
	s_wait_alu 0xfffe
	s_xor_b32 exec_lo, exec_lo, s7
	s_cbranch_execz .LBB79_18
; %bb.13:                               ;   in Loop: Header=BB79_10 Depth=3
	s_and_saveexec_b32 s8, s53
	s_wait_alu 0xfffe
	s_xor_b32 s8, exec_lo, s8
; %bb.14:                               ;   in Loop: Header=BB79_10 Depth=3
	v_dual_mov_b32 v57, v5 :: v_dual_mov_b32 v58, v5
	ds_store_b64 v42, v[57:58]
; %bb.15:                               ;   in Loop: Header=BB79_10 Depth=3
	s_wait_alu 0xfffe
	s_and_not1_saveexec_b32 s8, s8
; %bb.16:                               ;   in Loop: Header=BB79_10 Depth=3
	ds_store_b64 v42, v[4:5]
; %bb.17:                               ;   in Loop: Header=BB79_10 Depth=3
	s_wait_alu 0xfffe
	s_or_b32 exec_lo, exec_lo, s8
.LBB79_18:                              ;   in Loop: Header=BB79_10 Depth=3
	s_delay_alu instid0(SALU_CYCLE_1)
	s_or_b32 exec_lo, exec_lo, s7
	v_cmp_eq_u64_e64 s7, s[42:43], v[14:15]
	v_cmp_lt_i64_e64 s8, v[8:9], v[2:3]
	s_and_b32 s7, s49, s7
	s_or_b32 s6, s6, s8
	s_wait_alu 0xfffe
	s_or_b32 s6, s6, s7
	s_wait_alu 0xfffe
	s_nor_b32 s6, s3, s6
	s_wait_alu 0xfffe
	s_and_saveexec_b32 s8, s6
	s_wait_alu 0xfffe
	s_xor_b32 s8, exec_lo, s8
	s_cbranch_execz .LBB79_20
; %bb.19:                               ;   in Loop: Header=BB79_10 Depth=3
	v_add_co_u32 v57, s6, v28, s28
	s_wait_alu 0xf1ff
	v_add_co_ci_u32_e64 v58, null, s29, v29, s6
	global_load_b64 v[57:58], v[57:58], off
	s_wait_loadcnt 0x0
	ds_store_b64 v42, v[57:58] offset:128
.LBB79_20:                              ;   in Loop: Header=BB79_10 Depth=3
	s_wait_alu 0xfffe
	s_and_not1_saveexec_b32 s6, s8
	s_cbranch_execz .LBB79_26
; %bb.21:                               ;   in Loop: Header=BB79_10 Depth=3
	s_xor_b32 s7, s7, -1
	s_wait_alu 0xfffe
	s_and_saveexec_b32 s8, s7
	s_wait_alu 0xfffe
	s_xor_b32 s7, exec_lo, s8
; %bb.22:                               ;   in Loop: Header=BB79_10 Depth=3
	v_dual_mov_b32 v57, v5 :: v_dual_mov_b32 v58, v5
	ds_store_b64 v42, v[57:58] offset:128
; %bb.23:                               ;   in Loop: Header=BB79_10 Depth=3
	s_wait_alu 0xfffe
	s_and_not1_saveexec_b32 s7, s7
; %bb.24:                               ;   in Loop: Header=BB79_10 Depth=3
	ds_store_b64 v42, v[4:5] offset:128
; %bb.25:                               ;   in Loop: Header=BB79_10 Depth=3
	s_wait_alu 0xfffe
	s_or_b32 exec_lo, exec_lo, s7
.LBB79_26:                              ;   in Loop: Header=BB79_10 Depth=3
	s_wait_alu 0xfffe
	s_or_b32 exec_lo, exec_lo, s6
	v_add_co_u32 v2, s6, v2, 16
	s_wait_alu 0xf1ff
	v_add_co_ci_u32_e64 v3, null, 0, v3, s6
	v_cmp_eq_u64_e64 s7, s[42:43], v[16:17]
	s_delay_alu instid0(VALU_DEP_2)
	v_cmp_le_i64_e64 s6, s[40:41], v[2:3]
	v_cmp_gt_i64_e64 s8, v[2:3], v[6:7]
	s_and_b32 s55, s49, s7
	s_or_b32 s7, s6, s8
	s_wait_alu 0xfffe
	s_or_b32 s7, s7, s55
	s_wait_alu 0xfffe
	s_nor_b32 s7, s0, s7
	s_wait_alu 0xfffe
	s_and_saveexec_b32 s8, s7
	s_wait_alu 0xfffe
	s_xor_b32 s7, exec_lo, s8
	s_cbranch_execz .LBB79_28
; %bb.27:                               ;   in Loop: Header=BB79_10 Depth=3
	global_load_b64 v[0:1], v[0:1], off offset:128
	s_wait_loadcnt 0x0
	ds_store_b64 v42, v[0:1] offset:4096
.LBB79_28:                              ;   in Loop: Header=BB79_10 Depth=3
	s_wait_alu 0xfffe
	s_and_not1_saveexec_b32 s7, s7
	s_cbranch_execz .LBB79_34
; %bb.29:                               ;   in Loop: Header=BB79_10 Depth=3
	s_xor_b32 s8, s55, -1
	s_wait_alu 0xfffe
	s_and_saveexec_b32 s55, s8
	s_delay_alu instid0(SALU_CYCLE_1)
	s_xor_b32 s8, exec_lo, s55
; %bb.30:                               ;   in Loop: Header=BB79_10 Depth=3
	v_dual_mov_b32 v0, v5 :: v_dual_mov_b32 v1, v5
	ds_store_b64 v42, v[0:1] offset:4096
; %bb.31:                               ;   in Loop: Header=BB79_10 Depth=3
	s_wait_alu 0xfffe
	s_and_not1_saveexec_b32 s8, s8
; %bb.32:                               ;   in Loop: Header=BB79_10 Depth=3
	ds_store_b64 v42, v[4:5] offset:4096
; %bb.33:                               ;   in Loop: Header=BB79_10 Depth=3
	s_wait_alu 0xfffe
	s_or_b32 exec_lo, exec_lo, s8
.LBB79_34:                              ;   in Loop: Header=BB79_10 Depth=3
	s_wait_alu 0xfffe
	s_or_b32 exec_lo, exec_lo, s7
	s_or_b32 s5, s6, s5
	s_wait_alu 0xfffe
	s_or_b32 s5, s5, s54
	s_wait_alu 0xfffe
	s_nor_b32 s5, s3, s5
	s_wait_alu 0xfffe
	s_and_saveexec_b32 s6, s5
	s_wait_alu 0xfffe
	s_xor_b32 s6, exec_lo, s6
	s_cbranch_execz .LBB79_36
; %bb.35:                               ;   in Loop: Header=BB79_10 Depth=3
	v_add_co_u32 v0, s5, v28, s28
	s_wait_alu 0xf1ff
	v_add_co_ci_u32_e64 v1, null, s29, v29, s5
	global_load_b64 v[0:1], v[0:1], off offset:128
	s_wait_loadcnt 0x0
	ds_store_b64 v42, v[0:1] offset:4224
.LBB79_36:                              ;   in Loop: Header=BB79_10 Depth=3
	s_wait_alu 0xfffe
	s_and_not1_saveexec_b32 s5, s6
	s_cbranch_execz .LBB79_42
; %bb.37:                               ;   in Loop: Header=BB79_10 Depth=3
	s_and_saveexec_b32 s6, s53
	s_wait_alu 0xfffe
	s_xor_b32 s6, exec_lo, s6
; %bb.38:                               ;   in Loop: Header=BB79_10 Depth=3
	v_dual_mov_b32 v0, v5 :: v_dual_mov_b32 v1, v5
	ds_store_b64 v42, v[0:1] offset:4224
; %bb.39:                               ;   in Loop: Header=BB79_10 Depth=3
	s_wait_alu 0xfffe
	s_and_not1_saveexec_b32 s6, s6
; %bb.40:                               ;   in Loop: Header=BB79_10 Depth=3
	ds_store_b64 v42, v[4:5] offset:4224
; %bb.41:                               ;   in Loop: Header=BB79_10 Depth=3
	s_wait_alu 0xfffe
	s_or_b32 exec_lo, exec_lo, s6
.LBB79_42:                              ;   in Loop: Header=BB79_10 Depth=3
	s_wait_alu 0xfffe
	s_or_b32 exec_lo, exec_lo, s5
	v_add_co_u32 v0, s5, v39, s42
	s_wait_alu 0xf1ff
	v_add_co_ci_u32_e64 v1, null, 0, s43, s5
	s_delay_alu instid0(VALU_DEP_1)
	v_cmp_gt_i64_e64 s5, s[40:41], v[0:1]
	s_and_b32 s6, vcc_lo, s5
	s_wait_alu 0xfffe
	s_xor_b32 s6, s6, -1
	s_wait_alu 0xfffe
	s_and_saveexec_b32 s7, s6
	s_wait_alu 0xfffe
	s_xor_b32 s6, exec_lo, s7
; %bb.43:                               ;   in Loop: Header=BB79_10 Depth=3
	v_dual_mov_b32 v2, v5 :: v_dual_mov_b32 v3, v5
	ds_store_b64 v43, v[2:3]
; %bb.44:                               ;   in Loop: Header=BB79_10 Depth=3
	s_wait_alu 0xfffe
	s_or_saveexec_b32 s7, s6
	v_add_co_u32 v2, s6, v34, s28
	s_wait_alu 0xf1ff
	v_add_co_ci_u32_e64 v3, null, s29, v35, s6
	s_wait_alu 0xfffe
	s_xor_b32 exec_lo, exec_lo, s7
	s_cbranch_execz .LBB79_46
; %bb.45:                               ;   in Loop: Header=BB79_10 Depth=3
	global_load_b64 v[57:58], v[2:3], off offset:-128
	s_wait_loadcnt 0x0
	ds_store_b64 v43, v[57:58]
.LBB79_46:                              ;   in Loop: Header=BB79_10 Depth=3
	s_or_b32 exec_lo, exec_lo, s7
	v_cmp_gt_i64_e64 s6, s[22:23], v[0:1]
	s_and_b32 s7, vcc_lo, s6
	s_wait_alu 0xfffe
	s_xor_b32 s7, s7, -1
	s_wait_alu 0xfffe
	s_and_saveexec_b32 s8, s7
	s_wait_alu 0xfffe
	s_xor_b32 s7, exec_lo, s8
; %bb.47:                               ;   in Loop: Header=BB79_10 Depth=3
	v_dual_mov_b32 v0, v5 :: v_dual_mov_b32 v1, v5
                                        ; implicit-def: $vgpr2_vgpr3
	ds_store_b64 v43, v[0:1] offset:128
; %bb.48:                               ;   in Loop: Header=BB79_10 Depth=3
	s_wait_alu 0xfffe
	s_and_not1_saveexec_b32 s7, s7
	s_cbranch_execz .LBB79_50
; %bb.49:                               ;   in Loop: Header=BB79_10 Depth=3
	global_load_b64 v[0:1], v[2:3], off
	s_wait_loadcnt 0x0
	ds_store_b64 v43, v[0:1] offset:128
.LBB79_50:                              ;   in Loop: Header=BB79_10 Depth=3
	s_wait_alu 0xfffe
	s_or_b32 exec_lo, exec_lo, s7
	s_and_b32 s5, s4, s5
	s_wait_alu 0xfffe
	s_xor_b32 s5, s5, -1
	s_wait_alu 0xfffe
	s_and_saveexec_b32 s7, s5
	s_wait_alu 0xfffe
	s_xor_b32 s5, exec_lo, s7
; %bb.51:                               ;   in Loop: Header=BB79_10 Depth=3
	v_dual_mov_b32 v0, v5 :: v_dual_mov_b32 v1, v5
	ds_store_b64 v43, v[0:1] offset:4096
; %bb.52:                               ;   in Loop: Header=BB79_10 Depth=3
	s_wait_alu 0xfffe
	s_or_saveexec_b32 s7, s5
	v_add_co_u32 v0, s5, v36, s28
	s_wait_alu 0xf1ff
	v_add_co_ci_u32_e64 v1, null, s29, v37, s5
	s_wait_alu 0xfffe
	s_xor_b32 exec_lo, exec_lo, s7
	s_cbranch_execz .LBB79_54
; %bb.53:                               ;   in Loop: Header=BB79_10 Depth=3
	global_load_b64 v[2:3], v[0:1], off offset:-128
	s_wait_loadcnt 0x0
	ds_store_b64 v43, v[2:3] offset:4096
.LBB79_54:                              ;   in Loop: Header=BB79_10 Depth=3
	s_or_b32 exec_lo, exec_lo, s7
	s_and_b32 s5, s4, s6
	s_wait_alu 0xfffe
	s_xor_b32 s5, s5, -1
	s_wait_alu 0xfffe
	s_and_saveexec_b32 s6, s5
	s_wait_alu 0xfffe
	s_xor_b32 s5, exec_lo, s6
; %bb.55:                               ;   in Loop: Header=BB79_10 Depth=3
	v_dual_mov_b32 v0, v5 :: v_dual_mov_b32 v1, v5
	ds_store_b64 v43, v[0:1] offset:4224
                                        ; implicit-def: $vgpr0_vgpr1
; %bb.56:                               ;   in Loop: Header=BB79_10 Depth=3
	s_wait_alu 0xfffe
	s_and_not1_saveexec_b32 s5, s5
	s_cbranch_execz .LBB79_9
; %bb.57:                               ;   in Loop: Header=BB79_10 Depth=3
	global_load_b64 v[0:1], v[0:1], off
	s_wait_loadcnt 0x0
	ds_store_b64 v43, v[0:1] offset:4224
	s_branch .LBB79_9
.LBB79_58:                              ;   in Loop: Header=BB79_7 Depth=2
	v_mul_lo_u32 v2, s25, v48
	v_mul_lo_u32 v3, s24, v49
	v_mad_co_u64_u32 v[0:1], null, s24, v48, 0
	v_cmp_gt_i32_e32 vcc_lo, s30, v48
	s_delay_alu instid0(VALU_DEP_2) | instskip(NEXT) | instid1(VALU_DEP_1)
	v_add3_u32 v1, v1, v3, v2
	v_lshlrev_b64_e32 v[0:1], 3, v[0:1]
	s_delay_alu instid0(VALU_DEP_1) | instskip(SKIP_1) | instid1(VALU_DEP_2)
	v_add_co_u32 v0, s4, s18, v0
	s_wait_alu 0xf1ff
	v_add_co_ci_u32_e64 v1, null, s19, v1, s4
	s_and_b32 s4, s1, vcc_lo
	s_wait_alu 0xfffe
	s_and_saveexec_b32 s5, s4
	s_cbranch_execz .LBB79_60
; %bb.59:                               ;   in Loop: Header=BB79_7 Depth=2
	v_add_co_u32 v2, s4, v0, v12
	s_wait_alu 0xf1ff
	v_add_co_ci_u32_e64 v3, null, v1, v13, s4
	v_mul_f32_e32 v37, s36, v56
	v_mul_f32_e32 v36, s37, v56
	global_load_b64 v[34:35], v[2:3], off
	v_fmac_f32_e32 v37, s37, v55
	v_fma_f32 v36, v55, s36, -v36
	s_wait_loadcnt 0x0
	s_delay_alu instid0(VALU_DEP_1)
	v_dual_add_f32 v34, v34, v36 :: v_dual_add_f32 v35, v37, v35
	global_store_b64 v[2:3], v[34:35], off
.LBB79_60:                              ;   in Loop: Header=BB79_7 Depth=2
	s_wait_alu 0xfffe
	s_or_b32 exec_lo, exec_lo, s5
	s_and_b32 s5, s2, vcc_lo
	s_wait_alu 0xfffe
	s_and_saveexec_b32 s4, s5
	s_cbranch_execz .LBB79_62
; %bb.61:                               ;   in Loop: Header=BB79_7 Depth=2
	v_add_co_u32 v0, vcc_lo, v0, v24
	s_wait_alu 0xfffd
	v_add_co_ci_u32_e64 v1, null, v1, v25, vcc_lo
	v_mul_f32_e32 v35, s36, v54
	v_mul_f32_e32 v34, s37, v54
	global_load_b64 v[2:3], v[0:1], off
	v_fmac_f32_e32 v35, s37, v53
	v_fma_f32 v34, v53, s36, -v34
	s_wait_loadcnt 0x0
	s_delay_alu instid0(VALU_DEP_1)
	v_dual_add_f32 v2, v2, v34 :: v_dual_add_f32 v3, v35, v3
	global_store_b64 v[0:1], v[2:3], off
.LBB79_62:                              ;   in Loop: Header=BB79_7 Depth=2
	s_wait_alu 0xfffe
	s_or_b32 exec_lo, exec_lo, s4
	v_add_nc_u32_e32 v2, 16, v48
	s_delay_alu instid0(VALU_DEP_1) | instskip(SKIP_3) | instid1(VALU_DEP_4)
	v_ashrrev_i32_e32 v3, 31, v2
	v_mul_lo_u32 v34, s25, v2
	v_mad_co_u64_u32 v[0:1], null, s24, v2, 0
	v_cmp_gt_i32_e32 vcc_lo, s30, v2
	v_mul_lo_u32 v3, s24, v3
	s_delay_alu instid0(VALU_DEP_1) | instskip(NEXT) | instid1(VALU_DEP_1)
	v_add3_u32 v1, v1, v3, v34
	v_lshlrev_b64_e32 v[0:1], 3, v[0:1]
	s_delay_alu instid0(VALU_DEP_1) | instskip(SKIP_1) | instid1(VALU_DEP_2)
	v_add_co_u32 v0, s4, s18, v0
	s_wait_alu 0xf1ff
	v_add_co_ci_u32_e64 v1, null, s19, v1, s4
	s_and_b32 s4, s1, vcc_lo
	s_wait_alu 0xfffe
	s_and_saveexec_b32 s5, s4
	s_cbranch_execz .LBB79_64
; %bb.63:                               ;   in Loop: Header=BB79_7 Depth=2
	v_add_co_u32 v2, s4, v0, v12
	s_wait_alu 0xf1ff
	v_add_co_ci_u32_e64 v3, null, v1, v13, s4
	global_load_b64 v[34:35], v[2:3], off
	v_mul_f32_e32 v37, s36, v51
	s_delay_alu instid0(VALU_DEP_1) | instskip(NEXT) | instid1(VALU_DEP_1)
	v_dual_mul_f32 v36, s37, v51 :: v_dual_fmac_f32 v37, s37, v52
	v_fma_f32 v36, v52, s36, -v36
	s_wait_loadcnt 0x0
	s_delay_alu instid0(VALU_DEP_1)
	v_dual_add_f32 v34, v34, v36 :: v_dual_add_f32 v35, v37, v35
	global_store_b64 v[2:3], v[34:35], off
.LBB79_64:                              ;   in Loop: Header=BB79_7 Depth=2
	s_wait_alu 0xfffe
	s_or_b32 exec_lo, exec_lo, s5
	s_and_b32 s5, s2, vcc_lo
	s_wait_alu 0xfffe
	s_and_saveexec_b32 s4, s5
	s_cbranch_execz .LBB79_6
; %bb.65:                               ;   in Loop: Header=BB79_7 Depth=2
	v_add_co_u32 v0, vcc_lo, v0, v24
	s_wait_alu 0xfffd
	v_add_co_ci_u32_e64 v1, null, v1, v25, vcc_lo
	v_mul_f32_e32 v34, s37, v33
	global_load_b64 v[2:3], v[0:1], off
	v_mul_f32_e32 v33, s36, v33
	s_delay_alu instid0(VALU_DEP_1) | instskip(SKIP_2) | instid1(VALU_DEP_1)
	v_fmac_f32_e32 v33, s37, v50
	v_fma_f32 v34, v50, s36, -v34
	s_wait_loadcnt 0x0
	v_dual_add_f32 v2, v2, v34 :: v_dual_add_f32 v3, v33, v3
	global_store_b64 v[0:1], v[2:3], off
	s_branch .LBB79_6
.LBB79_66:
	s_endpgm
	.section	.rodata,"a",@progbits
	.p2align	6, 0x0
	.amdhsa_kernel _ZL30rocblas_trmm_outofplace_kernelI19rocblas_complex_numIfELi32ELi2ELb1ELb1ELb1ELb0ES1_KS1_S1_Ev17rocblas_diagonal_iiT6_lPT7_lllS6_lllPT8_llli
		.amdhsa_group_segment_fixed_size 16384
		.amdhsa_private_segment_fixed_size 0
		.amdhsa_kernarg_size 392
		.amdhsa_user_sgpr_count 2
		.amdhsa_user_sgpr_dispatch_ptr 0
		.amdhsa_user_sgpr_queue_ptr 0
		.amdhsa_user_sgpr_kernarg_segment_ptr 1
		.amdhsa_user_sgpr_dispatch_id 0
		.amdhsa_user_sgpr_private_segment_size 0
		.amdhsa_wavefront_size32 1
		.amdhsa_uses_dynamic_stack 0
		.amdhsa_enable_private_segment 0
		.amdhsa_system_sgpr_workgroup_id_x 1
		.amdhsa_system_sgpr_workgroup_id_y 1
		.amdhsa_system_sgpr_workgroup_id_z 1
		.amdhsa_system_sgpr_workgroup_info 0
		.amdhsa_system_vgpr_workitem_id 1
		.amdhsa_next_free_vgpr 91
		.amdhsa_next_free_sgpr 56
		.amdhsa_reserve_vcc 1
		.amdhsa_float_round_mode_32 0
		.amdhsa_float_round_mode_16_64 0
		.amdhsa_float_denorm_mode_32 3
		.amdhsa_float_denorm_mode_16_64 3
		.amdhsa_fp16_overflow 0
		.amdhsa_workgroup_processor_mode 1
		.amdhsa_memory_ordered 1
		.amdhsa_forward_progress 1
		.amdhsa_inst_pref_size 60
		.amdhsa_round_robin_scheduling 0
		.amdhsa_exception_fp_ieee_invalid_op 0
		.amdhsa_exception_fp_denorm_src 0
		.amdhsa_exception_fp_ieee_div_zero 0
		.amdhsa_exception_fp_ieee_overflow 0
		.amdhsa_exception_fp_ieee_underflow 0
		.amdhsa_exception_fp_ieee_inexact 0
		.amdhsa_exception_int_div_zero 0
	.end_amdhsa_kernel
	.section	.text._ZL30rocblas_trmm_outofplace_kernelI19rocblas_complex_numIfELi32ELi2ELb1ELb1ELb1ELb0ES1_KS1_S1_Ev17rocblas_diagonal_iiT6_lPT7_lllS6_lllPT8_llli,"axG",@progbits,_ZL30rocblas_trmm_outofplace_kernelI19rocblas_complex_numIfELi32ELi2ELb1ELb1ELb1ELb0ES1_KS1_S1_Ev17rocblas_diagonal_iiT6_lPT7_lllS6_lllPT8_llli,comdat
.Lfunc_end79:
	.size	_ZL30rocblas_trmm_outofplace_kernelI19rocblas_complex_numIfELi32ELi2ELb1ELb1ELb1ELb0ES1_KS1_S1_Ev17rocblas_diagonal_iiT6_lPT7_lllS6_lllPT8_llli, .Lfunc_end79-_ZL30rocblas_trmm_outofplace_kernelI19rocblas_complex_numIfELi32ELi2ELb1ELb1ELb1ELb0ES1_KS1_S1_Ev17rocblas_diagonal_iiT6_lPT7_lllS6_lllPT8_llli
                                        ; -- End function
	.set _ZL30rocblas_trmm_outofplace_kernelI19rocblas_complex_numIfELi32ELi2ELb1ELb1ELb1ELb0ES1_KS1_S1_Ev17rocblas_diagonal_iiT6_lPT7_lllS6_lllPT8_llli.num_vgpr, 91
	.set _ZL30rocblas_trmm_outofplace_kernelI19rocblas_complex_numIfELi32ELi2ELb1ELb1ELb1ELb0ES1_KS1_S1_Ev17rocblas_diagonal_iiT6_lPT7_lllS6_lllPT8_llli.num_agpr, 0
	.set _ZL30rocblas_trmm_outofplace_kernelI19rocblas_complex_numIfELi32ELi2ELb1ELb1ELb1ELb0ES1_KS1_S1_Ev17rocblas_diagonal_iiT6_lPT7_lllS6_lllPT8_llli.numbered_sgpr, 56
	.set _ZL30rocblas_trmm_outofplace_kernelI19rocblas_complex_numIfELi32ELi2ELb1ELb1ELb1ELb0ES1_KS1_S1_Ev17rocblas_diagonal_iiT6_lPT7_lllS6_lllPT8_llli.num_named_barrier, 0
	.set _ZL30rocblas_trmm_outofplace_kernelI19rocblas_complex_numIfELi32ELi2ELb1ELb1ELb1ELb0ES1_KS1_S1_Ev17rocblas_diagonal_iiT6_lPT7_lllS6_lllPT8_llli.private_seg_size, 0
	.set _ZL30rocblas_trmm_outofplace_kernelI19rocblas_complex_numIfELi32ELi2ELb1ELb1ELb1ELb0ES1_KS1_S1_Ev17rocblas_diagonal_iiT6_lPT7_lllS6_lllPT8_llli.uses_vcc, 1
	.set _ZL30rocblas_trmm_outofplace_kernelI19rocblas_complex_numIfELi32ELi2ELb1ELb1ELb1ELb0ES1_KS1_S1_Ev17rocblas_diagonal_iiT6_lPT7_lllS6_lllPT8_llli.uses_flat_scratch, 0
	.set _ZL30rocblas_trmm_outofplace_kernelI19rocblas_complex_numIfELi32ELi2ELb1ELb1ELb1ELb0ES1_KS1_S1_Ev17rocblas_diagonal_iiT6_lPT7_lllS6_lllPT8_llli.has_dyn_sized_stack, 0
	.set _ZL30rocblas_trmm_outofplace_kernelI19rocblas_complex_numIfELi32ELi2ELb1ELb1ELb1ELb0ES1_KS1_S1_Ev17rocblas_diagonal_iiT6_lPT7_lllS6_lllPT8_llli.has_recursion, 0
	.set _ZL30rocblas_trmm_outofplace_kernelI19rocblas_complex_numIfELi32ELi2ELb1ELb1ELb1ELb0ES1_KS1_S1_Ev17rocblas_diagonal_iiT6_lPT7_lllS6_lllPT8_llli.has_indirect_call, 0
	.section	.AMDGPU.csdata,"",@progbits
; Kernel info:
; codeLenInByte = 7644
; TotalNumSgprs: 58
; NumVgprs: 91
; ScratchSize: 0
; MemoryBound: 1
; FloatMode: 240
; IeeeMode: 1
; LDSByteSize: 16384 bytes/workgroup (compile time only)
; SGPRBlocks: 0
; VGPRBlocks: 11
; NumSGPRsForWavesPerEU: 58
; NumVGPRsForWavesPerEU: 91
; Occupancy: 16
; WaveLimiterHint : 0
; COMPUTE_PGM_RSRC2:SCRATCH_EN: 0
; COMPUTE_PGM_RSRC2:USER_SGPR: 2
; COMPUTE_PGM_RSRC2:TRAP_HANDLER: 0
; COMPUTE_PGM_RSRC2:TGID_X_EN: 1
; COMPUTE_PGM_RSRC2:TGID_Y_EN: 1
; COMPUTE_PGM_RSRC2:TGID_Z_EN: 1
; COMPUTE_PGM_RSRC2:TIDIG_COMP_CNT: 1
	.section	.text._ZL30rocblas_trmm_outofplace_kernelI19rocblas_complex_numIfELi32ELi2ELb1ELb0ELb1ELb1EPKS1_S2_S1_Ev17rocblas_diagonal_iiT6_lPT7_lllS7_lllPT8_llli,"axG",@progbits,_ZL30rocblas_trmm_outofplace_kernelI19rocblas_complex_numIfELi32ELi2ELb1ELb0ELb1ELb1EPKS1_S2_S1_Ev17rocblas_diagonal_iiT6_lPT7_lllS7_lllPT8_llli,comdat
	.globl	_ZL30rocblas_trmm_outofplace_kernelI19rocblas_complex_numIfELi32ELi2ELb1ELb0ELb1ELb1EPKS1_S2_S1_Ev17rocblas_diagonal_iiT6_lPT7_lllS7_lllPT8_llli ; -- Begin function _ZL30rocblas_trmm_outofplace_kernelI19rocblas_complex_numIfELi32ELi2ELb1ELb0ELb1ELb1EPKS1_S2_S1_Ev17rocblas_diagonal_iiT6_lPT7_lllS7_lllPT8_llli
	.p2align	8
	.type	_ZL30rocblas_trmm_outofplace_kernelI19rocblas_complex_numIfELi32ELi2ELb1ELb0ELb1ELb1EPKS1_S2_S1_Ev17rocblas_diagonal_iiT6_lPT7_lllS7_lllPT8_llli,@function
_ZL30rocblas_trmm_outofplace_kernelI19rocblas_complex_numIfELi32ELi2ELb1ELb0ELb1ELb1EPKS1_S2_S1_Ev17rocblas_diagonal_iiT6_lPT7_lllS7_lllPT8_llli: ; @_ZL30rocblas_trmm_outofplace_kernelI19rocblas_complex_numIfELi32ELi2ELb1ELb0ELb1ELb1EPKS1_S2_S1_Ev17rocblas_diagonal_iiT6_lPT7_lllS7_lllPT8_llli
; %bb.0:
	s_load_b32 s11, s[0:1], 0x80
	s_lshr_b32 s34, ttmp7, 16
	s_wait_kmcnt 0x0
	s_cmp_ge_u32 s34, s11
	s_cbranch_scc1 .LBB80_68
; %bb.1:
	s_clause 0x3
	s_load_b96 s[8:10], s[0:1], 0x0
	s_load_b256 s[36:43], s[0:1], 0x50
	s_load_b512 s[12:27], s[0:1], 0x10
	s_load_b128 s[28:31], s[0:1], 0x70
	s_add_nc_u64 s[44:45], s[0:1], 0x88
	s_and_b32 s33, ttmp7, 0xffff
	v_bfe_u32 v50, v0, 10, 10
	v_dual_mov_b32 v33, 0 :: v_dual_and_b32 v0, 0x3ff, v0
	v_mov_b32_e32 v32, 1.0
	s_mov_b32 s35, 0
	s_delay_alu instid0(VALU_DEP_3) | instskip(NEXT) | instid1(VALU_DEP_3)
	v_lshlrev_b32_e32 v1, 8, v50
	v_lshlrev_b32_e32 v51, 3, v0
	v_lshl_add_u32 v55, s33, 5, v50
	s_delay_alu instid0(VALU_DEP_3) | instskip(NEXT) | instid1(VALU_DEP_3)
	v_add_nc_u32_e32 v52, 0x2000, v1
	v_add_nc_u32_e32 v53, v51, v1
	v_add_nc_u32_e32 v56, 0x800, v51
	v_add_nc_u32_e32 v57, 0x1000, v51
	s_wait_kmcnt 0x0
	s_add_co_i32 s2, s10, -1
	v_add_nc_u32_e32 v54, v52, v51
	s_ashr_i32 s3, s2, 31
	v_add_nc_u32_e32 v58, 0x1800, v51
	s_lshr_b32 s0, s3, 27
	s_mov_b32 s50, s10
	s_add_co_i32 s2, s2, s0
	s_lshl_b64 s[0:1], s[42:43], 3
	s_ashr_i32 s48, s2, 5
	s_mov_b32 s42, s9
	s_cmp_le_i32 s33, s48
	s_add_nc_u64 s[40:41], s[40:41], s[0:1]
	s_cselect_b32 s49, -1, 0
	s_lshl_b32 s2, ttmp9, 5
	s_delay_alu instid0(SALU_CYCLE_1) | instskip(SKIP_3) | instid1(VALU_DEP_2)
	v_add_nc_u32_e32 v10, s2, v0
	s_sub_co_i32 s51, s9, s2
	v_add_nc_u32_e32 v8, s2, v50
	s_cmp_gt_i32 s51, 0
	v_ashrrev_i32_e32 v11, 31, v10
	v_add_co_u32 v14, vcc_lo, v10, 16
	s_cselect_b32 s52, -1, 0
	s_cmp_eq_u32 s8, 0x84
	v_lshlrev_b64_e32 v[16:17], 3, v[10:11]
	v_add_co_ci_u32_e64 v15, null, 0, v11, vcc_lo
	s_cselect_b32 s53, -1, 0
	s_lshl_b64 s[4:5], s[18:19], 3
	v_ashrrev_i32_e32 v9, 31, v8
	v_add_co_u32 v0, vcc_lo, 0x80, v16
	s_wait_alu 0xfffd
	v_add_co_ci_u32_e64 v1, null, 0, v17, vcc_lo
	v_mul_lo_u32 v24, s20, v11
	s_delay_alu instid0(VALU_DEP_3) | instskip(SKIP_1) | instid1(VALU_DEP_4)
	v_mul_lo_u32 v7, s21, v0
	v_mul_lo_u32 v25, s21, v10
	;; [unrolled: 1-line block ×3, first 2 shown]
	v_mad_co_u64_u32 v[0:1], null, s20, v0, s[4:5]
	v_mad_co_u64_u32 v[2:3], null, s20, v10, 0
	v_sub_co_u32 v18, vcc_lo, v10, v8
	s_wait_alu 0xfffd
	v_sub_co_ci_u32_e64 v19, null, v11, v9, vcc_lo
	v_lshlrev_b64_e32 v[4:5], 3, v[8:9]
	s_delay_alu instid0(VALU_DEP_3)
	v_add_co_u32 v20, vcc_lo, v18, 16
	v_add3_u32 v1, v7, v1, v6
	v_add3_u32 v3, v3, v24, v25
	s_wait_alu 0xfffd
	v_add_co_ci_u32_e64 v21, null, 0, v19, vcc_lo
	v_add_co_u32 v22, vcc_lo, v18, -16
	s_wait_alu 0xfffd
	v_add_co_ci_u32_e64 v23, null, -1, v19, vcc_lo
	v_add_co_u32 v6, vcc_lo, v0, v4
	s_wait_alu 0xfffd
	v_add_co_ci_u32_e64 v7, null, v1, v5, vcc_lo
	v_lshlrev_b64_e32 v[0:1], 3, v[2:3]
	s_delay_alu instid0(VALU_DEP_3) | instskip(SKIP_1) | instid1(VALU_DEP_3)
	v_add_co_u32 v24, vcc_lo, s16, v6
	s_wait_alu 0xfffd
	v_add_co_ci_u32_e64 v25, null, s17, v7, vcc_lo
	v_add_nc_u32_e32 v12, 16, v10
	s_delay_alu instid0(VALU_DEP_4)
	v_add_co_u32 v0, vcc_lo, v0, s4
	s_wait_alu 0xfffd
	v_add_co_ci_u32_e64 v1, null, s5, v1, vcc_lo
	s_lshl_b64 s[4:5], s[26:27], 3
	v_add_co_u32 v0, vcc_lo, v0, v4
	s_wait_alu 0xfffe
	s_add_nc_u64 s[4:5], s[24:25], s[4:5]
	s_wait_alu 0xfffd
	v_add_co_ci_u32_e64 v1, null, v1, v5, vcc_lo
	s_wait_alu 0xfffe
	v_add_co_u32 v26, vcc_lo, s4, v16
	s_wait_alu 0xfffd
	v_add_co_ci_u32_e64 v27, null, s5, v17, vcc_lo
	v_add_co_u32 v28, vcc_lo, s16, v0
	s_ashr_i32 s43, s9, 31
	s_wait_alu 0xfffd
	v_add_co_ci_u32_e64 v29, null, s17, v1, vcc_lo
	v_add_co_u32 v30, vcc_lo, 0x80, v26
	v_cmp_le_i64_e64 s3, s[42:43], v[14:15]
	v_cmp_le_i32_e64 s0, s9, v10
	v_cmp_gt_i32_e64 s1, s9, v10
	v_cmp_gt_i32_e64 s2, s9, v12
	v_ashrrev_i32_e32 v13, 31, v12
	s_wait_alu 0xfffd
	v_add_co_ci_u32_e64 v31, null, 0, v27, vcc_lo
	s_ashr_i32 s54, s10, 31
	s_add_nc_u64 s[46:47], s[42:43], -16
	s_lshl_b64 s[16:17], s[22:23], 3
	s_lshl_b64 s[18:19], s[38:39], 3
	;; [unrolled: 1-line block ×3, first 2 shown]
	s_branch .LBB80_4
.LBB80_2:                               ;   in Loop: Header=BB80_4 Depth=1
	s_add_co_i32 s34, s34, 0x10000
	s_wait_alu 0xfffe
	s_cmp_ge_u32 s34, s11
	s_cselect_b32 s4, -1, 0
.LBB80_3:                               ;   in Loop: Header=BB80_4 Depth=1
	s_wait_alu 0xfffe
	s_and_b32 vcc_lo, exec_lo, s4
	s_wait_alu 0xfffe
	s_cbranch_vccnz .LBB80_68
.LBB80_4:                               ; =>This Loop Header: Depth=1
                                        ;     Child Loop BB80_8 Depth 2
                                        ;       Child Loop BB80_11 Depth 3
	s_mul_u64 s[4:5], s[14:15], s[34:35]
	s_wait_alu 0xfffe
	s_lshl_b64 s[4:5], s[4:5], 3
	s_wait_alu 0xfffe
	s_add_nc_u64 s[4:5], s[12:13], s[4:5]
	global_load_b64 v[34:35], v33, s[4:5]
	s_mov_b32 s4, -1
	s_wait_loadcnt 0x0
	v_or_b32_e32 v0, v34, v35
	s_delay_alu instid0(VALU_DEP_1) | instskip(NEXT) | instid1(VALU_DEP_1)
	v_and_b32_e32 v0, 0x7fffffff, v0
	v_cmp_eq_u32_e32 vcc_lo, 0, v0
	s_cbranch_vccnz .LBB80_3
; %bb.5:                                ;   in Loop: Header=BB80_4 Depth=1
	s_and_not1_b32 vcc_lo, exec_lo, s49
	s_wait_alu 0xfffe
	s_cbranch_vccnz .LBB80_2
; %bb.6:                                ;   in Loop: Header=BB80_4 Depth=1
	s_load_b32 s9, s[44:45], 0x4
	v_mad_co_u64_u32 v[36:37], null, s16, s34, v[24:25]
	v_mad_co_u64_u32 v[38:39], null, s16, s34, v[28:29]
	;; [unrolled: 1-line block ×4, first 2 shown]
	s_mul_i32 s6, s17, s34
	s_mul_i32 s7, s19, s34
	s_mul_u64 s[4:5], s[30:31], s[34:35]
	s_wait_alu 0xfffe
	v_dual_mov_b32 v44, v55 :: v_dual_add_nc_u32 v37, s6, v37
	v_add_nc_u32_e32 v39, s6, v39
	v_add_nc_u32_e32 v41, s7, v41
	;; [unrolled: 1-line block ×3, first 2 shown]
	s_lshl_b64 s[4:5], s[4:5], 3
	s_mov_b32 s39, s33
	s_wait_alu 0xfffe
	s_add_nc_u64 s[22:23], s[40:41], s[4:5]
	s_wait_kmcnt 0x0
	s_lshl_b32 s38, s9, 5
	s_branch .LBB80_8
.LBB80_7:                               ;   in Loop: Header=BB80_8 Depth=2
	s_wait_alu 0xfffe
	s_or_b32 exec_lo, exec_lo, s4
	v_add_nc_u32_e32 v44, s38, v44
	s_add_co_i32 s39, s9, s39
	s_wait_alu 0xfffe
	s_cmp_gt_i32 s39, s48
	s_cbranch_scc1 .LBB80_2
.LBB80_8:                               ;   Parent Loop BB80_4 Depth=1
                                        ; =>  This Loop Header: Depth=2
                                        ;       Child Loop BB80_11 Depth 3
	v_lshl_add_u32 v59, s39, 5, v50
	s_and_not1_b32 vcc_lo, exec_lo, s52
	s_delay_alu instid0(VALU_DEP_1)
	v_ashrrev_i32_e32 v60, 31, v59
	s_wait_alu 0xfffe
	s_cbranch_vccnz .LBB80_59
; %bb.9:                                ;   in Loop: Header=BB80_8 Depth=2
	v_ashrrev_i32_e32 v45, 31, v44
	v_mad_co_u64_u32 v[46:47], null, s20, v44, v[40:41]
	v_mul_lo_u32 v2, s21, v44
	v_dual_mov_b32 v61, 0 :: v_dual_mov_b32 v64, 0
	s_delay_alu instid0(VALU_DEP_4) | instskip(SKIP_3) | instid1(VALU_DEP_4)
	v_lshlrev_b64_e32 v[0:1], 3, v[44:45]
	v_mul_lo_u32 v5, s20, v45
	v_dual_mov_b32 v45, 0 :: v_dual_mov_b32 v62, 0
	v_dual_mov_b32 v63, 0 :: v_dual_mov_b32 v66, 0
	v_add_co_u32 v3, vcc_lo, 0x80, v0
	s_wait_alu 0xfffd
	v_add_co_ci_u32_e64 v4, null, 0, v1, vcc_lo
	v_sub_co_u32 v0, vcc_lo, s50, v59
	s_delay_alu instid0(VALU_DEP_3) | instskip(NEXT) | instid1(VALU_DEP_3)
	v_mul_lo_u32 v6, s37, v3
	v_mul_lo_u32 v4, s36, v4
	v_mad_co_u64_u32 v[48:49], null, s36, v3, v[42:43]
	s_wait_alu 0xfffd
	v_sub_co_ci_u32_e64 v1, null, s54, v60, vcc_lo
	v_add3_u32 v47, v2, v47, v5
	v_mov_b32_e32 v65, 0
	v_mov_b32_e32 v67, 0
	s_delay_alu instid0(VALU_DEP_4)
	v_cmp_lt_i64_e64 s4, 16, v[0:1]
	v_add3_u32 v49, v6, v49, v4
	s_mov_b64 s[24:25], 0
	s_mov_b64 s[26:27], 0
	v_cmp_lt_i64_e32 vcc_lo, 0, v[0:1]
	s_branch .LBB80_11
.LBB80_10:                              ;   in Loop: Header=BB80_11 Depth=3
	s_wait_alu 0xfffe
	s_or_b32 exec_lo, exec_lo, s5
	s_wait_dscnt 0x0
	s_barrier_signal -1
	s_barrier_wait -1
	global_inv scope:SCOPE_SE
	ds_load_b128 v[68:71], v52
	ds_load_b128 v[72:75], v52 offset:16
	ds_load_b128 v[4:7], v52 offset:32
	;; [unrolled: 1-line block ×3, first 2 shown]
	ds_load_2addr_b64 v[76:79], v51 offset1:16
	s_add_nc_u64 s[26:27], s[26:27], 32
	s_add_nc_u64 s[24:25], s[24:25], 0x100
	s_wait_alu 0xfffe
	s_cmp_ge_i32 s26, s51
	s_wait_dscnt 0x0
	v_mul_f32_e32 v81, v68, v77
	v_mul_f32_e32 v80, v69, v77
	s_delay_alu instid0(VALU_DEP_2) | instskip(NEXT) | instid1(VALU_DEP_1)
	v_fmac_f32_e32 v81, v69, v76
	v_add_f32_e32 v81, v67, v81
	v_mul_f32_e32 v67, v68, v79
	s_delay_alu instid0(VALU_DEP_4) | instskip(NEXT) | instid1(VALU_DEP_1)
	v_fma_f32 v80, v68, v76, -v80
	v_dual_fmac_f32 v67, v69, v78 :: v_dual_add_f32 v80, v66, v80
	v_mul_f32_e32 v66, v69, v79
	s_delay_alu instid0(VALU_DEP_2) | instskip(NEXT) | instid1(VALU_DEP_2)
	v_add_f32_e32 v69, v65, v67
	v_fma_f32 v66, v68, v78, -v66
	s_delay_alu instid0(VALU_DEP_1) | instskip(SKIP_4) | instid1(VALU_DEP_2)
	v_add_f32_e32 v68, v64, v66
	ds_load_b128 v[64:67], v52 offset:4096
	s_wait_dscnt 0x0
	v_mul_f32_e32 v82, v65, v77
	v_mul_f32_e32 v77, v64, v77
	v_fma_f32 v82, v64, v76, -v82
	s_delay_alu instid0(VALU_DEP_1) | instskip(NEXT) | instid1(VALU_DEP_1)
	v_dual_fmac_f32 v77, v65, v76 :: v_dual_add_f32 v76, v63, v82
	v_dual_add_f32 v77, v62, v77 :: v_dual_mul_f32 v62, v65, v79
	v_mul_f32_e32 v63, v64, v79
	s_delay_alu instid0(VALU_DEP_2) | instskip(NEXT) | instid1(VALU_DEP_2)
	v_fma_f32 v62, v64, v78, -v62
	v_fmac_f32_e32 v63, v65, v78
	s_delay_alu instid0(VALU_DEP_2) | instskip(NEXT) | instid1(VALU_DEP_2)
	v_add_f32_e32 v65, v61, v62
	v_add_f32_e32 v45, v45, v63
	ds_load_2addr_b64 v[61:64], v51 offset0:32 offset1:48
	s_wait_dscnt 0x0
	v_mul_f32_e32 v78, v71, v62
	v_mul_f32_e32 v79, v70, v62
	s_delay_alu instid0(VALU_DEP_2) | instskip(NEXT) | instid1(VALU_DEP_1)
	v_fma_f32 v78, v70, v61, -v78
	v_add_f32_e32 v78, v80, v78
	v_mul_f32_e32 v80, v71, v64
	s_delay_alu instid0(VALU_DEP_1) | instskip(SKIP_1) | instid1(VALU_DEP_2)
	v_fma_f32 v80, v70, v63, -v80
	v_mul_f32_e32 v70, v70, v64
	v_add_f32_e32 v68, v68, v80
	s_delay_alu instid0(VALU_DEP_2) | instskip(NEXT) | instid1(VALU_DEP_1)
	v_fmac_f32_e32 v70, v71, v63
	v_add_f32_e32 v69, v69, v70
	v_mul_f32_e32 v70, v67, v62
	v_mul_f32_e32 v62, v66, v62
	s_delay_alu instid0(VALU_DEP_2) | instskip(NEXT) | instid1(VALU_DEP_2)
	v_fma_f32 v70, v66, v61, -v70
	v_fmac_f32_e32 v62, v67, v61
	v_fmac_f32_e32 v79, v71, v61
	s_delay_alu instid0(VALU_DEP_3) | instskip(NEXT) | instid1(VALU_DEP_3)
	v_dual_mul_f32 v61, v67, v64 :: v_dual_add_f32 v70, v76, v70
	v_add_f32_e32 v71, v77, v62
	s_delay_alu instid0(VALU_DEP_3) | instskip(NEXT) | instid1(VALU_DEP_3)
	v_dual_add_f32 v79, v81, v79 :: v_dual_mul_f32 v62, v66, v64
	v_fma_f32 v61, v66, v63, -v61
	s_delay_alu instid0(VALU_DEP_2) | instskip(NEXT) | instid1(VALU_DEP_2)
	v_fmac_f32_e32 v62, v67, v63
	v_add_f32_e32 v76, v65, v61
	s_delay_alu instid0(VALU_DEP_2) | instskip(SKIP_4) | instid1(VALU_DEP_2)
	v_add_f32_e32 v45, v45, v62
	ds_load_2addr_b64 v[61:64], v51 offset0:64 offset1:80
	s_wait_dscnt 0x0
	v_mul_f32_e32 v65, v73, v62
	v_mul_f32_e32 v66, v72, v62
	v_fma_f32 v65, v72, v61, -v65
	s_delay_alu instid0(VALU_DEP_1) | instskip(SKIP_1) | instid1(VALU_DEP_4)
	v_add_f32_e32 v77, v78, v65
	v_mul_f32_e32 v65, v73, v64
	v_fmac_f32_e32 v66, v73, v61
	s_delay_alu instid0(VALU_DEP_2) | instskip(NEXT) | instid1(VALU_DEP_2)
	v_fma_f32 v65, v72, v63, -v65
	v_add_f32_e32 v78, v79, v66
	v_mul_f32_e32 v66, v72, v64
	s_delay_alu instid0(VALU_DEP_3) | instskip(NEXT) | instid1(VALU_DEP_2)
	v_add_f32_e32 v72, v68, v65
	v_fmac_f32_e32 v66, v73, v63
	s_delay_alu instid0(VALU_DEP_1) | instskip(SKIP_4) | instid1(VALU_DEP_2)
	v_add_f32_e32 v69, v69, v66
	ds_load_b128 v[65:68], v52 offset:4112
	s_wait_dscnt 0x0
	v_mul_f32_e32 v73, v66, v62
	v_mul_f32_e32 v62, v65, v62
	v_fma_f32 v73, v65, v61, -v73
	s_delay_alu instid0(VALU_DEP_2) | instskip(SKIP_1) | instid1(VALU_DEP_2)
	v_fmac_f32_e32 v62, v66, v61
	v_mul_f32_e32 v61, v66, v64
	v_dual_add_f32 v70, v70, v73 :: v_dual_add_f32 v71, v71, v62
	v_mul_f32_e32 v62, v65, v64
	s_delay_alu instid0(VALU_DEP_3) | instskip(NEXT) | instid1(VALU_DEP_1)
	v_fma_f32 v61, v65, v63, -v61
	v_dual_fmac_f32 v62, v66, v63 :: v_dual_add_f32 v65, v76, v61
	s_delay_alu instid0(VALU_DEP_1) | instskip(SKIP_4) | instid1(VALU_DEP_2)
	v_add_f32_e32 v45, v45, v62
	ds_load_2addr_b64 v[61:64], v51 offset0:96 offset1:112
	s_wait_dscnt 0x0
	v_mul_f32_e32 v66, v75, v62
	v_dual_mul_f32 v76, v75, v64 :: v_dual_mul_f32 v73, v74, v62
	v_fma_f32 v66, v74, v61, -v66
	s_delay_alu instid0(VALU_DEP_2) | instskip(SKIP_1) | instid1(VALU_DEP_1)
	v_fma_f32 v76, v74, v63, -v76
	v_mul_f32_e32 v74, v74, v64
	v_fmac_f32_e32 v74, v75, v63
	v_fmac_f32_e32 v73, v75, v61
	s_delay_alu instid0(VALU_DEP_2) | instskip(SKIP_1) | instid1(VALU_DEP_3)
	v_add_f32_e32 v69, v69, v74
	v_mul_f32_e32 v74, v68, v62
	v_dual_mul_f32 v62, v67, v62 :: v_dual_add_f32 v73, v78, v73
	s_delay_alu instid0(VALU_DEP_2) | instskip(NEXT) | instid1(VALU_DEP_2)
	v_fma_f32 v74, v67, v61, -v74
	v_fmac_f32_e32 v62, v68, v61
	s_delay_alu instid0(VALU_DEP_2) | instskip(NEXT) | instid1(VALU_DEP_2)
	v_dual_mul_f32 v61, v68, v64 :: v_dual_add_f32 v70, v70, v74
	v_add_f32_e32 v71, v71, v62
	v_mul_f32_e32 v62, v67, v64
	s_delay_alu instid0(VALU_DEP_3) | instskip(NEXT) | instid1(VALU_DEP_2)
	v_fma_f32 v61, v67, v63, -v61
	v_fmac_f32_e32 v62, v68, v63
	v_add_f32_e32 v72, v72, v76
	s_delay_alu instid0(VALU_DEP_3) | instskip(NEXT) | instid1(VALU_DEP_3)
	v_add_f32_e32 v74, v65, v61
	v_add_f32_e32 v45, v45, v62
	ds_load_2addr_b64 v[61:64], v51 offset0:128 offset1:144
	v_add_f32_e32 v66, v77, v66
	s_wait_dscnt 0x0
	v_mul_f32_e32 v65, v5, v62
	v_mul_f32_e32 v67, v4, v62
	s_delay_alu instid0(VALU_DEP_2) | instskip(NEXT) | instid1(VALU_DEP_2)
	v_fma_f32 v65, v4, v61, -v65
	v_fmac_f32_e32 v67, v5, v61
	s_delay_alu instid0(VALU_DEP_2) | instskip(SKIP_1) | instid1(VALU_DEP_3)
	v_add_f32_e32 v75, v66, v65
	v_mul_f32_e32 v65, v5, v64
	v_add_f32_e32 v73, v73, v67
	s_delay_alu instid0(VALU_DEP_2) | instskip(SKIP_1) | instid1(VALU_DEP_1)
	v_fma_f32 v65, v4, v63, -v65
	v_mul_f32_e32 v4, v4, v64
	v_dual_fmac_f32 v4, v5, v63 :: v_dual_add_f32 v5, v72, v65
	ds_load_b128 v[65:68], v52 offset:4128
	s_wait_dscnt 0x0
	v_dual_add_f32 v4, v69, v4 :: v_dual_mul_f32 v69, v66, v62
	v_mul_f32_e32 v62, v65, v62
	s_delay_alu instid0(VALU_DEP_2) | instskip(NEXT) | instid1(VALU_DEP_2)
	v_fma_f32 v69, v65, v61, -v69
	v_fmac_f32_e32 v62, v66, v61
	v_mul_f32_e32 v61, v66, v64
	s_delay_alu instid0(VALU_DEP_2) | instskip(SKIP_1) | instid1(VALU_DEP_3)
	v_dual_add_f32 v69, v70, v69 :: v_dual_add_f32 v70, v71, v62
	v_mul_f32_e32 v62, v65, v64
	v_fma_f32 v61, v65, v63, -v61
	s_delay_alu instid0(VALU_DEP_2) | instskip(NEXT) | instid1(VALU_DEP_2)
	v_fmac_f32_e32 v62, v66, v63
	v_add_f32_e32 v65, v74, v61
	s_delay_alu instid0(VALU_DEP_2) | instskip(SKIP_3) | instid1(VALU_DEP_1)
	v_add_f32_e32 v45, v45, v62
	ds_load_2addr_b64 v[61:64], v51 offset0:160 offset1:176
	s_wait_dscnt 0x0
	v_dual_mul_f32 v72, v7, v64 :: v_dual_mul_f32 v71, v6, v62
	v_fma_f32 v72, v6, v63, -v72
	s_delay_alu instid0(VALU_DEP_1) | instskip(NEXT) | instid1(VALU_DEP_1)
	v_dual_add_f32 v72, v5, v72 :: v_dual_mul_f32 v5, v67, v62
	v_fmac_f32_e32 v5, v68, v61
	s_delay_alu instid0(VALU_DEP_1) | instskip(NEXT) | instid1(VALU_DEP_1)
	v_dual_add_f32 v70, v70, v5 :: v_dual_mul_f32 v5, v67, v64
	v_dual_mul_f32 v66, v7, v62 :: v_dual_fmac_f32 v5, v68, v63
	s_delay_alu instid0(VALU_DEP_1) | instskip(NEXT) | instid1(VALU_DEP_2)
	v_fma_f32 v66, v6, v61, -v66
	v_dual_mul_f32 v6, v6, v64 :: v_dual_add_f32 v45, v45, v5
	s_delay_alu instid0(VALU_DEP_1) | instskip(SKIP_1) | instid1(VALU_DEP_1)
	v_fmac_f32_e32 v6, v7, v63
	v_fmac_f32_e32 v71, v7, v61
	v_add_f32_e32 v71, v73, v71
	s_delay_alu instid0(VALU_DEP_3) | instskip(SKIP_1) | instid1(VALU_DEP_1)
	v_add_f32_e32 v73, v4, v6
	v_mul_f32_e32 v4, v68, v62
	v_fma_f32 v4, v67, v61, -v4
	s_delay_alu instid0(VALU_DEP_1) | instskip(SKIP_1) | instid1(VALU_DEP_1)
	v_add_f32_e32 v69, v69, v4
	v_mul_f32_e32 v4, v68, v64
	v_fma_f32 v4, v67, v63, -v4
	s_delay_alu instid0(VALU_DEP_1) | instskip(SKIP_4) | instid1(VALU_DEP_2)
	v_dual_add_f32 v66, v75, v66 :: v_dual_add_f32 v65, v65, v4
	ds_load_2addr_b64 v[4:7], v51 offset0:192 offset1:208
	s_wait_dscnt 0x0
	v_mul_f32_e32 v61, v1, v5
	v_mul_f32_e32 v62, v0, v5
	v_fma_f32 v61, v0, v4, -v61
	s_delay_alu instid0(VALU_DEP_1) | instskip(NEXT) | instid1(VALU_DEP_1)
	v_dual_add_f32 v66, v66, v61 :: v_dual_mul_f32 v61, v1, v7
	v_fma_f32 v61, v0, v6, -v61
	s_delay_alu instid0(VALU_DEP_4) | instskip(SKIP_1) | instid1(VALU_DEP_1)
	v_fmac_f32_e32 v62, v1, v4
	v_mul_f32_e32 v0, v0, v7
	v_dual_fmac_f32 v0, v1, v6 :: v_dual_add_f32 v1, v72, v61
	s_delay_alu instid0(VALU_DEP_3) | instskip(SKIP_4) | instid1(VALU_DEP_2)
	v_add_f32_e32 v67, v71, v62
	ds_load_b128 v[61:64], v52 offset:4144
	s_wait_dscnt 0x0
	v_mul_f32_e32 v68, v62, v5
	v_mul_f32_e32 v5, v61, v5
	v_fma_f32 v68, v61, v4, -v68
	s_delay_alu instid0(VALU_DEP_2) | instskip(SKIP_1) | instid1(VALU_DEP_2)
	v_fmac_f32_e32 v5, v62, v4
	v_add_f32_e32 v0, v73, v0
	v_dual_add_f32 v68, v69, v68 :: v_dual_add_f32 v69, v70, v5
	v_mul_f32_e32 v5, v61, v7
	s_delay_alu instid0(VALU_DEP_1) | instskip(NEXT) | instid1(VALU_DEP_1)
	v_fmac_f32_e32 v5, v62, v6
	v_dual_mul_f32 v4, v62, v7 :: v_dual_add_f32 v45, v45, v5
	s_delay_alu instid0(VALU_DEP_1) | instskip(NEXT) | instid1(VALU_DEP_1)
	v_fma_f32 v4, v61, v6, -v4
	v_add_f32_e32 v61, v65, v4
	ds_load_2addr_b64 v[4:7], v51 offset0:224 offset1:240
	s_wait_dscnt 0x0
	v_mul_f32_e32 v62, v3, v5
	v_mul_f32_e32 v65, v2, v5
	s_delay_alu instid0(VALU_DEP_2) | instskip(NEXT) | instid1(VALU_DEP_1)
	v_fma_f32 v62, v2, v4, -v62
	v_add_f32_e32 v62, v66, v62
	v_mul_f32_e32 v66, v3, v7
	s_delay_alu instid0(VALU_DEP_4) | instskip(NEXT) | instid1(VALU_DEP_2)
	v_fmac_f32_e32 v65, v3, v4
	v_fma_f32 v66, v2, v6, -v66
	s_delay_alu instid0(VALU_DEP_2) | instskip(NEXT) | instid1(VALU_DEP_2)
	v_dual_mul_f32 v2, v2, v7 :: v_dual_add_f32 v65, v67, v65
	v_dual_add_f32 v66, v1, v66 :: v_dual_mul_f32 v1, v63, v5
	s_delay_alu instid0(VALU_DEP_1) | instskip(NEXT) | instid1(VALU_DEP_1)
	v_dual_fmac_f32 v2, v3, v6 :: v_dual_fmac_f32 v1, v64, v4
	v_add_f32_e32 v67, v0, v2
	v_mul_f32_e32 v0, v64, v5
	s_delay_alu instid0(VALU_DEP_3) | instskip(SKIP_1) | instid1(VALU_DEP_3)
	v_add_f32_e32 v69, v69, v1
	v_mul_f32_e32 v1, v63, v7
	v_fma_f32 v0, v63, v4, -v0
	s_delay_alu instid0(VALU_DEP_2) | instskip(NEXT) | instid1(VALU_DEP_2)
	v_fmac_f32_e32 v1, v64, v6
	v_add_f32_e32 v68, v68, v0
	v_mul_f32_e32 v0, v64, v7
	s_delay_alu instid0(VALU_DEP_1) | instskip(NEXT) | instid1(VALU_DEP_1)
	v_fma_f32 v0, v63, v6, -v0
	v_add_f32_e32 v70, v61, v0
	v_add_f32_e32 v45, v45, v1
	ds_load_b128 v[0:3], v52 offset:64
	ds_load_2addr_b64 v[4:7], v56 offset1:16
	s_wait_dscnt 0x0
	v_mul_f32_e32 v61, v1, v5
	v_mul_f32_e32 v63, v0, v5
	s_delay_alu instid0(VALU_DEP_2) | instskip(NEXT) | instid1(VALU_DEP_1)
	v_fma_f32 v61, v0, v4, -v61
	v_add_f32_e32 v71, v62, v61
	v_mul_f32_e32 v61, v1, v7
	s_delay_alu instid0(VALU_DEP_1) | instskip(SKIP_1) | instid1(VALU_DEP_1)
	v_fma_f32 v61, v0, v6, -v61
	v_mul_f32_e32 v0, v0, v7
	v_fmac_f32_e32 v0, v1, v6
	v_fmac_f32_e32 v63, v1, v4
	s_delay_alu instid0(VALU_DEP_2) | instskip(NEXT) | instid1(VALU_DEP_2)
	v_dual_add_f32 v1, v66, v61 :: v_dual_add_f32 v0, v67, v0
	v_add_f32_e32 v65, v65, v63
	ds_load_b128 v[61:64], v52 offset:4160
	s_wait_dscnt 0x0
	v_mul_f32_e32 v66, v62, v5
	v_mul_f32_e32 v5, v61, v5
	s_delay_alu instid0(VALU_DEP_2) | instskip(NEXT) | instid1(VALU_DEP_2)
	v_fma_f32 v66, v61, v4, -v66
	v_fmac_f32_e32 v5, v62, v4
	v_mul_f32_e32 v4, v62, v7
	s_delay_alu instid0(VALU_DEP_2) | instskip(SKIP_1) | instid1(VALU_DEP_3)
	v_dual_add_f32 v66, v68, v66 :: v_dual_add_f32 v67, v69, v5
	v_mul_f32_e32 v5, v61, v7
	v_fma_f32 v4, v61, v6, -v4
	s_delay_alu instid0(VALU_DEP_2) | instskip(NEXT) | instid1(VALU_DEP_2)
	v_fmac_f32_e32 v5, v62, v6
	v_add_f32_e32 v61, v70, v4
	s_delay_alu instid0(VALU_DEP_2) | instskip(SKIP_4) | instid1(VALU_DEP_2)
	v_add_f32_e32 v45, v45, v5
	ds_load_2addr_b64 v[4:7], v56 offset0:32 offset1:48
	s_wait_dscnt 0x0
	v_mul_f32_e32 v68, v2, v5
	v_mul_f32_e32 v62, v3, v5
	v_fmac_f32_e32 v68, v3, v4
	s_delay_alu instid0(VALU_DEP_2) | instskip(NEXT) | instid1(VALU_DEP_2)
	v_fma_f32 v62, v2, v4, -v62
	v_dual_add_f32 v65, v65, v68 :: v_dual_mul_f32 v68, v3, v7
	s_delay_alu instid0(VALU_DEP_2) | instskip(NEXT) | instid1(VALU_DEP_2)
	v_add_f32_e32 v62, v71, v62
	v_fma_f32 v68, v2, v6, -v68
	v_mul_f32_e32 v2, v2, v7
	s_delay_alu instid0(VALU_DEP_2) | instskip(NEXT) | instid1(VALU_DEP_2)
	v_add_f32_e32 v68, v1, v68
	v_fmac_f32_e32 v2, v3, v6
	s_delay_alu instid0(VALU_DEP_1) | instskip(SKIP_1) | instid1(VALU_DEP_1)
	v_add_f32_e32 v69, v0, v2
	v_mul_f32_e32 v0, v64, v5
	v_fma_f32 v0, v63, v4, -v0
	s_delay_alu instid0(VALU_DEP_1) | instskip(NEXT) | instid1(VALU_DEP_1)
	v_dual_mul_f32 v1, v63, v5 :: v_dual_add_f32 v66, v66, v0
	v_fmac_f32_e32 v1, v64, v4
	v_mul_f32_e32 v0, v64, v7
	s_delay_alu instid0(VALU_DEP_1) | instskip(NEXT) | instid1(VALU_DEP_3)
	v_fma_f32 v0, v63, v6, -v0
	v_add_f32_e32 v67, v67, v1
	s_delay_alu instid0(VALU_DEP_2) | instskip(NEXT) | instid1(VALU_DEP_1)
	v_dual_mul_f32 v1, v63, v7 :: v_dual_add_f32 v70, v61, v0
	v_fmac_f32_e32 v1, v64, v6
	s_delay_alu instid0(VALU_DEP_1)
	v_add_f32_e32 v45, v45, v1
	ds_load_b128 v[0:3], v52 offset:80
	ds_load_2addr_b64 v[4:7], v56 offset0:64 offset1:80
	s_wait_dscnt 0x0
	v_mul_f32_e32 v61, v1, v5
	v_mul_f32_e32 v63, v0, v5
	s_delay_alu instid0(VALU_DEP_2) | instskip(NEXT) | instid1(VALU_DEP_1)
	v_fma_f32 v61, v0, v4, -v61
	v_add_f32_e32 v71, v62, v61
	v_mul_f32_e32 v61, v1, v7
	s_delay_alu instid0(VALU_DEP_1) | instskip(SKIP_1) | instid1(VALU_DEP_1)
	v_fma_f32 v61, v0, v6, -v61
	v_mul_f32_e32 v0, v0, v7
	v_fmac_f32_e32 v0, v1, v6
	v_fmac_f32_e32 v63, v1, v4
	s_delay_alu instid0(VALU_DEP_2) | instskip(NEXT) | instid1(VALU_DEP_2)
	v_dual_add_f32 v1, v68, v61 :: v_dual_add_f32 v0, v69, v0
	v_add_f32_e32 v65, v65, v63
	ds_load_b128 v[61:64], v52 offset:4176
	s_wait_dscnt 0x0
	v_mul_f32_e32 v68, v62, v5
	v_mul_f32_e32 v5, v61, v5
	s_delay_alu instid0(VALU_DEP_2) | instskip(NEXT) | instid1(VALU_DEP_2)
	v_fma_f32 v68, v61, v4, -v68
	v_fmac_f32_e32 v5, v62, v4
	v_mul_f32_e32 v4, v62, v7
	s_delay_alu instid0(VALU_DEP_2) | instskip(SKIP_1) | instid1(VALU_DEP_3)
	v_dual_add_f32 v66, v66, v68 :: v_dual_add_f32 v67, v67, v5
	v_mul_f32_e32 v5, v61, v7
	v_fma_f32 v4, v61, v6, -v4
	s_delay_alu instid0(VALU_DEP_2) | instskip(NEXT) | instid1(VALU_DEP_2)
	v_fmac_f32_e32 v5, v62, v6
	v_add_f32_e32 v61, v70, v4
	s_delay_alu instid0(VALU_DEP_2) | instskip(SKIP_4) | instid1(VALU_DEP_2)
	v_add_f32_e32 v45, v45, v5
	ds_load_2addr_b64 v[4:7], v56 offset0:96 offset1:112
	s_wait_dscnt 0x0
	v_mul_f32_e32 v68, v2, v5
	v_mul_f32_e32 v62, v3, v5
	v_fmac_f32_e32 v68, v3, v4
	s_delay_alu instid0(VALU_DEP_2) | instskip(NEXT) | instid1(VALU_DEP_2)
	v_fma_f32 v62, v2, v4, -v62
	v_dual_add_f32 v65, v65, v68 :: v_dual_mul_f32 v68, v3, v7
	s_delay_alu instid0(VALU_DEP_2) | instskip(NEXT) | instid1(VALU_DEP_2)
	v_add_f32_e32 v62, v71, v62
	v_fma_f32 v68, v2, v6, -v68
	v_mul_f32_e32 v2, v2, v7
	s_delay_alu instid0(VALU_DEP_2) | instskip(NEXT) | instid1(VALU_DEP_2)
	v_add_f32_e32 v68, v1, v68
	v_fmac_f32_e32 v2, v3, v6
	s_delay_alu instid0(VALU_DEP_1) | instskip(SKIP_1) | instid1(VALU_DEP_1)
	v_add_f32_e32 v69, v0, v2
	v_mul_f32_e32 v0, v64, v5
	v_fma_f32 v0, v63, v4, -v0
	s_delay_alu instid0(VALU_DEP_1) | instskip(SKIP_1) | instid1(VALU_DEP_1)
	v_add_f32_e32 v66, v66, v0
	v_mul_f32_e32 v0, v64, v7
	v_fma_f32 v0, v63, v6, -v0
	s_delay_alu instid0(VALU_DEP_1) | instskip(NEXT) | instid1(VALU_DEP_1)
	v_dual_add_f32 v70, v61, v0 :: v_dual_mul_f32 v1, v63, v5
	v_fmac_f32_e32 v1, v64, v4
	s_delay_alu instid0(VALU_DEP_1) | instskip(SKIP_1) | instid1(VALU_DEP_1)
	v_add_f32_e32 v67, v67, v1
	v_mul_f32_e32 v1, v63, v7
	v_fmac_f32_e32 v1, v64, v6
	s_delay_alu instid0(VALU_DEP_1)
	v_add_f32_e32 v45, v45, v1
	ds_load_b128 v[0:3], v52 offset:96
	ds_load_2addr_b64 v[4:7], v56 offset0:128 offset1:144
	s_wait_dscnt 0x0
	v_mul_f32_e32 v61, v1, v5
	v_mul_f32_e32 v63, v0, v5
	s_delay_alu instid0(VALU_DEP_2) | instskip(NEXT) | instid1(VALU_DEP_2)
	v_fma_f32 v61, v0, v4, -v61
	v_fmac_f32_e32 v63, v1, v4
	s_delay_alu instid0(VALU_DEP_2) | instskip(SKIP_1) | instid1(VALU_DEP_3)
	v_add_f32_e32 v71, v62, v61
	v_mul_f32_e32 v61, v1, v7
	v_add_f32_e32 v65, v65, v63
	s_delay_alu instid0(VALU_DEP_2) | instskip(SKIP_1) | instid1(VALU_DEP_1)
	v_fma_f32 v61, v0, v6, -v61
	v_mul_f32_e32 v0, v0, v7
	v_dual_fmac_f32 v0, v1, v6 :: v_dual_add_f32 v1, v68, v61
	ds_load_b128 v[61:64], v52 offset:4192
	v_add_f32_e32 v0, v69, v0
	s_wait_dscnt 0x0
	v_mul_f32_e32 v68, v62, v5
	v_mul_f32_e32 v5, v61, v5
	s_delay_alu instid0(VALU_DEP_2) | instskip(NEXT) | instid1(VALU_DEP_2)
	v_fma_f32 v68, v61, v4, -v68
	v_fmac_f32_e32 v5, v62, v4
	v_mul_f32_e32 v4, v62, v7
	s_delay_alu instid0(VALU_DEP_2) | instskip(NEXT) | instid1(VALU_DEP_2)
	v_dual_add_f32 v66, v66, v68 :: v_dual_add_f32 v67, v67, v5
	v_fma_f32 v4, v61, v6, -v4
	v_mul_f32_e32 v5, v61, v7
	s_delay_alu instid0(VALU_DEP_2) | instskip(NEXT) | instid1(VALU_DEP_2)
	v_add_f32_e32 v61, v70, v4
	v_fmac_f32_e32 v5, v62, v6
	s_delay_alu instid0(VALU_DEP_1) | instskip(SKIP_4) | instid1(VALU_DEP_2)
	v_add_f32_e32 v45, v45, v5
	ds_load_2addr_b64 v[4:7], v56 offset0:160 offset1:176
	s_wait_dscnt 0x0
	v_mul_f32_e32 v68, v2, v5
	v_mul_f32_e32 v62, v3, v5
	v_fmac_f32_e32 v68, v3, v4
	s_delay_alu instid0(VALU_DEP_2) | instskip(NEXT) | instid1(VALU_DEP_2)
	v_fma_f32 v62, v2, v4, -v62
	v_dual_add_f32 v65, v65, v68 :: v_dual_mul_f32 v68, v3, v7
	s_delay_alu instid0(VALU_DEP_1) | instskip(SKIP_1) | instid1(VALU_DEP_2)
	v_fma_f32 v68, v2, v6, -v68
	v_mul_f32_e32 v2, v2, v7
	v_add_f32_e32 v68, v1, v68
	s_delay_alu instid0(VALU_DEP_2) | instskip(SKIP_1) | instid1(VALU_DEP_2)
	v_fmac_f32_e32 v2, v3, v6
	v_add_f32_e32 v62, v71, v62
	v_add_f32_e32 v69, v0, v2
	v_mul_f32_e32 v0, v64, v5
	v_mul_f32_e32 v1, v63, v5
	s_delay_alu instid0(VALU_DEP_2) | instskip(NEXT) | instid1(VALU_DEP_2)
	v_fma_f32 v0, v63, v4, -v0
	v_fmac_f32_e32 v1, v64, v4
	s_delay_alu instid0(VALU_DEP_1) | instskip(SKIP_2) | instid1(VALU_DEP_2)
	v_dual_add_f32 v66, v66, v0 :: v_dual_add_f32 v67, v67, v1
	v_mul_f32_e32 v0, v64, v7
	v_mul_f32_e32 v1, v63, v7
	v_fma_f32 v0, v63, v6, -v0
	s_delay_alu instid0(VALU_DEP_1) | instskip(NEXT) | instid1(VALU_DEP_1)
	v_dual_fmac_f32 v1, v64, v6 :: v_dual_add_f32 v70, v61, v0
	v_add_f32_e32 v45, v45, v1
	ds_load_b128 v[0:3], v52 offset:112
	ds_load_2addr_b64 v[4:7], v56 offset0:192 offset1:208
	s_wait_dscnt 0x0
	v_mul_f32_e32 v61, v1, v5
	v_mul_f32_e32 v63, v0, v5
	s_delay_alu instid0(VALU_DEP_2) | instskip(NEXT) | instid1(VALU_DEP_2)
	v_fma_f32 v61, v0, v4, -v61
	v_fmac_f32_e32 v63, v1, v4
	s_delay_alu instid0(VALU_DEP_2) | instskip(SKIP_1) | instid1(VALU_DEP_3)
	v_add_f32_e32 v71, v62, v61
	v_mul_f32_e32 v61, v1, v7
	v_add_f32_e32 v65, v65, v63
	s_delay_alu instid0(VALU_DEP_2) | instskip(SKIP_1) | instid1(VALU_DEP_1)
	v_fma_f32 v61, v0, v6, -v61
	v_mul_f32_e32 v0, v0, v7
	v_dual_fmac_f32 v0, v1, v6 :: v_dual_add_f32 v1, v68, v61
	ds_load_b128 v[61:64], v52 offset:4208
	s_wait_dscnt 0x0
	v_mul_f32_e32 v68, v62, v5
	v_mul_f32_e32 v5, v61, v5
	s_delay_alu instid0(VALU_DEP_2) | instskip(NEXT) | instid1(VALU_DEP_2)
	v_fma_f32 v68, v61, v4, -v68
	v_fmac_f32_e32 v5, v62, v4
	v_mul_f32_e32 v4, v62, v7
	s_delay_alu instid0(VALU_DEP_2) | instskip(SKIP_1) | instid1(VALU_DEP_3)
	v_dual_add_f32 v66, v66, v68 :: v_dual_add_f32 v67, v67, v5
	v_mul_f32_e32 v5, v61, v7
	v_fma_f32 v4, v61, v6, -v4
	s_delay_alu instid0(VALU_DEP_2) | instskip(NEXT) | instid1(VALU_DEP_2)
	v_fmac_f32_e32 v5, v62, v6
	v_add_f32_e32 v61, v70, v4
	s_delay_alu instid0(VALU_DEP_2)
	v_add_f32_e32 v45, v45, v5
	ds_load_2addr_b64 v[4:7], v56 offset0:224 offset1:240
	s_wait_dscnt 0x0
	v_mul_f32_e32 v68, v2, v5
	v_mul_f32_e32 v62, v3, v5
	v_add_f32_e32 v0, v69, v0
	s_delay_alu instid0(VALU_DEP_3) | instskip(NEXT) | instid1(VALU_DEP_3)
	v_fmac_f32_e32 v68, v3, v4
	v_fma_f32 v62, v2, v4, -v62
	s_delay_alu instid0(VALU_DEP_2) | instskip(NEXT) | instid1(VALU_DEP_1)
	v_dual_add_f32 v65, v65, v68 :: v_dual_mul_f32 v68, v3, v7
	v_fma_f32 v68, v2, v6, -v68
	v_mul_f32_e32 v2, v2, v7
	s_delay_alu instid0(VALU_DEP_1) | instskip(NEXT) | instid1(VALU_DEP_1)
	v_fmac_f32_e32 v2, v3, v6
	v_add_f32_e32 v69, v0, v2
	v_mul_f32_e32 v0, v64, v5
	s_delay_alu instid0(VALU_DEP_1) | instskip(NEXT) | instid1(VALU_DEP_1)
	v_fma_f32 v0, v63, v4, -v0
	v_add_f32_e32 v66, v66, v0
	v_mul_f32_e32 v0, v64, v7
	s_delay_alu instid0(VALU_DEP_1) | instskip(NEXT) | instid1(VALU_DEP_1)
	v_fma_f32 v0, v63, v6, -v0
	v_add_f32_e32 v70, v61, v0
	v_dual_add_f32 v68, v1, v68 :: v_dual_mul_f32 v1, v63, v5
	s_delay_alu instid0(VALU_DEP_1) | instskip(NEXT) | instid1(VALU_DEP_1)
	v_dual_add_f32 v62, v71, v62 :: v_dual_fmac_f32 v1, v64, v4
	v_add_f32_e32 v67, v67, v1
	v_mul_f32_e32 v1, v63, v7
	s_delay_alu instid0(VALU_DEP_1) | instskip(NEXT) | instid1(VALU_DEP_1)
	v_fmac_f32_e32 v1, v64, v6
	v_add_f32_e32 v45, v45, v1
	ds_load_b128 v[0:3], v52 offset:128
	ds_load_2addr_b64 v[4:7], v57 offset1:16
	s_wait_dscnt 0x0
	v_mul_f32_e32 v61, v1, v5
	v_mul_f32_e32 v63, v0, v5
	s_delay_alu instid0(VALU_DEP_2) | instskip(NEXT) | instid1(VALU_DEP_2)
	v_fma_f32 v61, v0, v4, -v61
	v_fmac_f32_e32 v63, v1, v4
	s_delay_alu instid0(VALU_DEP_2) | instskip(SKIP_1) | instid1(VALU_DEP_3)
	v_add_f32_e32 v71, v62, v61
	v_mul_f32_e32 v61, v1, v7
	v_add_f32_e32 v65, v65, v63
	s_delay_alu instid0(VALU_DEP_2) | instskip(SKIP_1) | instid1(VALU_DEP_1)
	v_fma_f32 v61, v0, v6, -v61
	v_mul_f32_e32 v0, v0, v7
	v_dual_fmac_f32 v0, v1, v6 :: v_dual_add_f32 v1, v68, v61
	ds_load_b128 v[61:64], v52 offset:4224
	s_wait_dscnt 0x0
	v_mul_f32_e32 v68, v62, v5
	v_mul_f32_e32 v5, v61, v5
	s_delay_alu instid0(VALU_DEP_2) | instskip(NEXT) | instid1(VALU_DEP_2)
	v_fma_f32 v68, v61, v4, -v68
	v_fmac_f32_e32 v5, v62, v4
	v_mul_f32_e32 v4, v62, v7
	s_delay_alu instid0(VALU_DEP_2) | instskip(SKIP_1) | instid1(VALU_DEP_3)
	v_dual_add_f32 v66, v66, v68 :: v_dual_add_f32 v67, v67, v5
	v_mul_f32_e32 v5, v61, v7
	v_fma_f32 v4, v61, v6, -v4
	s_delay_alu instid0(VALU_DEP_2) | instskip(NEXT) | instid1(VALU_DEP_2)
	v_fmac_f32_e32 v5, v62, v6
	v_add_f32_e32 v61, v70, v4
	s_delay_alu instid0(VALU_DEP_2) | instskip(SKIP_4) | instid1(VALU_DEP_2)
	v_add_f32_e32 v45, v45, v5
	ds_load_2addr_b64 v[4:7], v57 offset0:32 offset1:48
	s_wait_dscnt 0x0
	v_mul_f32_e32 v68, v2, v5
	v_mul_f32_e32 v62, v3, v5
	v_fmac_f32_e32 v68, v3, v4
	s_delay_alu instid0(VALU_DEP_2) | instskip(NEXT) | instid1(VALU_DEP_2)
	v_fma_f32 v62, v2, v4, -v62
	v_dual_add_f32 v65, v65, v68 :: v_dual_mul_f32 v68, v3, v7
	v_add_f32_e32 v0, v69, v0
	s_delay_alu instid0(VALU_DEP_3) | instskip(NEXT) | instid1(VALU_DEP_3)
	v_add_f32_e32 v62, v71, v62
	v_fma_f32 v68, v2, v6, -v68
	v_mul_f32_e32 v2, v2, v7
	s_delay_alu instid0(VALU_DEP_2) | instskip(NEXT) | instid1(VALU_DEP_2)
	v_add_f32_e32 v68, v1, v68
	v_fmac_f32_e32 v2, v3, v6
	v_mul_f32_e32 v1, v63, v5
	s_delay_alu instid0(VALU_DEP_2) | instskip(SKIP_1) | instid1(VALU_DEP_3)
	v_add_f32_e32 v69, v0, v2
	v_mul_f32_e32 v0, v64, v5
	v_fmac_f32_e32 v1, v64, v4
	s_delay_alu instid0(VALU_DEP_2) | instskip(NEXT) | instid1(VALU_DEP_2)
	v_fma_f32 v0, v63, v4, -v0
	v_add_f32_e32 v67, v67, v1
	s_delay_alu instid0(VALU_DEP_2) | instskip(SKIP_1) | instid1(VALU_DEP_2)
	v_dual_mul_f32 v1, v63, v7 :: v_dual_add_f32 v66, v66, v0
	v_mul_f32_e32 v0, v64, v7
	v_fmac_f32_e32 v1, v64, v6
	s_delay_alu instid0(VALU_DEP_2) | instskip(NEXT) | instid1(VALU_DEP_2)
	v_fma_f32 v0, v63, v6, -v0
	v_add_f32_e32 v45, v45, v1
	s_delay_alu instid0(VALU_DEP_2)
	v_add_f32_e32 v70, v61, v0
	ds_load_b128 v[0:3], v52 offset:144
	ds_load_2addr_b64 v[4:7], v57 offset0:64 offset1:80
	s_wait_dscnt 0x0
	v_mul_f32_e32 v61, v1, v5
	v_mul_f32_e32 v63, v0, v5
	s_delay_alu instid0(VALU_DEP_2) | instskip(NEXT) | instid1(VALU_DEP_2)
	v_fma_f32 v61, v0, v4, -v61
	v_fmac_f32_e32 v63, v1, v4
	s_delay_alu instid0(VALU_DEP_2) | instskip(SKIP_1) | instid1(VALU_DEP_3)
	v_add_f32_e32 v71, v62, v61
	v_mul_f32_e32 v61, v1, v7
	v_add_f32_e32 v65, v65, v63
	s_delay_alu instid0(VALU_DEP_2) | instskip(SKIP_1) | instid1(VALU_DEP_1)
	v_fma_f32 v61, v0, v6, -v61
	v_mul_f32_e32 v0, v0, v7
	v_dual_fmac_f32 v0, v1, v6 :: v_dual_add_f32 v1, v68, v61
	ds_load_b128 v[61:64], v52 offset:4240
	s_wait_dscnt 0x0
	v_mul_f32_e32 v68, v62, v5
	v_mul_f32_e32 v5, v61, v5
	s_delay_alu instid0(VALU_DEP_2) | instskip(NEXT) | instid1(VALU_DEP_2)
	v_fma_f32 v68, v61, v4, -v68
	v_fmac_f32_e32 v5, v62, v4
	v_mul_f32_e32 v4, v62, v7
	s_delay_alu instid0(VALU_DEP_2) | instskip(SKIP_1) | instid1(VALU_DEP_3)
	v_dual_add_f32 v66, v66, v68 :: v_dual_add_f32 v67, v67, v5
	v_mul_f32_e32 v5, v61, v7
	v_fma_f32 v4, v61, v6, -v4
	s_delay_alu instid0(VALU_DEP_2) | instskip(NEXT) | instid1(VALU_DEP_2)
	v_fmac_f32_e32 v5, v62, v6
	v_add_f32_e32 v61, v70, v4
	s_delay_alu instid0(VALU_DEP_2) | instskip(SKIP_4) | instid1(VALU_DEP_2)
	v_add_f32_e32 v45, v45, v5
	ds_load_2addr_b64 v[4:7], v57 offset0:96 offset1:112
	s_wait_dscnt 0x0
	v_mul_f32_e32 v68, v2, v5
	v_mul_f32_e32 v62, v3, v5
	v_fmac_f32_e32 v68, v3, v4
	s_delay_alu instid0(VALU_DEP_2) | instskip(NEXT) | instid1(VALU_DEP_2)
	v_fma_f32 v62, v2, v4, -v62
	v_dual_add_f32 v65, v65, v68 :: v_dual_mul_f32 v68, v3, v7
	s_delay_alu instid0(VALU_DEP_2) | instskip(NEXT) | instid1(VALU_DEP_2)
	v_add_f32_e32 v62, v71, v62
	v_fma_f32 v68, v2, v6, -v68
	v_mul_f32_e32 v2, v2, v7
	s_delay_alu instid0(VALU_DEP_2) | instskip(SKIP_1) | instid1(VALU_DEP_3)
	v_add_f32_e32 v68, v1, v68
	v_add_f32_e32 v0, v69, v0
	v_fmac_f32_e32 v2, v3, v6
	v_mul_f32_e32 v1, v63, v5
	s_delay_alu instid0(VALU_DEP_2) | instskip(SKIP_1) | instid1(VALU_DEP_3)
	v_add_f32_e32 v69, v0, v2
	v_mul_f32_e32 v0, v64, v5
	v_fmac_f32_e32 v1, v64, v4
	s_delay_alu instid0(VALU_DEP_2) | instskip(NEXT) | instid1(VALU_DEP_2)
	v_fma_f32 v0, v63, v4, -v0
	v_add_f32_e32 v67, v67, v1
	s_delay_alu instid0(VALU_DEP_2) | instskip(SKIP_1) | instid1(VALU_DEP_2)
	v_dual_mul_f32 v1, v63, v7 :: v_dual_add_f32 v66, v66, v0
	v_mul_f32_e32 v0, v64, v7
	v_fmac_f32_e32 v1, v64, v6
	s_delay_alu instid0(VALU_DEP_2) | instskip(NEXT) | instid1(VALU_DEP_2)
	v_fma_f32 v0, v63, v6, -v0
	v_add_f32_e32 v45, v45, v1
	s_delay_alu instid0(VALU_DEP_2)
	v_add_f32_e32 v70, v61, v0
	ds_load_b128 v[0:3], v52 offset:160
	ds_load_2addr_b64 v[4:7], v57 offset0:128 offset1:144
	s_wait_dscnt 0x0
	v_mul_f32_e32 v61, v1, v5
	v_mul_f32_e32 v63, v0, v5
	s_delay_alu instid0(VALU_DEP_2) | instskip(NEXT) | instid1(VALU_DEP_2)
	v_fma_f32 v61, v0, v4, -v61
	v_fmac_f32_e32 v63, v1, v4
	s_delay_alu instid0(VALU_DEP_2) | instskip(SKIP_1) | instid1(VALU_DEP_3)
	v_add_f32_e32 v71, v62, v61
	v_mul_f32_e32 v61, v1, v7
	v_add_f32_e32 v65, v65, v63
	s_delay_alu instid0(VALU_DEP_2) | instskip(SKIP_1) | instid1(VALU_DEP_1)
	v_fma_f32 v61, v0, v6, -v61
	v_mul_f32_e32 v0, v0, v7
	v_dual_fmac_f32 v0, v1, v6 :: v_dual_add_f32 v1, v68, v61
	ds_load_b128 v[61:64], v52 offset:4256
	v_add_f32_e32 v0, v69, v0
	s_wait_dscnt 0x0
	v_mul_f32_e32 v68, v62, v5
	v_mul_f32_e32 v5, v61, v5
	s_delay_alu instid0(VALU_DEP_2) | instskip(NEXT) | instid1(VALU_DEP_2)
	v_fma_f32 v68, v61, v4, -v68
	v_fmac_f32_e32 v5, v62, v4
	v_mul_f32_e32 v4, v62, v7
	s_delay_alu instid0(VALU_DEP_2) | instskip(SKIP_1) | instid1(VALU_DEP_3)
	v_dual_add_f32 v66, v66, v68 :: v_dual_add_f32 v67, v67, v5
	v_mul_f32_e32 v5, v61, v7
	v_fma_f32 v4, v61, v6, -v4
	s_delay_alu instid0(VALU_DEP_2) | instskip(NEXT) | instid1(VALU_DEP_2)
	v_fmac_f32_e32 v5, v62, v6
	v_add_f32_e32 v61, v70, v4
	s_delay_alu instid0(VALU_DEP_2) | instskip(SKIP_4) | instid1(VALU_DEP_2)
	v_add_f32_e32 v45, v45, v5
	ds_load_2addr_b64 v[4:7], v57 offset0:160 offset1:176
	s_wait_dscnt 0x0
	v_mul_f32_e32 v68, v2, v5
	v_mul_f32_e32 v62, v3, v5
	v_fmac_f32_e32 v68, v3, v4
	s_delay_alu instid0(VALU_DEP_2) | instskip(NEXT) | instid1(VALU_DEP_2)
	v_fma_f32 v62, v2, v4, -v62
	v_dual_add_f32 v65, v65, v68 :: v_dual_mul_f32 v68, v3, v7
	s_delay_alu instid0(VALU_DEP_2) | instskip(NEXT) | instid1(VALU_DEP_2)
	v_add_f32_e32 v62, v71, v62
	v_fma_f32 v68, v2, v6, -v68
	v_mul_f32_e32 v2, v2, v7
	s_delay_alu instid0(VALU_DEP_2) | instskip(NEXT) | instid1(VALU_DEP_2)
	v_add_f32_e32 v68, v1, v68
	v_fmac_f32_e32 v2, v3, v6
	v_mul_f32_e32 v1, v63, v5
	s_delay_alu instid0(VALU_DEP_2) | instskip(SKIP_1) | instid1(VALU_DEP_3)
	v_add_f32_e32 v69, v0, v2
	v_mul_f32_e32 v0, v64, v5
	v_fmac_f32_e32 v1, v64, v4
	s_delay_alu instid0(VALU_DEP_2) | instskip(NEXT) | instid1(VALU_DEP_2)
	v_fma_f32 v0, v63, v4, -v0
	v_add_f32_e32 v67, v67, v1
	s_delay_alu instid0(VALU_DEP_2) | instskip(SKIP_1) | instid1(VALU_DEP_2)
	v_dual_mul_f32 v1, v63, v7 :: v_dual_add_f32 v66, v66, v0
	v_mul_f32_e32 v0, v64, v7
	v_fmac_f32_e32 v1, v64, v6
	s_delay_alu instid0(VALU_DEP_2) | instskip(NEXT) | instid1(VALU_DEP_2)
	v_fma_f32 v0, v63, v6, -v0
	v_add_f32_e32 v45, v45, v1
	s_delay_alu instid0(VALU_DEP_2)
	v_add_f32_e32 v70, v61, v0
	ds_load_b128 v[0:3], v52 offset:176
	ds_load_2addr_b64 v[4:7], v57 offset0:192 offset1:208
	s_wait_dscnt 0x0
	v_mul_f32_e32 v61, v1, v5
	v_mul_f32_e32 v63, v0, v5
	s_delay_alu instid0(VALU_DEP_2) | instskip(NEXT) | instid1(VALU_DEP_2)
	v_fma_f32 v61, v0, v4, -v61
	v_fmac_f32_e32 v63, v1, v4
	s_delay_alu instid0(VALU_DEP_2) | instskip(SKIP_1) | instid1(VALU_DEP_3)
	v_add_f32_e32 v71, v62, v61
	v_mul_f32_e32 v61, v1, v7
	v_add_f32_e32 v65, v65, v63
	s_delay_alu instid0(VALU_DEP_2) | instskip(SKIP_1) | instid1(VALU_DEP_1)
	v_fma_f32 v61, v0, v6, -v61
	v_mul_f32_e32 v0, v0, v7
	v_dual_fmac_f32 v0, v1, v6 :: v_dual_add_f32 v1, v68, v61
	ds_load_b128 v[61:64], v52 offset:4272
	v_add_f32_e32 v0, v69, v0
	s_wait_dscnt 0x0
	v_mul_f32_e32 v68, v62, v5
	v_mul_f32_e32 v5, v61, v5
	s_delay_alu instid0(VALU_DEP_2) | instskip(NEXT) | instid1(VALU_DEP_2)
	v_fma_f32 v68, v61, v4, -v68
	v_fmac_f32_e32 v5, v62, v4
	v_mul_f32_e32 v4, v62, v7
	s_delay_alu instid0(VALU_DEP_2) | instskip(SKIP_1) | instid1(VALU_DEP_3)
	v_dual_add_f32 v66, v66, v68 :: v_dual_add_f32 v67, v67, v5
	v_mul_f32_e32 v5, v61, v7
	v_fma_f32 v4, v61, v6, -v4
	s_delay_alu instid0(VALU_DEP_2) | instskip(NEXT) | instid1(VALU_DEP_2)
	v_fmac_f32_e32 v5, v62, v6
	v_add_f32_e32 v61, v70, v4
	s_delay_alu instid0(VALU_DEP_2) | instskip(SKIP_4) | instid1(VALU_DEP_2)
	v_add_f32_e32 v45, v45, v5
	ds_load_2addr_b64 v[4:7], v57 offset0:224 offset1:240
	s_wait_dscnt 0x0
	v_mul_f32_e32 v68, v2, v5
	v_mul_f32_e32 v62, v3, v5
	v_fmac_f32_e32 v68, v3, v4
	s_delay_alu instid0(VALU_DEP_2) | instskip(NEXT) | instid1(VALU_DEP_2)
	v_fma_f32 v62, v2, v4, -v62
	v_dual_add_f32 v65, v65, v68 :: v_dual_mul_f32 v68, v3, v7
	s_delay_alu instid0(VALU_DEP_2) | instskip(NEXT) | instid1(VALU_DEP_2)
	v_add_f32_e32 v62, v71, v62
	v_fma_f32 v68, v2, v6, -v68
	v_mul_f32_e32 v2, v2, v7
	s_delay_alu instid0(VALU_DEP_2) | instskip(NEXT) | instid1(VALU_DEP_2)
	v_add_f32_e32 v68, v1, v68
	v_fmac_f32_e32 v2, v3, v6
	v_mul_f32_e32 v1, v63, v5
	s_delay_alu instid0(VALU_DEP_2) | instskip(SKIP_1) | instid1(VALU_DEP_3)
	v_add_f32_e32 v69, v0, v2
	v_mul_f32_e32 v0, v64, v5
	v_fmac_f32_e32 v1, v64, v4
	s_delay_alu instid0(VALU_DEP_2) | instskip(NEXT) | instid1(VALU_DEP_2)
	v_fma_f32 v0, v63, v4, -v0
	v_add_f32_e32 v67, v67, v1
	s_delay_alu instid0(VALU_DEP_2) | instskip(SKIP_1) | instid1(VALU_DEP_2)
	v_dual_mul_f32 v1, v63, v7 :: v_dual_add_f32 v66, v66, v0
	v_mul_f32_e32 v0, v64, v7
	v_fmac_f32_e32 v1, v64, v6
	s_delay_alu instid0(VALU_DEP_2) | instskip(NEXT) | instid1(VALU_DEP_2)
	v_fma_f32 v0, v63, v6, -v0
	v_add_f32_e32 v45, v45, v1
	s_delay_alu instid0(VALU_DEP_2)
	v_add_f32_e32 v70, v61, v0
	ds_load_b128 v[0:3], v52 offset:192
	ds_load_2addr_b64 v[4:7], v58 offset1:16
	s_wait_dscnt 0x0
	v_mul_f32_e32 v61, v1, v5
	v_mul_f32_e32 v63, v0, v5
	s_delay_alu instid0(VALU_DEP_2) | instskip(NEXT) | instid1(VALU_DEP_2)
	v_fma_f32 v61, v0, v4, -v61
	v_fmac_f32_e32 v63, v1, v4
	s_delay_alu instid0(VALU_DEP_2) | instskip(SKIP_1) | instid1(VALU_DEP_3)
	v_add_f32_e32 v71, v62, v61
	v_mul_f32_e32 v61, v1, v7
	v_add_f32_e32 v65, v65, v63
	s_delay_alu instid0(VALU_DEP_2) | instskip(SKIP_1) | instid1(VALU_DEP_1)
	v_fma_f32 v61, v0, v6, -v61
	v_mul_f32_e32 v0, v0, v7
	v_dual_fmac_f32 v0, v1, v6 :: v_dual_add_f32 v1, v68, v61
	ds_load_b128 v[61:64], v52 offset:4288
	v_add_f32_e32 v0, v69, v0
	s_wait_dscnt 0x0
	v_mul_f32_e32 v68, v62, v5
	v_mul_f32_e32 v5, v61, v5
	s_delay_alu instid0(VALU_DEP_2) | instskip(NEXT) | instid1(VALU_DEP_2)
	v_fma_f32 v68, v61, v4, -v68
	v_fmac_f32_e32 v5, v62, v4
	v_mul_f32_e32 v4, v62, v7
	s_delay_alu instid0(VALU_DEP_2) | instskip(SKIP_1) | instid1(VALU_DEP_3)
	v_dual_add_f32 v66, v66, v68 :: v_dual_add_f32 v67, v67, v5
	v_mul_f32_e32 v5, v61, v7
	v_fma_f32 v4, v61, v6, -v4
	s_delay_alu instid0(VALU_DEP_2) | instskip(NEXT) | instid1(VALU_DEP_2)
	v_fmac_f32_e32 v5, v62, v6
	v_add_f32_e32 v61, v70, v4
	s_delay_alu instid0(VALU_DEP_2) | instskip(SKIP_4) | instid1(VALU_DEP_2)
	v_add_f32_e32 v45, v45, v5
	ds_load_2addr_b64 v[4:7], v58 offset0:32 offset1:48
	s_wait_dscnt 0x0
	v_mul_f32_e32 v68, v2, v5
	v_mul_f32_e32 v62, v3, v5
	v_fmac_f32_e32 v68, v3, v4
	s_delay_alu instid0(VALU_DEP_2) | instskip(NEXT) | instid1(VALU_DEP_2)
	v_fma_f32 v62, v2, v4, -v62
	v_dual_add_f32 v65, v65, v68 :: v_dual_mul_f32 v68, v3, v7
	s_delay_alu instid0(VALU_DEP_2) | instskip(NEXT) | instid1(VALU_DEP_2)
	v_add_f32_e32 v62, v71, v62
	v_fma_f32 v68, v2, v6, -v68
	v_mul_f32_e32 v2, v2, v7
	s_delay_alu instid0(VALU_DEP_2) | instskip(NEXT) | instid1(VALU_DEP_2)
	v_add_f32_e32 v68, v1, v68
	v_fmac_f32_e32 v2, v3, v6
	v_mul_f32_e32 v1, v63, v5
	s_delay_alu instid0(VALU_DEP_2) | instskip(SKIP_1) | instid1(VALU_DEP_3)
	v_add_f32_e32 v69, v0, v2
	v_mul_f32_e32 v0, v64, v5
	v_fmac_f32_e32 v1, v64, v4
	s_delay_alu instid0(VALU_DEP_2) | instskip(NEXT) | instid1(VALU_DEP_2)
	v_fma_f32 v0, v63, v4, -v0
	v_add_f32_e32 v67, v67, v1
	s_delay_alu instid0(VALU_DEP_2) | instskip(SKIP_1) | instid1(VALU_DEP_2)
	v_dual_mul_f32 v1, v63, v7 :: v_dual_add_f32 v66, v66, v0
	v_mul_f32_e32 v0, v64, v7
	v_fmac_f32_e32 v1, v64, v6
	s_delay_alu instid0(VALU_DEP_2) | instskip(NEXT) | instid1(VALU_DEP_2)
	v_fma_f32 v0, v63, v6, -v0
	v_add_f32_e32 v45, v45, v1
	s_delay_alu instid0(VALU_DEP_2)
	v_add_f32_e32 v70, v61, v0
	ds_load_b128 v[0:3], v52 offset:208
	ds_load_2addr_b64 v[4:7], v58 offset0:64 offset1:80
	s_wait_dscnt 0x0
	v_mul_f32_e32 v61, v1, v5
	v_mul_f32_e32 v63, v0, v5
	s_delay_alu instid0(VALU_DEP_2) | instskip(NEXT) | instid1(VALU_DEP_2)
	v_fma_f32 v61, v0, v4, -v61
	v_fmac_f32_e32 v63, v1, v4
	s_delay_alu instid0(VALU_DEP_2) | instskip(SKIP_1) | instid1(VALU_DEP_3)
	v_add_f32_e32 v71, v62, v61
	v_mul_f32_e32 v61, v1, v7
	v_add_f32_e32 v65, v65, v63
	s_delay_alu instid0(VALU_DEP_2) | instskip(SKIP_1) | instid1(VALU_DEP_1)
	v_fma_f32 v61, v0, v6, -v61
	v_mul_f32_e32 v0, v0, v7
	v_dual_fmac_f32 v0, v1, v6 :: v_dual_add_f32 v1, v68, v61
	ds_load_b128 v[61:64], v52 offset:4304
	v_add_f32_e32 v0, v69, v0
	s_wait_dscnt 0x0
	v_mul_f32_e32 v68, v62, v5
	v_mul_f32_e32 v5, v61, v5
	s_delay_alu instid0(VALU_DEP_2) | instskip(NEXT) | instid1(VALU_DEP_2)
	v_fma_f32 v68, v61, v4, -v68
	v_fmac_f32_e32 v5, v62, v4
	v_mul_f32_e32 v4, v62, v7
	s_delay_alu instid0(VALU_DEP_2) | instskip(SKIP_1) | instid1(VALU_DEP_3)
	v_dual_add_f32 v66, v66, v68 :: v_dual_add_f32 v67, v67, v5
	v_mul_f32_e32 v5, v61, v7
	v_fma_f32 v4, v61, v6, -v4
	s_delay_alu instid0(VALU_DEP_2) | instskip(NEXT) | instid1(VALU_DEP_2)
	v_fmac_f32_e32 v5, v62, v6
	v_add_f32_e32 v61, v70, v4
	s_delay_alu instid0(VALU_DEP_2) | instskip(SKIP_4) | instid1(VALU_DEP_2)
	v_add_f32_e32 v45, v45, v5
	ds_load_2addr_b64 v[4:7], v58 offset0:96 offset1:112
	s_wait_dscnt 0x0
	v_mul_f32_e32 v68, v2, v5
	v_mul_f32_e32 v62, v3, v5
	v_fmac_f32_e32 v68, v3, v4
	s_delay_alu instid0(VALU_DEP_2) | instskip(NEXT) | instid1(VALU_DEP_2)
	v_fma_f32 v62, v2, v4, -v62
	v_dual_add_f32 v65, v65, v68 :: v_dual_mul_f32 v68, v3, v7
	s_delay_alu instid0(VALU_DEP_2) | instskip(NEXT) | instid1(VALU_DEP_2)
	v_add_f32_e32 v62, v71, v62
	v_fma_f32 v68, v2, v6, -v68
	v_mul_f32_e32 v2, v2, v7
	s_delay_alu instid0(VALU_DEP_2) | instskip(NEXT) | instid1(VALU_DEP_2)
	v_add_f32_e32 v68, v1, v68
	v_fmac_f32_e32 v2, v3, v6
	v_mul_f32_e32 v1, v63, v5
	s_delay_alu instid0(VALU_DEP_2) | instskip(SKIP_1) | instid1(VALU_DEP_3)
	v_add_f32_e32 v69, v0, v2
	v_mul_f32_e32 v0, v64, v5
	v_fmac_f32_e32 v1, v64, v4
	s_delay_alu instid0(VALU_DEP_2) | instskip(NEXT) | instid1(VALU_DEP_2)
	v_fma_f32 v0, v63, v4, -v0
	v_add_f32_e32 v67, v67, v1
	s_delay_alu instid0(VALU_DEP_2) | instskip(SKIP_1) | instid1(VALU_DEP_2)
	v_dual_mul_f32 v1, v63, v7 :: v_dual_add_f32 v66, v66, v0
	v_mul_f32_e32 v0, v64, v7
	v_fmac_f32_e32 v1, v64, v6
	s_delay_alu instid0(VALU_DEP_2) | instskip(NEXT) | instid1(VALU_DEP_2)
	v_fma_f32 v0, v63, v6, -v0
	v_add_f32_e32 v45, v45, v1
	s_delay_alu instid0(VALU_DEP_2)
	v_add_f32_e32 v70, v61, v0
	ds_load_b128 v[0:3], v52 offset:224
	ds_load_2addr_b64 v[4:7], v58 offset0:128 offset1:144
	s_wait_dscnt 0x0
	v_mul_f32_e32 v61, v1, v5
	v_mul_f32_e32 v63, v0, v5
	s_delay_alu instid0(VALU_DEP_2) | instskip(NEXT) | instid1(VALU_DEP_2)
	v_fma_f32 v61, v0, v4, -v61
	v_fmac_f32_e32 v63, v1, v4
	s_delay_alu instid0(VALU_DEP_2) | instskip(SKIP_1) | instid1(VALU_DEP_3)
	v_add_f32_e32 v71, v62, v61
	v_mul_f32_e32 v61, v1, v7
	v_add_f32_e32 v65, v65, v63
	s_delay_alu instid0(VALU_DEP_2) | instskip(SKIP_1) | instid1(VALU_DEP_1)
	v_fma_f32 v61, v0, v6, -v61
	v_mul_f32_e32 v0, v0, v7
	v_dual_fmac_f32 v0, v1, v6 :: v_dual_add_f32 v1, v68, v61
	ds_load_b128 v[61:64], v52 offset:4320
	v_add_f32_e32 v0, v69, v0
	s_wait_dscnt 0x0
	v_mul_f32_e32 v68, v62, v5
	v_mul_f32_e32 v5, v61, v5
	s_delay_alu instid0(VALU_DEP_2) | instskip(NEXT) | instid1(VALU_DEP_2)
	v_fma_f32 v68, v61, v4, -v68
	v_fmac_f32_e32 v5, v62, v4
	v_mul_f32_e32 v4, v62, v7
	s_delay_alu instid0(VALU_DEP_2) | instskip(SKIP_1) | instid1(VALU_DEP_3)
	v_dual_add_f32 v66, v66, v68 :: v_dual_add_f32 v67, v67, v5
	v_mul_f32_e32 v5, v61, v7
	v_fma_f32 v4, v61, v6, -v4
	s_delay_alu instid0(VALU_DEP_2) | instskip(NEXT) | instid1(VALU_DEP_2)
	v_fmac_f32_e32 v5, v62, v6
	v_add_f32_e32 v61, v70, v4
	s_delay_alu instid0(VALU_DEP_2) | instskip(SKIP_4) | instid1(VALU_DEP_2)
	v_add_f32_e32 v45, v45, v5
	ds_load_2addr_b64 v[4:7], v58 offset0:160 offset1:176
	s_wait_dscnt 0x0
	v_mul_f32_e32 v68, v2, v5
	v_mul_f32_e32 v62, v3, v5
	v_fmac_f32_e32 v68, v3, v4
	s_delay_alu instid0(VALU_DEP_2) | instskip(NEXT) | instid1(VALU_DEP_2)
	v_fma_f32 v62, v2, v4, -v62
	v_dual_add_f32 v65, v65, v68 :: v_dual_mul_f32 v68, v3, v7
	s_delay_alu instid0(VALU_DEP_2) | instskip(NEXT) | instid1(VALU_DEP_2)
	v_add_f32_e32 v62, v71, v62
	v_fma_f32 v68, v2, v6, -v68
	v_mul_f32_e32 v2, v2, v7
	s_delay_alu instid0(VALU_DEP_2) | instskip(NEXT) | instid1(VALU_DEP_2)
	v_add_f32_e32 v68, v1, v68
	v_fmac_f32_e32 v2, v3, v6
	v_mul_f32_e32 v1, v63, v5
	s_delay_alu instid0(VALU_DEP_2) | instskip(SKIP_1) | instid1(VALU_DEP_3)
	v_add_f32_e32 v69, v0, v2
	v_mul_f32_e32 v0, v64, v5
	v_fmac_f32_e32 v1, v64, v4
	s_delay_alu instid0(VALU_DEP_2) | instskip(NEXT) | instid1(VALU_DEP_2)
	v_fma_f32 v0, v63, v4, -v0
	v_add_f32_e32 v71, v67, v1
	s_delay_alu instid0(VALU_DEP_2) | instskip(SKIP_1) | instid1(VALU_DEP_2)
	v_dual_mul_f32 v1, v63, v7 :: v_dual_add_f32 v70, v66, v0
	v_mul_f32_e32 v0, v64, v7
	v_fmac_f32_e32 v1, v64, v6
	s_delay_alu instid0(VALU_DEP_2) | instskip(NEXT) | instid1(VALU_DEP_2)
	v_fma_f32 v0, v63, v6, -v0
	v_add_f32_e32 v45, v45, v1
	s_delay_alu instid0(VALU_DEP_2)
	v_add_f32_e32 v61, v61, v0
	ds_load_b128 v[0:3], v52 offset:240
	ds_load_2addr_b64 v[4:7], v58 offset0:192 offset1:208
	s_wait_dscnt 0x0
	v_mul_f32_e32 v63, v1, v5
	v_mul_f32_e32 v64, v0, v5
	s_delay_alu instid0(VALU_DEP_2) | instskip(NEXT) | instid1(VALU_DEP_2)
	v_fma_f32 v63, v0, v4, -v63
	v_fmac_f32_e32 v64, v1, v4
	s_delay_alu instid0(VALU_DEP_1) | instskip(SKIP_1) | instid1(VALU_DEP_1)
	v_dual_add_f32 v62, v62, v63 :: v_dual_add_f32 v63, v65, v64
	v_mul_f32_e32 v64, v1, v7
	v_fma_f32 v64, v0, v6, -v64
	v_mul_f32_e32 v0, v0, v7
	s_delay_alu instid0(VALU_DEP_1) | instskip(NEXT) | instid1(VALU_DEP_1)
	v_dual_fmac_f32 v0, v1, v6 :: v_dual_add_f32 v1, v68, v64
	v_add_f32_e32 v0, v69, v0
	ds_load_b128 v[66:69], v52 offset:4336
	s_wait_dscnt 0x0
	v_mul_f32_e32 v64, v67, v5
	v_mul_f32_e32 v5, v66, v5
	s_delay_alu instid0(VALU_DEP_2) | instskip(NEXT) | instid1(VALU_DEP_2)
	v_fma_f32 v64, v66, v4, -v64
	v_fmac_f32_e32 v5, v67, v4
	v_mul_f32_e32 v4, v67, v7
	s_delay_alu instid0(VALU_DEP_2) | instskip(SKIP_1) | instid1(VALU_DEP_3)
	v_dual_add_f32 v70, v70, v64 :: v_dual_add_f32 v71, v71, v5
	v_mul_f32_e32 v5, v66, v7
	v_fma_f32 v4, v66, v6, -v4
	s_delay_alu instid0(VALU_DEP_2) | instskip(NEXT) | instid1(VALU_DEP_2)
	v_fmac_f32_e32 v5, v67, v6
	v_add_f32_e32 v61, v61, v4
	s_delay_alu instid0(VALU_DEP_2)
	v_add_f32_e32 v45, v45, v5
	ds_load_2addr_b64 v[4:7], v58 offset0:224 offset1:240
	s_wait_loadcnt_dscnt 0x0
	s_barrier_signal -1
	s_barrier_wait -1
	global_inv scope:SCOPE_SE
	v_mul_f32_e32 v64, v3, v5
	v_mul_f32_e32 v65, v2, v5
	s_delay_alu instid0(VALU_DEP_2) | instskip(NEXT) | instid1(VALU_DEP_2)
	v_fma_f32 v64, v2, v4, -v64
	v_fmac_f32_e32 v65, v3, v4
	s_delay_alu instid0(VALU_DEP_2) | instskip(SKIP_1) | instid1(VALU_DEP_3)
	v_add_f32_e32 v66, v62, v64
	v_mul_f32_e32 v62, v3, v7
	v_add_f32_e32 v67, v63, v65
	s_delay_alu instid0(VALU_DEP_2) | instskip(SKIP_1) | instid1(VALU_DEP_2)
	v_fma_f32 v62, v2, v6, -v62
	v_mul_f32_e32 v2, v2, v7
	v_add_f32_e32 v64, v1, v62
	s_delay_alu instid0(VALU_DEP_2) | instskip(NEXT) | instid1(VALU_DEP_1)
	v_dual_fmac_f32 v2, v3, v6 :: v_dual_mul_f32 v1, v68, v5
	v_dual_add_f32 v65, v0, v2 :: v_dual_mul_f32 v0, v69, v5
	s_delay_alu instid0(VALU_DEP_2) | instskip(NEXT) | instid1(VALU_DEP_2)
	v_fmac_f32_e32 v1, v69, v4
	v_fma_f32 v0, v68, v4, -v0
	s_delay_alu instid0(VALU_DEP_2) | instskip(NEXT) | instid1(VALU_DEP_2)
	v_dual_add_f32 v62, v71, v1 :: v_dual_mul_f32 v1, v68, v7
	v_dual_add_f32 v63, v70, v0 :: v_dual_mul_f32 v0, v69, v7
	s_delay_alu instid0(VALU_DEP_2) | instskip(NEXT) | instid1(VALU_DEP_2)
	v_fmac_f32_e32 v1, v69, v6
	v_fma_f32 v0, v68, v6, -v0
	s_delay_alu instid0(VALU_DEP_2) | instskip(NEXT) | instid1(VALU_DEP_2)
	v_add_f32_e32 v45, v45, v1
	v_add_f32_e32 v61, v61, v0
	s_cbranch_scc1 .LBB80_60
.LBB80_11:                              ;   Parent Loop BB80_4 Depth=1
                                        ;     Parent Loop BB80_8 Depth=2
                                        ; =>    This Inner Loop Header: Depth=3
	s_wait_alu 0xfffe
	v_add_co_u32 v2, s5, v8, s26
	s_wait_alu 0xf1ff
	v_add_co_ci_u32_e64 v3, null, s27, v9, s5
	v_cmp_eq_u64_e64 s7, s[26:27], v[18:19]
	s_delay_alu instid0(VALU_DEP_2)
	v_cmp_le_i64_e64 s6, s[42:43], v[2:3]
	v_cmp_lt_i64_e64 s5, v[2:3], v[10:11]
	s_and_b32 s56, s53, s7
	v_add_co_u32 v0, s7, v38, s24
	s_wait_alu 0xf1ff
	v_add_co_ci_u32_e64 v1, null, s25, v39, s7
	s_or_b32 s8, s6, s5
	s_wait_alu 0xfffe
	s_or_b32 s7, s8, s56
	s_wait_alu 0xfffe
	s_nor_b32 s7, s0, s7
	s_wait_alu 0xfffe
	s_and_saveexec_b32 s8, s7
	s_wait_alu 0xfffe
	s_xor_b32 s7, exec_lo, s8
	s_cbranch_execz .LBB80_13
; %bb.12:                               ;   in Loop: Header=BB80_11 Depth=3
	global_load_b64 v[4:5], v[0:1], off
	s_wait_loadcnt 0x0
	v_xor_b32_e32 v5, 0x80000000, v5
	ds_store_b64 v53, v[4:5]
.LBB80_13:                              ;   in Loop: Header=BB80_11 Depth=3
	s_wait_alu 0xfffe
	s_or_saveexec_b32 s7, s7
	s_xor_b32 s55, s56, -1
	s_wait_alu 0xfffe
	s_xor_b32 exec_lo, exec_lo, s7
	s_cbranch_execz .LBB80_19
; %bb.14:                               ;   in Loop: Header=BB80_11 Depth=3
	s_and_saveexec_b32 s8, s55
	s_wait_alu 0xfffe
	s_xor_b32 s8, exec_lo, s8
; %bb.15:                               ;   in Loop: Header=BB80_11 Depth=3
	v_dual_mov_b32 v4, v33 :: v_dual_mov_b32 v5, v33
	ds_store_b64 v53, v[4:5]
; %bb.16:                               ;   in Loop: Header=BB80_11 Depth=3
	s_wait_alu 0xfffe
	s_and_not1_saveexec_b32 s8, s8
; %bb.17:                               ;   in Loop: Header=BB80_11 Depth=3
	ds_store_b64 v53, v[32:33]
; %bb.18:                               ;   in Loop: Header=BB80_11 Depth=3
	s_wait_alu 0xfffe
	s_or_b32 exec_lo, exec_lo, s8
.LBB80_19:                              ;   in Loop: Header=BB80_11 Depth=3
	s_delay_alu instid0(SALU_CYCLE_1)
	s_or_b32 exec_lo, exec_lo, s7
	v_cmp_eq_u64_e64 s7, s[26:27], v[20:21]
	v_cmp_gt_i64_e64 s8, v[14:15], v[2:3]
	s_and_b32 s7, s53, s7
	s_or_b32 s6, s6, s8
	s_wait_alu 0xfffe
	s_or_b32 s6, s6, s7
	s_wait_alu 0xfffe
	s_nor_b32 s6, s3, s6
	s_wait_alu 0xfffe
	s_and_saveexec_b32 s8, s6
	s_wait_alu 0xfffe
	s_xor_b32 s8, exec_lo, s8
	s_cbranch_execz .LBB80_21
; %bb.20:                               ;   in Loop: Header=BB80_11 Depth=3
	v_add_co_u32 v4, s6, v36, s24
	s_wait_alu 0xf1ff
	v_add_co_ci_u32_e64 v5, null, s25, v37, s6
	global_load_b64 v[4:5], v[4:5], off
	s_wait_loadcnt 0x0
	v_xor_b32_e32 v5, 0x80000000, v5
	ds_store_b64 v53, v[4:5] offset:128
.LBB80_21:                              ;   in Loop: Header=BB80_11 Depth=3
	s_wait_alu 0xfffe
	s_and_not1_saveexec_b32 s6, s8
	s_cbranch_execz .LBB80_27
; %bb.22:                               ;   in Loop: Header=BB80_11 Depth=3
	s_xor_b32 s7, s7, -1
	s_wait_alu 0xfffe
	s_and_saveexec_b32 s8, s7
	s_wait_alu 0xfffe
	s_xor_b32 s7, exec_lo, s8
; %bb.23:                               ;   in Loop: Header=BB80_11 Depth=3
	v_dual_mov_b32 v4, v33 :: v_dual_mov_b32 v5, v33
	ds_store_b64 v53, v[4:5] offset:128
; %bb.24:                               ;   in Loop: Header=BB80_11 Depth=3
	s_wait_alu 0xfffe
	s_and_not1_saveexec_b32 s7, s7
; %bb.25:                               ;   in Loop: Header=BB80_11 Depth=3
	ds_store_b64 v53, v[32:33] offset:128
; %bb.26:                               ;   in Loop: Header=BB80_11 Depth=3
	s_wait_alu 0xfffe
	s_or_b32 exec_lo, exec_lo, s7
.LBB80_27:                              ;   in Loop: Header=BB80_11 Depth=3
	s_wait_alu 0xfffe
	s_or_b32 exec_lo, exec_lo, s6
	v_add_co_u32 v2, s6, v2, 16
	s_wait_alu 0xf1ff
	v_add_co_ci_u32_e64 v3, null, 0, v3, s6
	v_cmp_eq_u64_e64 s7, s[26:27], v[22:23]
	s_delay_alu instid0(VALU_DEP_2)
	v_cmp_le_i64_e64 s6, s[42:43], v[2:3]
	v_cmp_lt_i64_e64 s8, v[2:3], v[10:11]
	s_and_b32 s57, s53, s7
	s_or_b32 s7, s6, s8
	s_wait_alu 0xfffe
	s_or_b32 s7, s7, s57
	s_wait_alu 0xfffe
	s_nor_b32 s7, s0, s7
	s_wait_alu 0xfffe
	s_and_saveexec_b32 s8, s7
	s_wait_alu 0xfffe
	s_xor_b32 s7, exec_lo, s8
	s_cbranch_execz .LBB80_29
; %bb.28:                               ;   in Loop: Header=BB80_11 Depth=3
	global_load_b64 v[0:1], v[0:1], off offset:128
	s_wait_loadcnt 0x0
	v_xor_b32_e32 v1, 0x80000000, v1
	ds_store_b64 v53, v[0:1] offset:4096
.LBB80_29:                              ;   in Loop: Header=BB80_11 Depth=3
	s_wait_alu 0xfffe
	s_and_not1_saveexec_b32 s7, s7
	s_cbranch_execz .LBB80_35
; %bb.30:                               ;   in Loop: Header=BB80_11 Depth=3
	s_xor_b32 s8, s57, -1
	s_wait_alu 0xfffe
	s_and_saveexec_b32 s57, s8
	s_delay_alu instid0(SALU_CYCLE_1)
	s_xor_b32 s8, exec_lo, s57
; %bb.31:                               ;   in Loop: Header=BB80_11 Depth=3
	v_dual_mov_b32 v0, v33 :: v_dual_mov_b32 v1, v33
	ds_store_b64 v53, v[0:1] offset:4096
; %bb.32:                               ;   in Loop: Header=BB80_11 Depth=3
	s_wait_alu 0xfffe
	s_and_not1_saveexec_b32 s8, s8
; %bb.33:                               ;   in Loop: Header=BB80_11 Depth=3
	ds_store_b64 v53, v[32:33] offset:4096
; %bb.34:                               ;   in Loop: Header=BB80_11 Depth=3
	s_wait_alu 0xfffe
	s_or_b32 exec_lo, exec_lo, s8
.LBB80_35:                              ;   in Loop: Header=BB80_11 Depth=3
	s_wait_alu 0xfffe
	s_or_b32 exec_lo, exec_lo, s7
	s_or_b32 s5, s6, s5
	s_wait_alu 0xfffe
	s_or_b32 s5, s5, s56
	s_wait_alu 0xfffe
	s_nor_b32 s5, s3, s5
	s_wait_alu 0xfffe
	s_and_saveexec_b32 s6, s5
	s_wait_alu 0xfffe
	s_xor_b32 s6, exec_lo, s6
	s_cbranch_execz .LBB80_37
; %bb.36:                               ;   in Loop: Header=BB80_11 Depth=3
	v_add_co_u32 v0, s5, v36, s24
	s_wait_alu 0xf1ff
	v_add_co_ci_u32_e64 v1, null, s25, v37, s5
	global_load_b64 v[0:1], v[0:1], off offset:128
	s_wait_loadcnt 0x0
	v_xor_b32_e32 v1, 0x80000000, v1
	ds_store_b64 v53, v[0:1] offset:4224
.LBB80_37:                              ;   in Loop: Header=BB80_11 Depth=3
	s_wait_alu 0xfffe
	s_and_not1_saveexec_b32 s5, s6
	s_cbranch_execz .LBB80_43
; %bb.38:                               ;   in Loop: Header=BB80_11 Depth=3
	s_and_saveexec_b32 s6, s55
	s_wait_alu 0xfffe
	s_xor_b32 s6, exec_lo, s6
; %bb.39:                               ;   in Loop: Header=BB80_11 Depth=3
	v_dual_mov_b32 v0, v33 :: v_dual_mov_b32 v1, v33
	ds_store_b64 v53, v[0:1] offset:4224
; %bb.40:                               ;   in Loop: Header=BB80_11 Depth=3
	s_wait_alu 0xfffe
	s_and_not1_saveexec_b32 s6, s6
; %bb.41:                               ;   in Loop: Header=BB80_11 Depth=3
	ds_store_b64 v53, v[32:33] offset:4224
; %bb.42:                               ;   in Loop: Header=BB80_11 Depth=3
	s_wait_alu 0xfffe
	s_or_b32 exec_lo, exec_lo, s6
.LBB80_43:                              ;   in Loop: Header=BB80_11 Depth=3
	s_wait_alu 0xfffe
	s_or_b32 exec_lo, exec_lo, s5
	v_add_co_u32 v0, s5, v10, s26
	s_wait_alu 0xf1ff
	v_add_co_ci_u32_e64 v1, null, s27, v11, s5
	s_delay_alu instid0(VALU_DEP_1)
	v_cmp_gt_i64_e64 s5, s[42:43], v[0:1]
	s_and_b32 s6, vcc_lo, s5
	s_wait_alu 0xfffe
	s_xor_b32 s6, s6, -1
	s_wait_alu 0xfffe
	s_and_saveexec_b32 s7, s6
	s_wait_alu 0xfffe
	s_xor_b32 s6, exec_lo, s7
; %bb.44:                               ;   in Loop: Header=BB80_11 Depth=3
	v_dual_mov_b32 v2, v33 :: v_dual_mov_b32 v3, v33
	ds_store_b64 v54, v[2:3]
; %bb.45:                               ;   in Loop: Header=BB80_11 Depth=3
	s_wait_alu 0xfffe
	s_or_saveexec_b32 s7, s6
	v_add_co_u32 v2, s6, v46, s24
	s_wait_alu 0xf1ff
	v_add_co_ci_u32_e64 v3, null, s25, v47, s6
	s_wait_alu 0xfffe
	s_xor_b32 exec_lo, exec_lo, s7
	s_cbranch_execz .LBB80_47
; %bb.46:                               ;   in Loop: Header=BB80_11 Depth=3
	global_load_b64 v[4:5], v[2:3], off offset:-128
	s_wait_loadcnt 0x0
	ds_store_b64 v54, v[4:5]
.LBB80_47:                              ;   in Loop: Header=BB80_11 Depth=3
	s_or_b32 exec_lo, exec_lo, s7
	v_cmp_gt_i64_e64 s6, s[46:47], v[0:1]
	s_and_b32 s7, vcc_lo, s6
	s_wait_alu 0xfffe
	s_xor_b32 s7, s7, -1
	s_wait_alu 0xfffe
	s_and_saveexec_b32 s8, s7
	s_wait_alu 0xfffe
	s_xor_b32 s7, exec_lo, s8
; %bb.48:                               ;   in Loop: Header=BB80_11 Depth=3
	v_dual_mov_b32 v0, v33 :: v_dual_mov_b32 v1, v33
                                        ; implicit-def: $vgpr2_vgpr3
	ds_store_b64 v54, v[0:1] offset:128
; %bb.49:                               ;   in Loop: Header=BB80_11 Depth=3
	s_wait_alu 0xfffe
	s_and_not1_saveexec_b32 s7, s7
	s_cbranch_execz .LBB80_51
; %bb.50:                               ;   in Loop: Header=BB80_11 Depth=3
	global_load_b64 v[0:1], v[2:3], off
	s_wait_loadcnt 0x0
	ds_store_b64 v54, v[0:1] offset:128
.LBB80_51:                              ;   in Loop: Header=BB80_11 Depth=3
	s_wait_alu 0xfffe
	s_or_b32 exec_lo, exec_lo, s7
	s_and_b32 s5, s4, s5
	s_wait_alu 0xfffe
	s_xor_b32 s5, s5, -1
	s_wait_alu 0xfffe
	s_and_saveexec_b32 s7, s5
	s_wait_alu 0xfffe
	s_xor_b32 s5, exec_lo, s7
; %bb.52:                               ;   in Loop: Header=BB80_11 Depth=3
	v_dual_mov_b32 v0, v33 :: v_dual_mov_b32 v1, v33
	ds_store_b64 v54, v[0:1] offset:4096
; %bb.53:                               ;   in Loop: Header=BB80_11 Depth=3
	s_wait_alu 0xfffe
	s_or_saveexec_b32 s7, s5
	v_add_co_u32 v0, s5, v48, s24
	s_wait_alu 0xf1ff
	v_add_co_ci_u32_e64 v1, null, s25, v49, s5
	s_wait_alu 0xfffe
	s_xor_b32 exec_lo, exec_lo, s7
	s_cbranch_execz .LBB80_55
; %bb.54:                               ;   in Loop: Header=BB80_11 Depth=3
	global_load_b64 v[2:3], v[0:1], off
	s_wait_loadcnt 0x0
	ds_store_b64 v54, v[2:3] offset:4096
.LBB80_55:                              ;   in Loop: Header=BB80_11 Depth=3
	s_or_b32 exec_lo, exec_lo, s7
	s_and_b32 s5, s4, s6
	s_wait_alu 0xfffe
	s_xor_b32 s5, s5, -1
	s_wait_alu 0xfffe
	s_and_saveexec_b32 s6, s5
	s_wait_alu 0xfffe
	s_xor_b32 s5, exec_lo, s6
; %bb.56:                               ;   in Loop: Header=BB80_11 Depth=3
	v_dual_mov_b32 v0, v33 :: v_dual_mov_b32 v1, v33
	ds_store_b64 v54, v[0:1] offset:4224
                                        ; implicit-def: $vgpr0_vgpr1
; %bb.57:                               ;   in Loop: Header=BB80_11 Depth=3
	s_wait_alu 0xfffe
	s_and_not1_saveexec_b32 s5, s5
	s_cbranch_execz .LBB80_10
; %bb.58:                               ;   in Loop: Header=BB80_11 Depth=3
	global_load_b64 v[0:1], v[0:1], off offset:128
	s_wait_loadcnt 0x0
	ds_store_b64 v54, v[0:1] offset:4224
	s_branch .LBB80_10
.LBB80_59:                              ;   in Loop: Header=BB80_8 Depth=2
	v_dual_mov_b32 v66, 0 :: v_dual_mov_b32 v67, 0
	v_dual_mov_b32 v64, 0 :: v_dual_mov_b32 v65, 0
	;; [unrolled: 1-line block ×3, first 2 shown]
	v_mov_b32_e32 v61, 0
	v_mov_b32_e32 v45, 0
.LBB80_60:                              ;   in Loop: Header=BB80_8 Depth=2
	v_mul_lo_u32 v2, s29, v59
	v_mul_lo_u32 v3, s28, v60
	v_mad_co_u64_u32 v[0:1], null, s28, v59, 0
	v_cmp_gt_i32_e32 vcc_lo, s10, v59
	s_delay_alu instid0(VALU_DEP_2) | instskip(NEXT) | instid1(VALU_DEP_1)
	v_add3_u32 v1, v1, v3, v2
	v_lshlrev_b64_e32 v[0:1], 3, v[0:1]
	s_delay_alu instid0(VALU_DEP_1) | instskip(SKIP_1) | instid1(VALU_DEP_2)
	v_add_co_u32 v0, s4, s22, v0
	s_wait_alu 0xf1ff
	v_add_co_ci_u32_e64 v1, null, s23, v1, s4
	s_and_b32 s4, s1, vcc_lo
	s_wait_alu 0xfffe
	s_and_saveexec_b32 s5, s4
	s_cbranch_execz .LBB80_62
; %bb.61:                               ;   in Loop: Header=BB80_8 Depth=2
	v_add_co_u32 v2, s4, v0, v16
	s_wait_alu 0xf1ff
	v_add_co_ci_u32_e64 v3, null, v1, v17, s4
	v_mul_f32_e32 v6, v67, v35
	v_mul_f32_e32 v7, v67, v34
	global_load_b64 v[4:5], v[2:3], off
	v_fma_f32 v6, v66, v34, -v6
	s_wait_loadcnt 0x0
	s_delay_alu instid0(VALU_DEP_1) | instskip(NEXT) | instid1(VALU_DEP_1)
	v_dual_fmac_f32 v7, v66, v35 :: v_dual_add_f32 v4, v4, v6
	v_add_f32_e32 v5, v7, v5
	global_store_b64 v[2:3], v[4:5], off
.LBB80_62:                              ;   in Loop: Header=BB80_8 Depth=2
	s_wait_alu 0xfffe
	s_or_b32 exec_lo, exec_lo, s5
	s_and_b32 s5, s2, vcc_lo
	s_wait_alu 0xfffe
	s_and_saveexec_b32 s4, s5
	s_cbranch_execz .LBB80_64
; %bb.63:                               ;   in Loop: Header=BB80_8 Depth=2
	v_lshlrev_b64_e32 v[2:3], 3, v[12:13]
	v_mul_f32_e32 v4, v65, v35
	s_delay_alu instid0(VALU_DEP_1) | instskip(NEXT) | instid1(VALU_DEP_3)
	v_fma_f32 v4, v64, v34, -v4
	v_add_co_u32 v0, vcc_lo, v0, v2
	s_wait_alu 0xfffd
	s_delay_alu instid0(VALU_DEP_4) | instskip(SKIP_3) | instid1(VALU_DEP_1)
	v_add_co_ci_u32_e64 v1, null, v1, v3, vcc_lo
	global_load_b64 v[2:3], v[0:1], off
	s_wait_loadcnt 0x0
	v_dual_mul_f32 v5, v65, v34 :: v_dual_add_f32 v2, v2, v4
	v_fmac_f32_e32 v5, v64, v35
	s_delay_alu instid0(VALU_DEP_1)
	v_add_f32_e32 v3, v5, v3
	global_store_b64 v[0:1], v[2:3], off
.LBB80_64:                              ;   in Loop: Header=BB80_8 Depth=2
	s_wait_alu 0xfffe
	s_or_b32 exec_lo, exec_lo, s4
	v_add_nc_u32_e32 v2, 16, v59
	s_delay_alu instid0(VALU_DEP_1) | instskip(SKIP_3) | instid1(VALU_DEP_4)
	v_ashrrev_i32_e32 v3, 31, v2
	v_mul_lo_u32 v4, s29, v2
	v_mad_co_u64_u32 v[0:1], null, s28, v2, 0
	v_cmp_gt_i32_e32 vcc_lo, s10, v2
	v_mul_lo_u32 v3, s28, v3
	s_delay_alu instid0(VALU_DEP_1) | instskip(NEXT) | instid1(VALU_DEP_1)
	v_add3_u32 v1, v1, v3, v4
	v_lshlrev_b64_e32 v[0:1], 3, v[0:1]
	s_delay_alu instid0(VALU_DEP_1) | instskip(SKIP_1) | instid1(VALU_DEP_2)
	v_add_co_u32 v0, s4, s22, v0
	s_wait_alu 0xf1ff
	v_add_co_ci_u32_e64 v1, null, s23, v1, s4
	s_and_b32 s4, s1, vcc_lo
	s_wait_alu 0xfffe
	s_and_saveexec_b32 s5, s4
	s_cbranch_execz .LBB80_66
; %bb.65:                               ;   in Loop: Header=BB80_8 Depth=2
	v_add_co_u32 v2, s4, v0, v16
	s_wait_alu 0xf1ff
	v_add_co_ci_u32_e64 v3, null, v1, v17, s4
	v_mul_f32_e32 v7, v62, v34
	global_load_b64 v[4:5], v[2:3], off
	v_fmac_f32_e32 v7, v63, v35
	s_wait_loadcnt 0x0
	s_delay_alu instid0(VALU_DEP_1) | instskip(NEXT) | instid1(VALU_DEP_1)
	v_dual_mul_f32 v6, v62, v35 :: v_dual_add_f32 v5, v7, v5
	v_fma_f32 v6, v63, v34, -v6
	s_delay_alu instid0(VALU_DEP_1)
	v_add_f32_e32 v4, v4, v6
	global_store_b64 v[2:3], v[4:5], off
.LBB80_66:                              ;   in Loop: Header=BB80_8 Depth=2
	s_wait_alu 0xfffe
	s_or_b32 exec_lo, exec_lo, s5
	s_and_b32 s5, s2, vcc_lo
	s_wait_alu 0xfffe
	s_and_saveexec_b32 s4, s5
	s_cbranch_execz .LBB80_7
; %bb.67:                               ;   in Loop: Header=BB80_8 Depth=2
	v_lshlrev_b64_e32 v[2:3], 3, v[12:13]
	v_mul_f32_e32 v4, v45, v35
	s_delay_alu instid0(VALU_DEP_1) | instskip(NEXT) | instid1(VALU_DEP_3)
	v_fma_f32 v4, v61, v34, -v4
	v_add_co_u32 v0, vcc_lo, v0, v2
	s_wait_alu 0xfffd
	s_delay_alu instid0(VALU_DEP_4) | instskip(SKIP_3) | instid1(VALU_DEP_1)
	v_add_co_ci_u32_e64 v1, null, v1, v3, vcc_lo
	global_load_b64 v[2:3], v[0:1], off
	s_wait_loadcnt 0x0
	v_dual_mul_f32 v5, v45, v34 :: v_dual_add_f32 v2, v2, v4
	v_fmac_f32_e32 v5, v61, v35
	s_delay_alu instid0(VALU_DEP_1)
	v_add_f32_e32 v3, v5, v3
	global_store_b64 v[0:1], v[2:3], off
	s_branch .LBB80_7
.LBB80_68:
	s_endpgm
	.section	.rodata,"a",@progbits
	.p2align	6, 0x0
	.amdhsa_kernel _ZL30rocblas_trmm_outofplace_kernelI19rocblas_complex_numIfELi32ELi2ELb1ELb0ELb1ELb1EPKS1_S2_S1_Ev17rocblas_diagonal_iiT6_lPT7_lllS7_lllPT8_llli
		.amdhsa_group_segment_fixed_size 16384
		.amdhsa_private_segment_fixed_size 0
		.amdhsa_kernarg_size 392
		.amdhsa_user_sgpr_count 2
		.amdhsa_user_sgpr_dispatch_ptr 0
		.amdhsa_user_sgpr_queue_ptr 0
		.amdhsa_user_sgpr_kernarg_segment_ptr 1
		.amdhsa_user_sgpr_dispatch_id 0
		.amdhsa_user_sgpr_private_segment_size 0
		.amdhsa_wavefront_size32 1
		.amdhsa_uses_dynamic_stack 0
		.amdhsa_enable_private_segment 0
		.amdhsa_system_sgpr_workgroup_id_x 1
		.amdhsa_system_sgpr_workgroup_id_y 1
		.amdhsa_system_sgpr_workgroup_id_z 1
		.amdhsa_system_sgpr_workgroup_info 0
		.amdhsa_system_vgpr_workitem_id 1
		.amdhsa_next_free_vgpr 83
		.amdhsa_next_free_sgpr 58
		.amdhsa_reserve_vcc 1
		.amdhsa_float_round_mode_32 0
		.amdhsa_float_round_mode_16_64 0
		.amdhsa_float_denorm_mode_32 3
		.amdhsa_float_denorm_mode_16_64 3
		.amdhsa_fp16_overflow 0
		.amdhsa_workgroup_processor_mode 1
		.amdhsa_memory_ordered 1
		.amdhsa_forward_progress 1
		.amdhsa_inst_pref_size 65
		.amdhsa_round_robin_scheduling 0
		.amdhsa_exception_fp_ieee_invalid_op 0
		.amdhsa_exception_fp_denorm_src 0
		.amdhsa_exception_fp_ieee_div_zero 0
		.amdhsa_exception_fp_ieee_overflow 0
		.amdhsa_exception_fp_ieee_underflow 0
		.amdhsa_exception_fp_ieee_inexact 0
		.amdhsa_exception_int_div_zero 0
	.end_amdhsa_kernel
	.section	.text._ZL30rocblas_trmm_outofplace_kernelI19rocblas_complex_numIfELi32ELi2ELb1ELb0ELb1ELb1EPKS1_S2_S1_Ev17rocblas_diagonal_iiT6_lPT7_lllS7_lllPT8_llli,"axG",@progbits,_ZL30rocblas_trmm_outofplace_kernelI19rocblas_complex_numIfELi32ELi2ELb1ELb0ELb1ELb1EPKS1_S2_S1_Ev17rocblas_diagonal_iiT6_lPT7_lllS7_lllPT8_llli,comdat
.Lfunc_end80:
	.size	_ZL30rocblas_trmm_outofplace_kernelI19rocblas_complex_numIfELi32ELi2ELb1ELb0ELb1ELb1EPKS1_S2_S1_Ev17rocblas_diagonal_iiT6_lPT7_lllS7_lllPT8_llli, .Lfunc_end80-_ZL30rocblas_trmm_outofplace_kernelI19rocblas_complex_numIfELi32ELi2ELb1ELb0ELb1ELb1EPKS1_S2_S1_Ev17rocblas_diagonal_iiT6_lPT7_lllS7_lllPT8_llli
                                        ; -- End function
	.set _ZL30rocblas_trmm_outofplace_kernelI19rocblas_complex_numIfELi32ELi2ELb1ELb0ELb1ELb1EPKS1_S2_S1_Ev17rocblas_diagonal_iiT6_lPT7_lllS7_lllPT8_llli.num_vgpr, 83
	.set _ZL30rocblas_trmm_outofplace_kernelI19rocblas_complex_numIfELi32ELi2ELb1ELb0ELb1ELb1EPKS1_S2_S1_Ev17rocblas_diagonal_iiT6_lPT7_lllS7_lllPT8_llli.num_agpr, 0
	.set _ZL30rocblas_trmm_outofplace_kernelI19rocblas_complex_numIfELi32ELi2ELb1ELb0ELb1ELb1EPKS1_S2_S1_Ev17rocblas_diagonal_iiT6_lPT7_lllS7_lllPT8_llli.numbered_sgpr, 58
	.set _ZL30rocblas_trmm_outofplace_kernelI19rocblas_complex_numIfELi32ELi2ELb1ELb0ELb1ELb1EPKS1_S2_S1_Ev17rocblas_diagonal_iiT6_lPT7_lllS7_lllPT8_llli.num_named_barrier, 0
	.set _ZL30rocblas_trmm_outofplace_kernelI19rocblas_complex_numIfELi32ELi2ELb1ELb0ELb1ELb1EPKS1_S2_S1_Ev17rocblas_diagonal_iiT6_lPT7_lllS7_lllPT8_llli.private_seg_size, 0
	.set _ZL30rocblas_trmm_outofplace_kernelI19rocblas_complex_numIfELi32ELi2ELb1ELb0ELb1ELb1EPKS1_S2_S1_Ev17rocblas_diagonal_iiT6_lPT7_lllS7_lllPT8_llli.uses_vcc, 1
	.set _ZL30rocblas_trmm_outofplace_kernelI19rocblas_complex_numIfELi32ELi2ELb1ELb0ELb1ELb1EPKS1_S2_S1_Ev17rocblas_diagonal_iiT6_lPT7_lllS7_lllPT8_llli.uses_flat_scratch, 0
	.set _ZL30rocblas_trmm_outofplace_kernelI19rocblas_complex_numIfELi32ELi2ELb1ELb0ELb1ELb1EPKS1_S2_S1_Ev17rocblas_diagonal_iiT6_lPT7_lllS7_lllPT8_llli.has_dyn_sized_stack, 0
	.set _ZL30rocblas_trmm_outofplace_kernelI19rocblas_complex_numIfELi32ELi2ELb1ELb0ELb1ELb1EPKS1_S2_S1_Ev17rocblas_diagonal_iiT6_lPT7_lllS7_lllPT8_llli.has_recursion, 0
	.set _ZL30rocblas_trmm_outofplace_kernelI19rocblas_complex_numIfELi32ELi2ELb1ELb0ELb1ELb1EPKS1_S2_S1_Ev17rocblas_diagonal_iiT6_lPT7_lllS7_lllPT8_llli.has_indirect_call, 0
	.section	.AMDGPU.csdata,"",@progbits
; Kernel info:
; codeLenInByte = 8288
; TotalNumSgprs: 60
; NumVgprs: 83
; ScratchSize: 0
; MemoryBound: 0
; FloatMode: 240
; IeeeMode: 1
; LDSByteSize: 16384 bytes/workgroup (compile time only)
; SGPRBlocks: 0
; VGPRBlocks: 10
; NumSGPRsForWavesPerEU: 60
; NumVGPRsForWavesPerEU: 83
; Occupancy: 16
; WaveLimiterHint : 0
; COMPUTE_PGM_RSRC2:SCRATCH_EN: 0
; COMPUTE_PGM_RSRC2:USER_SGPR: 2
; COMPUTE_PGM_RSRC2:TRAP_HANDLER: 0
; COMPUTE_PGM_RSRC2:TGID_X_EN: 1
; COMPUTE_PGM_RSRC2:TGID_Y_EN: 1
; COMPUTE_PGM_RSRC2:TGID_Z_EN: 1
; COMPUTE_PGM_RSRC2:TIDIG_COMP_CNT: 1
	.section	.text._ZL30rocblas_trmm_outofplace_kernelI19rocblas_complex_numIfELi32ELi2ELb1ELb0ELb1ELb1ES1_KS1_S1_Ev17rocblas_diagonal_iiT6_lPT7_lllS6_lllPT8_llli,"axG",@progbits,_ZL30rocblas_trmm_outofplace_kernelI19rocblas_complex_numIfELi32ELi2ELb1ELb0ELb1ELb1ES1_KS1_S1_Ev17rocblas_diagonal_iiT6_lPT7_lllS6_lllPT8_llli,comdat
	.globl	_ZL30rocblas_trmm_outofplace_kernelI19rocblas_complex_numIfELi32ELi2ELb1ELb0ELb1ELb1ES1_KS1_S1_Ev17rocblas_diagonal_iiT6_lPT7_lllS6_lllPT8_llli ; -- Begin function _ZL30rocblas_trmm_outofplace_kernelI19rocblas_complex_numIfELi32ELi2ELb1ELb0ELb1ELb1ES1_KS1_S1_Ev17rocblas_diagonal_iiT6_lPT7_lllS6_lllPT8_llli
	.p2align	8
	.type	_ZL30rocblas_trmm_outofplace_kernelI19rocblas_complex_numIfELi32ELi2ELb1ELb0ELb1ELb1ES1_KS1_S1_Ev17rocblas_diagonal_iiT6_lPT7_lllS6_lllPT8_llli,@function
_ZL30rocblas_trmm_outofplace_kernelI19rocblas_complex_numIfELi32ELi2ELb1ELb0ELb1ELb1ES1_KS1_S1_Ev17rocblas_diagonal_iiT6_lPT7_lllS6_lllPT8_llli: ; @_ZL30rocblas_trmm_outofplace_kernelI19rocblas_complex_numIfELi32ELi2ELb1ELb0ELb1ELb1ES1_KS1_S1_Ev17rocblas_diagonal_iiT6_lPT7_lllS6_lllPT8_llli
; %bb.0:
	s_load_b32 s31, s[0:1], 0x80
	s_lshr_b32 s34, ttmp7, 16
	s_wait_kmcnt 0x0
	s_cmp_ge_u32 s34, s31
	s_cbranch_scc1 .LBB81_67
; %bb.1:
	s_load_b64 s[36:37], s[0:1], 0xc
	s_mov_b32 s35, 0
	s_wait_kmcnt 0x0
	s_or_b32 s2, s36, s37
	s_delay_alu instid0(SALU_CYCLE_1) | instskip(NEXT) | instid1(SALU_CYCLE_1)
	s_bitset0_b32 s2, 31
	s_cmp_eq_u32 s2, 0
	s_cbranch_scc1 .LBB81_67
; %bb.2:
	s_load_b96 s[28:30], s[0:1], 0x0
	s_and_b32 s33, ttmp7, 0xffff
	v_bfe_u32 v48, v0, 10, 10
	v_dual_mov_b32 v33, 0 :: v_dual_and_b32 v0, 0x3ff, v0
	s_load_b512 s[4:19], s[0:1], 0x20
	s_add_nc_u64 s[38:39], s[0:1], 0x88
	s_load_b256 s[20:27], s[0:1], 0x60
	v_dual_mov_b32 v32, 1.0 :: v_dual_lshlrev_b32 v1, 8, v48
	v_lshlrev_b32_e32 v49, 3, v0
	v_lshl_add_u32 v53, s33, 5, v48
	s_delay_alu instid0(VALU_DEP_3) | instskip(NEXT) | instid1(VALU_DEP_3)
	v_add_nc_u32_e32 v50, 0x2000, v1
	v_add_nc_u32_e32 v51, v49, v1
	;; [unrolled: 1-line block ×4, first 2 shown]
	s_delay_alu instid0(VALU_DEP_4)
	v_add_nc_u32_e32 v52, v50, v49
	v_add_nc_u32_e32 v56, 0x1800, v49
	s_wait_kmcnt 0x0
	s_add_co_i32 s2, s30, -1
	s_mov_b32 s40, s29
	s_ashr_i32 s3, s2, 31
	s_mov_b32 s47, s30
	s_lshr_b32 s3, s3, 27
	s_delay_alu instid0(SALU_CYCLE_1) | instskip(NEXT) | instid1(SALU_CYCLE_1)
	s_add_co_i32 s2, s2, s3
	s_ashr_i32 s44, s2, 5
	s_delay_alu instid0(SALU_CYCLE_1) | instskip(SKIP_2) | instid1(SALU_CYCLE_1)
	s_cmp_le_i32 s33, s44
	s_cselect_b32 s45, -1, 0
	s_lshl_b32 s0, ttmp9, 5
	v_add_nc_u32_e32 v10, s0, v0
	s_sub_co_i32 s46, s29, s0
	v_add_nc_u32_e32 v8, s0, v48
	s_cmp_gt_i32 s46, 0
	s_delay_alu instid0(VALU_DEP_2)
	v_ashrrev_i32_e32 v11, 31, v10
	v_add_co_u32 v14, vcc_lo, v10, 16
	s_cselect_b32 s48, -1, 0
	s_cmp_eq_u32 s28, 0x84
	v_lshlrev_b64_e32 v[16:17], 3, v[10:11]
	v_add_co_ci_u32_e64 v15, null, 0, v11, vcc_lo
	s_cselect_b32 s49, -1, 0
	s_lshl_b64 s[6:7], s[6:7], 3
	v_ashrrev_i32_e32 v9, 31, v8
	v_add_co_u32 v0, vcc_lo, 0x80, v16
	s_wait_alu 0xfffd
	v_add_co_ci_u32_e64 v1, null, 0, v17, vcc_lo
	v_mul_lo_u32 v24, s8, v11
	s_delay_alu instid0(VALU_DEP_3) | instskip(SKIP_1) | instid1(VALU_DEP_4)
	v_mul_lo_u32 v7, s9, v0
	v_mul_lo_u32 v25, s9, v10
	;; [unrolled: 1-line block ×3, first 2 shown]
	v_mad_co_u64_u32 v[0:1], null, s8, v0, s[6:7]
	v_mad_co_u64_u32 v[2:3], null, s8, v10, 0
	v_sub_co_u32 v18, vcc_lo, v10, v8
	s_wait_alu 0xfffd
	v_sub_co_ci_u32_e64 v19, null, v11, v9, vcc_lo
	v_lshlrev_b64_e32 v[4:5], 3, v[8:9]
	s_delay_alu instid0(VALU_DEP_3)
	v_add_co_u32 v20, vcc_lo, v18, 16
	v_add3_u32 v1, v7, v1, v6
	v_add3_u32 v3, v3, v24, v25
	s_wait_alu 0xfffd
	v_add_co_ci_u32_e64 v21, null, 0, v19, vcc_lo
	v_add_co_u32 v22, vcc_lo, v18, -16
	s_wait_alu 0xfffd
	v_add_co_ci_u32_e64 v23, null, -1, v19, vcc_lo
	v_add_co_u32 v6, vcc_lo, v0, v4
	s_wait_alu 0xfffd
	v_add_co_ci_u32_e64 v7, null, v1, v5, vcc_lo
	v_lshlrev_b64_e32 v[0:1], 3, v[2:3]
	s_delay_alu instid0(VALU_DEP_3) | instskip(SKIP_1) | instid1(VALU_DEP_3)
	v_add_co_u32 v24, vcc_lo, s4, v6
	s_wait_alu 0xfffd
	v_add_co_ci_u32_e64 v25, null, s5, v7, vcc_lo
	v_add_nc_u32_e32 v12, 16, v10
	s_delay_alu instid0(VALU_DEP_4)
	v_add_co_u32 v0, vcc_lo, v0, s6
	s_wait_alu 0xfffd
	v_add_co_ci_u32_e64 v1, null, s7, v1, vcc_lo
	s_lshl_b64 s[6:7], s[14:15], 3
	v_add_co_u32 v0, vcc_lo, v0, v4
	s_wait_alu 0xfffe
	s_add_nc_u64 s[6:7], s[12:13], s[6:7]
	s_wait_alu 0xfffd
	v_add_co_ci_u32_e64 v1, null, v1, v5, vcc_lo
	s_wait_alu 0xfffe
	v_add_co_u32 v26, vcc_lo, s6, v16
	s_wait_alu 0xfffd
	v_add_co_ci_u32_e64 v27, null, s7, v17, vcc_lo
	v_add_co_u32 v28, vcc_lo, s4, v0
	s_ashr_i32 s41, s29, 31
	s_lshl_b64 s[2:3], s[22:23], 3
	s_wait_alu 0xfffd
	v_add_co_ci_u32_e64 v29, null, s5, v1, vcc_lo
	v_add_co_u32 v30, vcc_lo, 0x80, v26
	s_add_nc_u64 s[20:21], s[20:21], s[2:3]
	v_cmp_le_i64_e64 s3, s[40:41], v[14:15]
	v_cmp_le_i32_e64 s0, s29, v10
	v_cmp_gt_i32_e64 s1, s29, v10
	v_cmp_gt_i32_e64 s2, s29, v12
	v_ashrrev_i32_e32 v13, 31, v12
	s_wait_alu 0xfffd
	v_add_co_ci_u32_e64 v31, null, 0, v27, vcc_lo
	s_ashr_i32 s50, s30, 31
	s_add_nc_u64 s[22:23], s[40:41], -16
	s_lshl_b64 s[10:11], s[10:11], 3
	s_lshl_b64 s[12:13], s[18:19], 3
	;; [unrolled: 1-line block ×3, first 2 shown]
	s_branch .LBB81_4
.LBB81_3:                               ;   in Loop: Header=BB81_4 Depth=1
	s_add_co_i32 s34, s34, 0x10000
	s_wait_alu 0xfffe
	s_cmp_ge_u32 s34, s31
	s_cbranch_scc1 .LBB81_67
.LBB81_4:                               ; =>This Loop Header: Depth=1
                                        ;     Child Loop BB81_7 Depth 2
                                        ;       Child Loop BB81_10 Depth 3
	s_and_not1_b32 vcc_lo, exec_lo, s45
	s_wait_alu 0xfffe
	s_cbranch_vccnz .LBB81_3
; %bb.5:                                ;   in Loop: Header=BB81_4 Depth=1
	s_load_b32 s9, s[38:39], 0x4
	v_mad_co_u64_u32 v[34:35], null, s10, s34, v[24:25]
	v_mad_co_u64_u32 v[36:37], null, s10, s34, v[28:29]
	;; [unrolled: 1-line block ×4, first 2 shown]
	s_mul_i32 s6, s11, s34
	s_mul_i32 s7, s13, s34
	s_mul_u64 s[4:5], s[26:27], s[34:35]
	s_wait_alu 0xfffe
	v_dual_mov_b32 v42, v53 :: v_dual_add_nc_u32 v35, s6, v35
	v_add_nc_u32_e32 v37, s6, v37
	v_add_nc_u32_e32 v39, s7, v39
	;; [unrolled: 1-line block ×3, first 2 shown]
	s_lshl_b64 s[4:5], s[4:5], 3
	s_mov_b32 s52, s33
	s_wait_alu 0xfffe
	s_add_nc_u64 s[18:19], s[20:21], s[4:5]
	s_wait_kmcnt 0x0
	s_lshl_b32 s51, s9, 5
	s_branch .LBB81_7
.LBB81_6:                               ;   in Loop: Header=BB81_7 Depth=2
	s_wait_alu 0xfffe
	s_or_b32 exec_lo, exec_lo, s4
	v_add_nc_u32_e32 v42, s51, v42
	s_add_co_i32 s52, s9, s52
	s_wait_alu 0xfffe
	s_cmp_gt_i32 s52, s44
	s_cbranch_scc1 .LBB81_3
.LBB81_7:                               ;   Parent Loop BB81_4 Depth=1
                                        ; =>  This Loop Header: Depth=2
                                        ;       Child Loop BB81_10 Depth 3
	v_lshl_add_u32 v57, s52, 5, v48
	s_and_not1_b32 vcc_lo, exec_lo, s48
	s_delay_alu instid0(VALU_DEP_1)
	v_ashrrev_i32_e32 v58, 31, v57
	s_wait_alu 0xfffe
	s_cbranch_vccnz .LBB81_58
; %bb.8:                                ;   in Loop: Header=BB81_7 Depth=2
	v_ashrrev_i32_e32 v43, 31, v42
	v_mad_co_u64_u32 v[44:45], null, s14, v42, v[38:39]
	v_mul_lo_u32 v2, s15, v42
	v_dual_mov_b32 v59, 0 :: v_dual_mov_b32 v62, 0
	s_delay_alu instid0(VALU_DEP_4) | instskip(SKIP_3) | instid1(VALU_DEP_4)
	v_lshlrev_b64_e32 v[0:1], 3, v[42:43]
	v_mul_lo_u32 v5, s14, v43
	v_dual_mov_b32 v43, 0 :: v_dual_mov_b32 v60, 0
	v_dual_mov_b32 v61, 0 :: v_dual_mov_b32 v64, 0
	v_add_co_u32 v3, vcc_lo, 0x80, v0
	s_wait_alu 0xfffd
	v_add_co_ci_u32_e64 v4, null, 0, v1, vcc_lo
	v_sub_co_u32 v0, vcc_lo, s47, v57
	s_delay_alu instid0(VALU_DEP_3) | instskip(NEXT) | instid1(VALU_DEP_3)
	v_mul_lo_u32 v6, s17, v3
	v_mul_lo_u32 v4, s16, v4
	v_mad_co_u64_u32 v[46:47], null, s16, v3, v[40:41]
	s_wait_alu 0xfffd
	v_sub_co_ci_u32_e64 v1, null, s50, v58, vcc_lo
	v_add3_u32 v45, v2, v45, v5
	v_mov_b32_e32 v63, 0
	v_mov_b32_e32 v65, 0
	s_delay_alu instid0(VALU_DEP_4)
	v_cmp_lt_i64_e64 s4, 16, v[0:1]
	v_add3_u32 v47, v6, v47, v4
	s_mov_b64 s[28:29], 0
	s_mov_b64 s[42:43], 0
	v_cmp_lt_i64_e32 vcc_lo, 0, v[0:1]
	s_branch .LBB81_10
.LBB81_9:                               ;   in Loop: Header=BB81_10 Depth=3
	s_wait_alu 0xfffe
	s_or_b32 exec_lo, exec_lo, s5
	s_wait_dscnt 0x0
	s_barrier_signal -1
	s_barrier_wait -1
	global_inv scope:SCOPE_SE
	ds_load_b128 v[66:69], v50
	ds_load_b128 v[70:73], v50 offset:16
	ds_load_b128 v[4:7], v50 offset:32
	;; [unrolled: 1-line block ×3, first 2 shown]
	ds_load_2addr_b64 v[74:77], v49 offset1:16
	s_add_nc_u64 s[42:43], s[42:43], 32
	s_add_nc_u64 s[28:29], s[28:29], 0x100
	s_wait_alu 0xfffe
	s_cmp_ge_i32 s42, s46
	s_wait_dscnt 0x0
	v_mul_f32_e32 v79, v66, v75
	v_mul_f32_e32 v78, v67, v75
	s_delay_alu instid0(VALU_DEP_2) | instskip(NEXT) | instid1(VALU_DEP_1)
	v_fmac_f32_e32 v79, v67, v74
	v_add_f32_e32 v79, v65, v79
	v_mul_f32_e32 v65, v66, v77
	s_delay_alu instid0(VALU_DEP_4) | instskip(NEXT) | instid1(VALU_DEP_1)
	v_fma_f32 v78, v66, v74, -v78
	v_dual_fmac_f32 v65, v67, v76 :: v_dual_add_f32 v78, v64, v78
	v_mul_f32_e32 v64, v67, v77
	s_delay_alu instid0(VALU_DEP_2) | instskip(NEXT) | instid1(VALU_DEP_2)
	v_add_f32_e32 v67, v63, v65
	v_fma_f32 v64, v66, v76, -v64
	s_delay_alu instid0(VALU_DEP_1) | instskip(SKIP_4) | instid1(VALU_DEP_2)
	v_add_f32_e32 v66, v62, v64
	ds_load_b128 v[62:65], v50 offset:4096
	s_wait_dscnt 0x0
	v_mul_f32_e32 v80, v63, v75
	v_mul_f32_e32 v75, v62, v75
	v_fma_f32 v80, v62, v74, -v80
	s_delay_alu instid0(VALU_DEP_1) | instskip(NEXT) | instid1(VALU_DEP_1)
	v_dual_fmac_f32 v75, v63, v74 :: v_dual_add_f32 v74, v61, v80
	v_dual_add_f32 v75, v60, v75 :: v_dual_mul_f32 v60, v63, v77
	v_mul_f32_e32 v61, v62, v77
	s_delay_alu instid0(VALU_DEP_2) | instskip(NEXT) | instid1(VALU_DEP_2)
	v_fma_f32 v60, v62, v76, -v60
	v_fmac_f32_e32 v61, v63, v76
	s_delay_alu instid0(VALU_DEP_2) | instskip(NEXT) | instid1(VALU_DEP_2)
	v_add_f32_e32 v63, v59, v60
	v_add_f32_e32 v43, v43, v61
	ds_load_2addr_b64 v[59:62], v49 offset0:32 offset1:48
	s_wait_dscnt 0x0
	v_mul_f32_e32 v76, v69, v60
	v_mul_f32_e32 v77, v68, v60
	s_delay_alu instid0(VALU_DEP_2) | instskip(NEXT) | instid1(VALU_DEP_1)
	v_fma_f32 v76, v68, v59, -v76
	v_add_f32_e32 v76, v78, v76
	v_mul_f32_e32 v78, v69, v62
	s_delay_alu instid0(VALU_DEP_1) | instskip(SKIP_1) | instid1(VALU_DEP_2)
	v_fma_f32 v78, v68, v61, -v78
	v_mul_f32_e32 v68, v68, v62
	v_add_f32_e32 v66, v66, v78
	s_delay_alu instid0(VALU_DEP_2) | instskip(NEXT) | instid1(VALU_DEP_1)
	v_fmac_f32_e32 v68, v69, v61
	v_add_f32_e32 v67, v67, v68
	v_mul_f32_e32 v68, v65, v60
	v_mul_f32_e32 v60, v64, v60
	s_delay_alu instid0(VALU_DEP_2) | instskip(NEXT) | instid1(VALU_DEP_2)
	v_fma_f32 v68, v64, v59, -v68
	v_fmac_f32_e32 v60, v65, v59
	v_fmac_f32_e32 v77, v69, v59
	s_delay_alu instid0(VALU_DEP_3) | instskip(NEXT) | instid1(VALU_DEP_3)
	v_dual_mul_f32 v59, v65, v62 :: v_dual_add_f32 v68, v74, v68
	v_add_f32_e32 v69, v75, v60
	s_delay_alu instid0(VALU_DEP_3) | instskip(NEXT) | instid1(VALU_DEP_3)
	v_dual_add_f32 v77, v79, v77 :: v_dual_mul_f32 v60, v64, v62
	v_fma_f32 v59, v64, v61, -v59
	s_delay_alu instid0(VALU_DEP_2) | instskip(NEXT) | instid1(VALU_DEP_2)
	v_fmac_f32_e32 v60, v65, v61
	v_add_f32_e32 v74, v63, v59
	s_delay_alu instid0(VALU_DEP_2) | instskip(SKIP_4) | instid1(VALU_DEP_2)
	v_add_f32_e32 v43, v43, v60
	ds_load_2addr_b64 v[59:62], v49 offset0:64 offset1:80
	s_wait_dscnt 0x0
	v_mul_f32_e32 v63, v71, v60
	v_mul_f32_e32 v64, v70, v60
	v_fma_f32 v63, v70, v59, -v63
	s_delay_alu instid0(VALU_DEP_1) | instskip(SKIP_1) | instid1(VALU_DEP_4)
	v_add_f32_e32 v75, v76, v63
	v_mul_f32_e32 v63, v71, v62
	v_fmac_f32_e32 v64, v71, v59
	s_delay_alu instid0(VALU_DEP_2) | instskip(NEXT) | instid1(VALU_DEP_2)
	v_fma_f32 v63, v70, v61, -v63
	v_add_f32_e32 v76, v77, v64
	v_mul_f32_e32 v64, v70, v62
	s_delay_alu instid0(VALU_DEP_3) | instskip(NEXT) | instid1(VALU_DEP_2)
	v_add_f32_e32 v70, v66, v63
	v_fmac_f32_e32 v64, v71, v61
	s_delay_alu instid0(VALU_DEP_1) | instskip(SKIP_4) | instid1(VALU_DEP_2)
	v_add_f32_e32 v67, v67, v64
	ds_load_b128 v[63:66], v50 offset:4112
	s_wait_dscnt 0x0
	v_mul_f32_e32 v71, v64, v60
	v_mul_f32_e32 v60, v63, v60
	v_fma_f32 v71, v63, v59, -v71
	s_delay_alu instid0(VALU_DEP_2) | instskip(SKIP_1) | instid1(VALU_DEP_2)
	v_fmac_f32_e32 v60, v64, v59
	v_mul_f32_e32 v59, v64, v62
	v_dual_add_f32 v68, v68, v71 :: v_dual_add_f32 v69, v69, v60
	v_mul_f32_e32 v60, v63, v62
	s_delay_alu instid0(VALU_DEP_3) | instskip(NEXT) | instid1(VALU_DEP_1)
	v_fma_f32 v59, v63, v61, -v59
	v_dual_fmac_f32 v60, v64, v61 :: v_dual_add_f32 v63, v74, v59
	s_delay_alu instid0(VALU_DEP_1) | instskip(SKIP_4) | instid1(VALU_DEP_2)
	v_add_f32_e32 v43, v43, v60
	ds_load_2addr_b64 v[59:62], v49 offset0:96 offset1:112
	s_wait_dscnt 0x0
	v_mul_f32_e32 v64, v73, v60
	v_dual_mul_f32 v74, v73, v62 :: v_dual_mul_f32 v71, v72, v60
	v_fma_f32 v64, v72, v59, -v64
	s_delay_alu instid0(VALU_DEP_2) | instskip(SKIP_1) | instid1(VALU_DEP_1)
	v_fma_f32 v74, v72, v61, -v74
	v_mul_f32_e32 v72, v72, v62
	v_fmac_f32_e32 v72, v73, v61
	v_fmac_f32_e32 v71, v73, v59
	s_delay_alu instid0(VALU_DEP_2) | instskip(NEXT) | instid1(VALU_DEP_2)
	v_add_f32_e32 v67, v67, v72
	v_dual_add_f32 v71, v76, v71 :: v_dual_mul_f32 v72, v66, v60
	v_mul_f32_e32 v60, v65, v60
	s_delay_alu instid0(VALU_DEP_2) | instskip(NEXT) | instid1(VALU_DEP_2)
	v_fma_f32 v72, v65, v59, -v72
	v_fmac_f32_e32 v60, v66, v59
	v_mul_f32_e32 v59, v66, v62
	s_delay_alu instid0(VALU_DEP_2) | instskip(SKIP_1) | instid1(VALU_DEP_3)
	v_add_f32_e32 v69, v69, v60
	v_mul_f32_e32 v60, v65, v62
	v_fma_f32 v59, v65, v61, -v59
	s_delay_alu instid0(VALU_DEP_2) | instskip(NEXT) | instid1(VALU_DEP_1)
	v_fmac_f32_e32 v60, v66, v61
	v_dual_add_f32 v70, v70, v74 :: v_dual_add_f32 v43, v43, v60
	v_add_f32_e32 v68, v68, v72
	s_delay_alu instid0(VALU_DEP_4)
	v_add_f32_e32 v72, v63, v59
	ds_load_2addr_b64 v[59:62], v49 offset0:128 offset1:144
	s_wait_dscnt 0x0
	v_mul_f32_e32 v63, v5, v60
	v_mul_f32_e32 v65, v4, v60
	v_add_f32_e32 v64, v75, v64
	s_delay_alu instid0(VALU_DEP_3) | instskip(NEXT) | instid1(VALU_DEP_3)
	v_fma_f32 v63, v4, v59, -v63
	v_fmac_f32_e32 v65, v5, v59
	s_delay_alu instid0(VALU_DEP_2) | instskip(SKIP_1) | instid1(VALU_DEP_3)
	v_add_f32_e32 v73, v64, v63
	v_mul_f32_e32 v63, v5, v62
	v_add_f32_e32 v71, v71, v65
	s_delay_alu instid0(VALU_DEP_2) | instskip(SKIP_1) | instid1(VALU_DEP_1)
	v_fma_f32 v63, v4, v61, -v63
	v_mul_f32_e32 v4, v4, v62
	v_dual_fmac_f32 v4, v5, v61 :: v_dual_add_f32 v5, v70, v63
	ds_load_b128 v[63:66], v50 offset:4128
	v_add_f32_e32 v4, v67, v4
	s_wait_dscnt 0x0
	v_mul_f32_e32 v67, v64, v60
	v_mul_f32_e32 v60, v63, v60
	s_delay_alu instid0(VALU_DEP_2) | instskip(NEXT) | instid1(VALU_DEP_2)
	v_fma_f32 v67, v63, v59, -v67
	v_fmac_f32_e32 v60, v64, v59
	v_mul_f32_e32 v59, v64, v62
	s_delay_alu instid0(VALU_DEP_2) | instskip(SKIP_1) | instid1(VALU_DEP_3)
	v_dual_add_f32 v67, v68, v67 :: v_dual_add_f32 v68, v69, v60
	v_mul_f32_e32 v60, v63, v62
	v_fma_f32 v59, v63, v61, -v59
	s_delay_alu instid0(VALU_DEP_2) | instskip(NEXT) | instid1(VALU_DEP_2)
	v_fmac_f32_e32 v60, v64, v61
	v_add_f32_e32 v63, v72, v59
	s_delay_alu instid0(VALU_DEP_2) | instskip(SKIP_4) | instid1(VALU_DEP_2)
	v_add_f32_e32 v43, v43, v60
	ds_load_2addr_b64 v[59:62], v49 offset0:160 offset1:176
	s_wait_dscnt 0x0
	v_dual_mul_f32 v69, v6, v60 :: v_dual_mul_f32 v70, v7, v62
	v_mul_f32_e32 v64, v7, v60
	v_fmac_f32_e32 v69, v7, v59
	s_delay_alu instid0(VALU_DEP_3) | instskip(NEXT) | instid1(VALU_DEP_1)
	v_fma_f32 v70, v6, v61, -v70
	v_dual_add_f32 v69, v71, v69 :: v_dual_add_f32 v70, v5, v70
	v_mul_f32_e32 v5, v65, v60
	s_delay_alu instid0(VALU_DEP_1) | instskip(NEXT) | instid1(VALU_DEP_1)
	v_fmac_f32_e32 v5, v66, v59
	v_dual_add_f32 v68, v68, v5 :: v_dual_mul_f32 v5, v65, v62
	v_fma_f32 v64, v6, v59, -v64
	v_mul_f32_e32 v6, v6, v62
	s_delay_alu instid0(VALU_DEP_2) | instskip(NEXT) | instid1(VALU_DEP_2)
	v_dual_fmac_f32 v5, v66, v61 :: v_dual_add_f32 v64, v73, v64
	v_fmac_f32_e32 v6, v7, v61
	s_delay_alu instid0(VALU_DEP_2) | instskip(NEXT) | instid1(VALU_DEP_2)
	v_add_f32_e32 v43, v43, v5
	v_dual_add_f32 v71, v4, v6 :: v_dual_mul_f32 v4, v66, v60
	s_delay_alu instid0(VALU_DEP_1) | instskip(NEXT) | instid1(VALU_DEP_1)
	v_fma_f32 v4, v65, v59, -v4
	v_dual_add_f32 v67, v67, v4 :: v_dual_mul_f32 v4, v66, v62
	s_delay_alu instid0(VALU_DEP_1) | instskip(NEXT) | instid1(VALU_DEP_1)
	v_fma_f32 v4, v65, v61, -v4
	v_add_f32_e32 v63, v63, v4
	ds_load_2addr_b64 v[4:7], v49 offset0:192 offset1:208
	s_wait_dscnt 0x0
	v_mul_f32_e32 v59, v1, v5
	s_delay_alu instid0(VALU_DEP_1) | instskip(NEXT) | instid1(VALU_DEP_1)
	v_fma_f32 v59, v0, v4, -v59
	v_add_f32_e32 v64, v64, v59
	v_mul_f32_e32 v59, v1, v7
	s_delay_alu instid0(VALU_DEP_1) | instskip(SKIP_2) | instid1(VALU_DEP_2)
	v_fma_f32 v59, v0, v6, -v59
	v_mul_f32_e32 v60, v0, v5
	v_mul_f32_e32 v0, v0, v7
	v_fmac_f32_e32 v60, v1, v4
	s_delay_alu instid0(VALU_DEP_2) | instskip(NEXT) | instid1(VALU_DEP_2)
	v_dual_fmac_f32 v0, v1, v6 :: v_dual_add_f32 v1, v70, v59
	v_add_f32_e32 v65, v69, v60
	ds_load_b128 v[59:62], v50 offset:4144
	s_wait_dscnt 0x0
	v_mul_f32_e32 v66, v60, v5
	v_mul_f32_e32 v5, v59, v5
	s_delay_alu instid0(VALU_DEP_2) | instskip(NEXT) | instid1(VALU_DEP_2)
	v_fma_f32 v66, v59, v4, -v66
	v_fmac_f32_e32 v5, v60, v4
	v_add_f32_e32 v0, v71, v0
	s_delay_alu instid0(VALU_DEP_2) | instskip(SKIP_1) | instid1(VALU_DEP_1)
	v_dual_add_f32 v66, v67, v66 :: v_dual_add_f32 v67, v68, v5
	v_mul_f32_e32 v5, v59, v7
	v_fmac_f32_e32 v5, v60, v6
	s_delay_alu instid0(VALU_DEP_1) | instskip(NEXT) | instid1(VALU_DEP_1)
	v_dual_mul_f32 v4, v60, v7 :: v_dual_add_f32 v43, v43, v5
	v_fma_f32 v4, v59, v6, -v4
	s_delay_alu instid0(VALU_DEP_1) | instskip(SKIP_3) | instid1(VALU_DEP_1)
	v_add_f32_e32 v59, v63, v4
	ds_load_2addr_b64 v[4:7], v49 offset0:224 offset1:240
	s_wait_dscnt 0x0
	v_mul_f32_e32 v63, v2, v5
	v_fmac_f32_e32 v63, v3, v4
	s_delay_alu instid0(VALU_DEP_1) | instskip(NEXT) | instid1(VALU_DEP_1)
	v_dual_mul_f32 v60, v3, v5 :: v_dual_add_f32 v63, v65, v63
	v_fma_f32 v60, v2, v4, -v60
	s_delay_alu instid0(VALU_DEP_1) | instskip(SKIP_1) | instid1(VALU_DEP_1)
	v_add_f32_e32 v60, v64, v60
	v_mul_f32_e32 v64, v3, v7
	v_fma_f32 v64, v2, v6, -v64
	v_mul_f32_e32 v2, v2, v7
	s_delay_alu instid0(VALU_DEP_2) | instskip(NEXT) | instid1(VALU_DEP_2)
	v_add_f32_e32 v64, v1, v64
	v_dual_mul_f32 v1, v61, v5 :: v_dual_fmac_f32 v2, v3, v6
	s_delay_alu instid0(VALU_DEP_1) | instskip(NEXT) | instid1(VALU_DEP_2)
	v_fmac_f32_e32 v1, v62, v4
	v_dual_add_f32 v65, v0, v2 :: v_dual_mul_f32 v0, v62, v5
	s_delay_alu instid0(VALU_DEP_2) | instskip(SKIP_1) | instid1(VALU_DEP_3)
	v_add_f32_e32 v67, v67, v1
	v_mul_f32_e32 v1, v61, v7
	v_fma_f32 v0, v61, v4, -v0
	s_delay_alu instid0(VALU_DEP_2) | instskip(NEXT) | instid1(VALU_DEP_2)
	v_fmac_f32_e32 v1, v62, v6
	v_add_f32_e32 v66, v66, v0
	v_mul_f32_e32 v0, v62, v7
	s_delay_alu instid0(VALU_DEP_1) | instskip(NEXT) | instid1(VALU_DEP_1)
	v_fma_f32 v0, v61, v6, -v0
	v_add_f32_e32 v68, v59, v0
	v_add_f32_e32 v43, v43, v1
	ds_load_b128 v[0:3], v50 offset:64
	ds_load_2addr_b64 v[4:7], v54 offset1:16
	s_wait_dscnt 0x0
	v_mul_f32_e32 v59, v1, v5
	v_mul_f32_e32 v61, v0, v5
	s_delay_alu instid0(VALU_DEP_2) | instskip(NEXT) | instid1(VALU_DEP_1)
	v_fma_f32 v59, v0, v4, -v59
	v_add_f32_e32 v69, v60, v59
	v_mul_f32_e32 v59, v1, v7
	s_delay_alu instid0(VALU_DEP_1) | instskip(SKIP_1) | instid1(VALU_DEP_1)
	v_fma_f32 v59, v0, v6, -v59
	v_mul_f32_e32 v0, v0, v7
	v_fmac_f32_e32 v0, v1, v6
	v_fmac_f32_e32 v61, v1, v4
	s_delay_alu instid0(VALU_DEP_2) | instskip(NEXT) | instid1(VALU_DEP_2)
	v_dual_add_f32 v1, v64, v59 :: v_dual_add_f32 v0, v65, v0
	v_add_f32_e32 v63, v63, v61
	ds_load_b128 v[59:62], v50 offset:4160
	s_wait_dscnt 0x0
	v_mul_f32_e32 v64, v60, v5
	v_mul_f32_e32 v5, v59, v5
	s_delay_alu instid0(VALU_DEP_2) | instskip(NEXT) | instid1(VALU_DEP_2)
	v_fma_f32 v64, v59, v4, -v64
	v_fmac_f32_e32 v5, v60, v4
	v_mul_f32_e32 v4, v60, v7
	s_delay_alu instid0(VALU_DEP_2) | instskip(SKIP_1) | instid1(VALU_DEP_3)
	v_dual_add_f32 v64, v66, v64 :: v_dual_add_f32 v65, v67, v5
	v_mul_f32_e32 v5, v59, v7
	v_fma_f32 v4, v59, v6, -v4
	s_delay_alu instid0(VALU_DEP_2) | instskip(NEXT) | instid1(VALU_DEP_2)
	v_fmac_f32_e32 v5, v60, v6
	v_add_f32_e32 v59, v68, v4
	s_delay_alu instid0(VALU_DEP_2) | instskip(SKIP_4) | instid1(VALU_DEP_2)
	v_add_f32_e32 v43, v43, v5
	ds_load_2addr_b64 v[4:7], v54 offset0:32 offset1:48
	s_wait_dscnt 0x0
	v_mul_f32_e32 v66, v2, v5
	v_mul_f32_e32 v60, v3, v5
	v_fmac_f32_e32 v66, v3, v4
	s_delay_alu instid0(VALU_DEP_2) | instskip(NEXT) | instid1(VALU_DEP_2)
	v_fma_f32 v60, v2, v4, -v60
	v_add_f32_e32 v63, v63, v66
	v_mul_f32_e32 v66, v3, v7
	s_delay_alu instid0(VALU_DEP_3) | instskip(NEXT) | instid1(VALU_DEP_2)
	v_add_f32_e32 v60, v69, v60
	v_fma_f32 v66, v2, v6, -v66
	v_mul_f32_e32 v2, v2, v7
	s_delay_alu instid0(VALU_DEP_2) | instskip(NEXT) | instid1(VALU_DEP_2)
	v_add_f32_e32 v66, v1, v66
	v_dual_fmac_f32 v2, v3, v6 :: v_dual_mul_f32 v1, v61, v5
	s_delay_alu instid0(VALU_DEP_1) | instskip(NEXT) | instid1(VALU_DEP_2)
	v_dual_add_f32 v67, v0, v2 :: v_dual_mul_f32 v0, v62, v5
	v_fmac_f32_e32 v1, v62, v4
	s_delay_alu instid0(VALU_DEP_2) | instskip(NEXT) | instid1(VALU_DEP_1)
	v_fma_f32 v0, v61, v4, -v0
	v_add_f32_e32 v64, v64, v0
	v_mul_f32_e32 v0, v62, v7
	s_delay_alu instid0(VALU_DEP_1) | instskip(SKIP_1) | instid1(VALU_DEP_2)
	v_fma_f32 v0, v61, v6, -v0
	v_add_f32_e32 v65, v65, v1
	v_dual_mul_f32 v1, v61, v7 :: v_dual_add_f32 v68, v59, v0
	s_delay_alu instid0(VALU_DEP_1) | instskip(NEXT) | instid1(VALU_DEP_1)
	v_fmac_f32_e32 v1, v62, v6
	v_add_f32_e32 v43, v43, v1
	ds_load_b128 v[0:3], v50 offset:80
	ds_load_2addr_b64 v[4:7], v54 offset0:64 offset1:80
	s_wait_dscnt 0x0
	v_mul_f32_e32 v59, v1, v5
	v_mul_f32_e32 v61, v0, v5
	s_delay_alu instid0(VALU_DEP_2) | instskip(NEXT) | instid1(VALU_DEP_2)
	v_fma_f32 v59, v0, v4, -v59
	v_fmac_f32_e32 v61, v1, v4
	s_delay_alu instid0(VALU_DEP_2) | instskip(SKIP_1) | instid1(VALU_DEP_3)
	v_add_f32_e32 v69, v60, v59
	v_mul_f32_e32 v59, v1, v7
	v_add_f32_e32 v63, v63, v61
	s_delay_alu instid0(VALU_DEP_2) | instskip(SKIP_1) | instid1(VALU_DEP_1)
	v_fma_f32 v59, v0, v6, -v59
	v_mul_f32_e32 v0, v0, v7
	v_dual_fmac_f32 v0, v1, v6 :: v_dual_add_f32 v1, v66, v59
	ds_load_b128 v[59:62], v50 offset:4176
	v_add_f32_e32 v0, v67, v0
	s_wait_dscnt 0x0
	v_mul_f32_e32 v66, v60, v5
	v_mul_f32_e32 v5, v59, v5
	s_delay_alu instid0(VALU_DEP_2) | instskip(NEXT) | instid1(VALU_DEP_2)
	v_fma_f32 v66, v59, v4, -v66
	v_fmac_f32_e32 v5, v60, v4
	v_mul_f32_e32 v4, v60, v7
	s_delay_alu instid0(VALU_DEP_2) | instskip(SKIP_1) | instid1(VALU_DEP_3)
	v_dual_add_f32 v64, v64, v66 :: v_dual_add_f32 v65, v65, v5
	v_mul_f32_e32 v5, v59, v7
	v_fma_f32 v4, v59, v6, -v4
	s_delay_alu instid0(VALU_DEP_2) | instskip(NEXT) | instid1(VALU_DEP_2)
	v_fmac_f32_e32 v5, v60, v6
	v_add_f32_e32 v59, v68, v4
	s_delay_alu instid0(VALU_DEP_2) | instskip(SKIP_4) | instid1(VALU_DEP_2)
	v_add_f32_e32 v43, v43, v5
	ds_load_2addr_b64 v[4:7], v54 offset0:96 offset1:112
	s_wait_dscnt 0x0
	v_mul_f32_e32 v60, v3, v5
	v_mul_f32_e32 v66, v2, v5
	v_fma_f32 v60, v2, v4, -v60
	s_delay_alu instid0(VALU_DEP_2) | instskip(NEXT) | instid1(VALU_DEP_1)
	v_fmac_f32_e32 v66, v3, v4
	v_dual_add_f32 v60, v69, v60 :: v_dual_add_f32 v63, v63, v66
	v_mul_f32_e32 v66, v3, v7
	s_delay_alu instid0(VALU_DEP_1) | instskip(SKIP_1) | instid1(VALU_DEP_1)
	v_fma_f32 v66, v2, v6, -v66
	v_mul_f32_e32 v2, v2, v7
	v_fmac_f32_e32 v2, v3, v6
	s_delay_alu instid0(VALU_DEP_3) | instskip(NEXT) | instid1(VALU_DEP_2)
	v_add_f32_e32 v66, v1, v66
	v_dual_add_f32 v67, v0, v2 :: v_dual_mul_f32 v0, v62, v5
	s_delay_alu instid0(VALU_DEP_1) | instskip(NEXT) | instid1(VALU_DEP_1)
	v_fma_f32 v0, v61, v4, -v0
	v_add_f32_e32 v64, v64, v0
	v_mul_f32_e32 v0, v62, v7
	s_delay_alu instid0(VALU_DEP_1) | instskip(NEXT) | instid1(VALU_DEP_1)
	v_fma_f32 v0, v61, v6, -v0
	v_dual_add_f32 v68, v59, v0 :: v_dual_mul_f32 v1, v61, v5
	s_delay_alu instid0(VALU_DEP_1) | instskip(NEXT) | instid1(VALU_DEP_1)
	v_fmac_f32_e32 v1, v62, v4
	v_add_f32_e32 v65, v65, v1
	v_mul_f32_e32 v1, v61, v7
	s_delay_alu instid0(VALU_DEP_1) | instskip(NEXT) | instid1(VALU_DEP_1)
	v_fmac_f32_e32 v1, v62, v6
	v_add_f32_e32 v43, v43, v1
	ds_load_b128 v[0:3], v50 offset:96
	ds_load_2addr_b64 v[4:7], v54 offset0:128 offset1:144
	s_wait_dscnt 0x0
	v_mul_f32_e32 v59, v1, v5
	s_delay_alu instid0(VALU_DEP_1) | instskip(NEXT) | instid1(VALU_DEP_1)
	v_fma_f32 v59, v0, v4, -v59
	v_add_f32_e32 v69, v60, v59
	v_mul_f32_e32 v61, v0, v5
	v_mul_f32_e32 v59, v1, v7
	s_delay_alu instid0(VALU_DEP_2) | instskip(NEXT) | instid1(VALU_DEP_2)
	v_fmac_f32_e32 v61, v1, v4
	v_fma_f32 v59, v0, v6, -v59
	s_delay_alu instid0(VALU_DEP_2) | instskip(NEXT) | instid1(VALU_DEP_1)
	v_dual_mul_f32 v0, v0, v7 :: v_dual_add_f32 v63, v63, v61
	v_dual_fmac_f32 v0, v1, v6 :: v_dual_add_f32 v1, v66, v59
	ds_load_b128 v[59:62], v50 offset:4192
	v_add_f32_e32 v0, v67, v0
	s_wait_dscnt 0x0
	v_mul_f32_e32 v66, v60, v5
	v_mul_f32_e32 v5, v59, v5
	s_delay_alu instid0(VALU_DEP_2) | instskip(NEXT) | instid1(VALU_DEP_2)
	v_fma_f32 v66, v59, v4, -v66
	v_fmac_f32_e32 v5, v60, v4
	v_mul_f32_e32 v4, v60, v7
	s_delay_alu instid0(VALU_DEP_2) | instskip(SKIP_1) | instid1(VALU_DEP_3)
	v_dual_add_f32 v64, v64, v66 :: v_dual_add_f32 v65, v65, v5
	v_mul_f32_e32 v5, v59, v7
	v_fma_f32 v4, v59, v6, -v4
	s_delay_alu instid0(VALU_DEP_2) | instskip(NEXT) | instid1(VALU_DEP_2)
	v_fmac_f32_e32 v5, v60, v6
	v_add_f32_e32 v59, v68, v4
	s_delay_alu instid0(VALU_DEP_2) | instskip(SKIP_4) | instid1(VALU_DEP_2)
	v_add_f32_e32 v43, v43, v5
	ds_load_2addr_b64 v[4:7], v54 offset0:160 offset1:176
	s_wait_dscnt 0x0
	v_mul_f32_e32 v66, v2, v5
	v_mul_f32_e32 v60, v3, v5
	v_fmac_f32_e32 v66, v3, v4
	s_delay_alu instid0(VALU_DEP_2) | instskip(NEXT) | instid1(VALU_DEP_2)
	v_fma_f32 v60, v2, v4, -v60
	v_add_f32_e32 v63, v63, v66
	v_mul_f32_e32 v66, v3, v7
	s_delay_alu instid0(VALU_DEP_1) | instskip(SKIP_1) | instid1(VALU_DEP_1)
	v_fma_f32 v66, v2, v6, -v66
	v_mul_f32_e32 v2, v2, v7
	v_fmac_f32_e32 v2, v3, v6
	s_delay_alu instid0(VALU_DEP_1) | instskip(SKIP_1) | instid1(VALU_DEP_1)
	v_dual_add_f32 v60, v69, v60 :: v_dual_add_f32 v67, v0, v2
	v_mul_f32_e32 v0, v62, v5
	v_fma_f32 v0, v61, v4, -v0
	s_delay_alu instid0(VALU_DEP_1) | instskip(SKIP_2) | instid1(VALU_DEP_1)
	v_add_f32_e32 v64, v64, v0
	v_add_f32_e32 v66, v1, v66
	v_dual_mul_f32 v1, v61, v5 :: v_dual_mul_f32 v0, v62, v7
	v_fmac_f32_e32 v1, v62, v4
	s_delay_alu instid0(VALU_DEP_2) | instskip(NEXT) | instid1(VALU_DEP_1)
	v_fma_f32 v0, v61, v6, -v0
	v_dual_add_f32 v68, v59, v0 :: v_dual_add_f32 v65, v65, v1
	v_mul_f32_e32 v1, v61, v7
	s_delay_alu instid0(VALU_DEP_1) | instskip(NEXT) | instid1(VALU_DEP_1)
	v_fmac_f32_e32 v1, v62, v6
	v_add_f32_e32 v43, v43, v1
	ds_load_b128 v[0:3], v50 offset:112
	ds_load_2addr_b64 v[4:7], v54 offset0:192 offset1:208
	s_wait_dscnt 0x0
	v_mul_f32_e32 v59, v1, v5
	v_mul_f32_e32 v61, v0, v5
	s_delay_alu instid0(VALU_DEP_2) | instskip(NEXT) | instid1(VALU_DEP_2)
	v_fma_f32 v59, v0, v4, -v59
	v_fmac_f32_e32 v61, v1, v4
	s_delay_alu instid0(VALU_DEP_2) | instskip(SKIP_1) | instid1(VALU_DEP_3)
	v_add_f32_e32 v69, v60, v59
	v_mul_f32_e32 v59, v1, v7
	v_add_f32_e32 v63, v63, v61
	s_delay_alu instid0(VALU_DEP_2) | instskip(SKIP_1) | instid1(VALU_DEP_1)
	v_fma_f32 v59, v0, v6, -v59
	v_mul_f32_e32 v0, v0, v7
	v_dual_fmac_f32 v0, v1, v6 :: v_dual_add_f32 v1, v66, v59
	ds_load_b128 v[59:62], v50 offset:4208
	s_wait_dscnt 0x0
	v_mul_f32_e32 v66, v60, v5
	v_mul_f32_e32 v5, v59, v5
	s_delay_alu instid0(VALU_DEP_2) | instskip(NEXT) | instid1(VALU_DEP_2)
	v_fma_f32 v66, v59, v4, -v66
	v_fmac_f32_e32 v5, v60, v4
	v_mul_f32_e32 v4, v60, v7
	s_delay_alu instid0(VALU_DEP_2) | instskip(SKIP_1) | instid1(VALU_DEP_3)
	v_dual_add_f32 v64, v64, v66 :: v_dual_add_f32 v65, v65, v5
	v_mul_f32_e32 v5, v59, v7
	v_fma_f32 v4, v59, v6, -v4
	s_delay_alu instid0(VALU_DEP_2) | instskip(NEXT) | instid1(VALU_DEP_2)
	v_fmac_f32_e32 v5, v60, v6
	v_add_f32_e32 v59, v68, v4
	s_delay_alu instid0(VALU_DEP_2)
	v_add_f32_e32 v43, v43, v5
	ds_load_2addr_b64 v[4:7], v54 offset0:224 offset1:240
	s_wait_dscnt 0x0
	v_mul_f32_e32 v66, v2, v5
	v_mul_f32_e32 v60, v3, v5
	v_add_f32_e32 v0, v67, v0
	s_delay_alu instid0(VALU_DEP_3) | instskip(NEXT) | instid1(VALU_DEP_3)
	v_fmac_f32_e32 v66, v3, v4
	v_fma_f32 v60, v2, v4, -v60
	s_delay_alu instid0(VALU_DEP_2) | instskip(SKIP_1) | instid1(VALU_DEP_1)
	v_add_f32_e32 v63, v63, v66
	v_mul_f32_e32 v66, v3, v7
	v_fma_f32 v66, v2, v6, -v66
	v_mul_f32_e32 v2, v2, v7
	s_delay_alu instid0(VALU_DEP_2) | instskip(NEXT) | instid1(VALU_DEP_2)
	v_add_f32_e32 v66, v1, v66
	v_dual_fmac_f32 v2, v3, v6 :: v_dual_mul_f32 v1, v61, v5
	s_delay_alu instid0(VALU_DEP_1) | instskip(NEXT) | instid1(VALU_DEP_2)
	v_dual_add_f32 v67, v0, v2 :: v_dual_mul_f32 v0, v62, v5
	v_fmac_f32_e32 v1, v62, v4
	s_delay_alu instid0(VALU_DEP_2) | instskip(NEXT) | instid1(VALU_DEP_2)
	v_fma_f32 v0, v61, v4, -v0
	v_add_f32_e32 v65, v65, v1
	s_delay_alu instid0(VALU_DEP_2) | instskip(SKIP_1) | instid1(VALU_DEP_2)
	v_dual_mul_f32 v1, v61, v7 :: v_dual_add_f32 v64, v64, v0
	v_mul_f32_e32 v0, v62, v7
	v_fmac_f32_e32 v1, v62, v6
	s_delay_alu instid0(VALU_DEP_2) | instskip(NEXT) | instid1(VALU_DEP_2)
	v_fma_f32 v0, v61, v6, -v0
	v_add_f32_e32 v43, v43, v1
	s_delay_alu instid0(VALU_DEP_2)
	v_add_f32_e32 v68, v59, v0
	ds_load_b128 v[0:3], v50 offset:128
	ds_load_2addr_b64 v[4:7], v55 offset1:16
	v_add_f32_e32 v60, v69, v60
	s_wait_dscnt 0x0
	v_mul_f32_e32 v59, v1, v5
	v_mul_f32_e32 v61, v0, v5
	s_delay_alu instid0(VALU_DEP_2) | instskip(NEXT) | instid1(VALU_DEP_2)
	v_fma_f32 v59, v0, v4, -v59
	v_fmac_f32_e32 v61, v1, v4
	s_delay_alu instid0(VALU_DEP_2) | instskip(SKIP_1) | instid1(VALU_DEP_3)
	v_add_f32_e32 v69, v60, v59
	v_mul_f32_e32 v59, v1, v7
	v_add_f32_e32 v63, v63, v61
	s_delay_alu instid0(VALU_DEP_2) | instskip(SKIP_1) | instid1(VALU_DEP_1)
	v_fma_f32 v59, v0, v6, -v59
	v_mul_f32_e32 v0, v0, v7
	v_dual_fmac_f32 v0, v1, v6 :: v_dual_add_f32 v1, v66, v59
	ds_load_b128 v[59:62], v50 offset:4224
	s_wait_dscnt 0x0
	v_mul_f32_e32 v66, v60, v5
	v_mul_f32_e32 v5, v59, v5
	s_delay_alu instid0(VALU_DEP_2) | instskip(NEXT) | instid1(VALU_DEP_2)
	v_fma_f32 v66, v59, v4, -v66
	v_fmac_f32_e32 v5, v60, v4
	v_mul_f32_e32 v4, v60, v7
	s_delay_alu instid0(VALU_DEP_2) | instskip(SKIP_1) | instid1(VALU_DEP_3)
	v_dual_add_f32 v64, v64, v66 :: v_dual_add_f32 v65, v65, v5
	v_mul_f32_e32 v5, v59, v7
	v_fma_f32 v4, v59, v6, -v4
	s_delay_alu instid0(VALU_DEP_2) | instskip(NEXT) | instid1(VALU_DEP_2)
	v_fmac_f32_e32 v5, v60, v6
	v_add_f32_e32 v59, v68, v4
	s_delay_alu instid0(VALU_DEP_2) | instskip(SKIP_4) | instid1(VALU_DEP_2)
	v_add_f32_e32 v43, v43, v5
	ds_load_2addr_b64 v[4:7], v55 offset0:32 offset1:48
	s_wait_dscnt 0x0
	v_mul_f32_e32 v66, v2, v5
	v_mul_f32_e32 v60, v3, v5
	v_fmac_f32_e32 v66, v3, v4
	s_delay_alu instid0(VALU_DEP_2) | instskip(NEXT) | instid1(VALU_DEP_2)
	v_fma_f32 v60, v2, v4, -v60
	v_add_f32_e32 v63, v63, v66
	v_mul_f32_e32 v66, v3, v7
	s_delay_alu instid0(VALU_DEP_3) | instskip(SKIP_1) | instid1(VALU_DEP_3)
	v_add_f32_e32 v60, v69, v60
	v_add_f32_e32 v0, v67, v0
	v_fma_f32 v66, v2, v6, -v66
	v_mul_f32_e32 v2, v2, v7
	s_delay_alu instid0(VALU_DEP_2) | instskip(NEXT) | instid1(VALU_DEP_2)
	v_add_f32_e32 v66, v1, v66
	v_dual_fmac_f32 v2, v3, v6 :: v_dual_mul_f32 v1, v61, v5
	s_delay_alu instid0(VALU_DEP_1) | instskip(NEXT) | instid1(VALU_DEP_2)
	v_dual_add_f32 v67, v0, v2 :: v_dual_mul_f32 v0, v62, v5
	v_fmac_f32_e32 v1, v62, v4
	s_delay_alu instid0(VALU_DEP_2) | instskip(NEXT) | instid1(VALU_DEP_2)
	v_fma_f32 v0, v61, v4, -v0
	v_add_f32_e32 v65, v65, v1
	s_delay_alu instid0(VALU_DEP_2) | instskip(SKIP_1) | instid1(VALU_DEP_2)
	v_dual_mul_f32 v1, v61, v7 :: v_dual_add_f32 v64, v64, v0
	v_mul_f32_e32 v0, v62, v7
	v_fmac_f32_e32 v1, v62, v6
	s_delay_alu instid0(VALU_DEP_2) | instskip(NEXT) | instid1(VALU_DEP_2)
	v_fma_f32 v0, v61, v6, -v0
	v_add_f32_e32 v43, v43, v1
	s_delay_alu instid0(VALU_DEP_2)
	v_add_f32_e32 v68, v59, v0
	ds_load_b128 v[0:3], v50 offset:144
	ds_load_2addr_b64 v[4:7], v55 offset0:64 offset1:80
	s_wait_dscnt 0x0
	v_mul_f32_e32 v59, v1, v5
	v_mul_f32_e32 v61, v0, v5
	s_delay_alu instid0(VALU_DEP_2) | instskip(NEXT) | instid1(VALU_DEP_2)
	v_fma_f32 v59, v0, v4, -v59
	v_fmac_f32_e32 v61, v1, v4
	s_delay_alu instid0(VALU_DEP_2) | instskip(SKIP_1) | instid1(VALU_DEP_3)
	v_add_f32_e32 v69, v60, v59
	v_mul_f32_e32 v59, v1, v7
	v_add_f32_e32 v63, v63, v61
	s_delay_alu instid0(VALU_DEP_2) | instskip(SKIP_1) | instid1(VALU_DEP_1)
	v_fma_f32 v59, v0, v6, -v59
	v_mul_f32_e32 v0, v0, v7
	v_dual_fmac_f32 v0, v1, v6 :: v_dual_add_f32 v1, v66, v59
	ds_load_b128 v[59:62], v50 offset:4240
	v_add_f32_e32 v0, v67, v0
	s_wait_dscnt 0x0
	v_mul_f32_e32 v66, v60, v5
	v_mul_f32_e32 v5, v59, v5
	s_delay_alu instid0(VALU_DEP_2) | instskip(NEXT) | instid1(VALU_DEP_2)
	v_fma_f32 v66, v59, v4, -v66
	v_fmac_f32_e32 v5, v60, v4
	v_mul_f32_e32 v4, v60, v7
	s_delay_alu instid0(VALU_DEP_2) | instskip(SKIP_1) | instid1(VALU_DEP_3)
	v_dual_add_f32 v64, v64, v66 :: v_dual_add_f32 v65, v65, v5
	v_mul_f32_e32 v5, v59, v7
	v_fma_f32 v4, v59, v6, -v4
	s_delay_alu instid0(VALU_DEP_2) | instskip(NEXT) | instid1(VALU_DEP_2)
	v_fmac_f32_e32 v5, v60, v6
	v_add_f32_e32 v59, v68, v4
	s_delay_alu instid0(VALU_DEP_2) | instskip(SKIP_4) | instid1(VALU_DEP_2)
	v_add_f32_e32 v43, v43, v5
	ds_load_2addr_b64 v[4:7], v55 offset0:96 offset1:112
	s_wait_dscnt 0x0
	v_mul_f32_e32 v66, v2, v5
	v_mul_f32_e32 v60, v3, v5
	v_fmac_f32_e32 v66, v3, v4
	s_delay_alu instid0(VALU_DEP_2) | instskip(NEXT) | instid1(VALU_DEP_2)
	v_fma_f32 v60, v2, v4, -v60
	v_add_f32_e32 v63, v63, v66
	v_mul_f32_e32 v66, v3, v7
	s_delay_alu instid0(VALU_DEP_3) | instskip(NEXT) | instid1(VALU_DEP_2)
	v_add_f32_e32 v60, v69, v60
	v_fma_f32 v66, v2, v6, -v66
	v_mul_f32_e32 v2, v2, v7
	s_delay_alu instid0(VALU_DEP_2) | instskip(NEXT) | instid1(VALU_DEP_2)
	v_add_f32_e32 v66, v1, v66
	v_dual_fmac_f32 v2, v3, v6 :: v_dual_mul_f32 v1, v61, v5
	s_delay_alu instid0(VALU_DEP_1) | instskip(NEXT) | instid1(VALU_DEP_2)
	v_dual_add_f32 v67, v0, v2 :: v_dual_mul_f32 v0, v62, v5
	v_fmac_f32_e32 v1, v62, v4
	s_delay_alu instid0(VALU_DEP_2) | instskip(NEXT) | instid1(VALU_DEP_2)
	v_fma_f32 v0, v61, v4, -v0
	v_add_f32_e32 v65, v65, v1
	s_delay_alu instid0(VALU_DEP_2) | instskip(SKIP_1) | instid1(VALU_DEP_2)
	v_dual_mul_f32 v1, v61, v7 :: v_dual_add_f32 v64, v64, v0
	v_mul_f32_e32 v0, v62, v7
	v_fmac_f32_e32 v1, v62, v6
	s_delay_alu instid0(VALU_DEP_2) | instskip(NEXT) | instid1(VALU_DEP_2)
	v_fma_f32 v0, v61, v6, -v0
	v_add_f32_e32 v43, v43, v1
	s_delay_alu instid0(VALU_DEP_2)
	v_add_f32_e32 v68, v59, v0
	ds_load_b128 v[0:3], v50 offset:160
	ds_load_2addr_b64 v[4:7], v55 offset0:128 offset1:144
	s_wait_dscnt 0x0
	v_mul_f32_e32 v59, v1, v5
	v_mul_f32_e32 v61, v0, v5
	s_delay_alu instid0(VALU_DEP_2) | instskip(NEXT) | instid1(VALU_DEP_2)
	v_fma_f32 v59, v0, v4, -v59
	v_fmac_f32_e32 v61, v1, v4
	s_delay_alu instid0(VALU_DEP_2) | instskip(SKIP_1) | instid1(VALU_DEP_3)
	v_add_f32_e32 v69, v60, v59
	v_mul_f32_e32 v59, v1, v7
	v_add_f32_e32 v63, v63, v61
	s_delay_alu instid0(VALU_DEP_2) | instskip(SKIP_1) | instid1(VALU_DEP_1)
	v_fma_f32 v59, v0, v6, -v59
	v_mul_f32_e32 v0, v0, v7
	v_dual_fmac_f32 v0, v1, v6 :: v_dual_add_f32 v1, v66, v59
	ds_load_b128 v[59:62], v50 offset:4256
	v_add_f32_e32 v0, v67, v0
	s_wait_dscnt 0x0
	v_mul_f32_e32 v66, v60, v5
	v_mul_f32_e32 v5, v59, v5
	s_delay_alu instid0(VALU_DEP_2) | instskip(NEXT) | instid1(VALU_DEP_2)
	v_fma_f32 v66, v59, v4, -v66
	v_fmac_f32_e32 v5, v60, v4
	v_mul_f32_e32 v4, v60, v7
	s_delay_alu instid0(VALU_DEP_2) | instskip(SKIP_1) | instid1(VALU_DEP_3)
	v_dual_add_f32 v64, v64, v66 :: v_dual_add_f32 v65, v65, v5
	v_mul_f32_e32 v5, v59, v7
	v_fma_f32 v4, v59, v6, -v4
	s_delay_alu instid0(VALU_DEP_2) | instskip(NEXT) | instid1(VALU_DEP_2)
	v_fmac_f32_e32 v5, v60, v6
	v_add_f32_e32 v59, v68, v4
	s_delay_alu instid0(VALU_DEP_2) | instskip(SKIP_4) | instid1(VALU_DEP_2)
	v_add_f32_e32 v43, v43, v5
	ds_load_2addr_b64 v[4:7], v55 offset0:160 offset1:176
	s_wait_dscnt 0x0
	v_mul_f32_e32 v66, v2, v5
	v_mul_f32_e32 v60, v3, v5
	v_fmac_f32_e32 v66, v3, v4
	s_delay_alu instid0(VALU_DEP_2) | instskip(NEXT) | instid1(VALU_DEP_2)
	v_fma_f32 v60, v2, v4, -v60
	v_add_f32_e32 v63, v63, v66
	v_mul_f32_e32 v66, v3, v7
	s_delay_alu instid0(VALU_DEP_3) | instskip(NEXT) | instid1(VALU_DEP_2)
	v_add_f32_e32 v60, v69, v60
	v_fma_f32 v66, v2, v6, -v66
	v_mul_f32_e32 v2, v2, v7
	s_delay_alu instid0(VALU_DEP_2) | instskip(NEXT) | instid1(VALU_DEP_2)
	v_add_f32_e32 v66, v1, v66
	v_dual_fmac_f32 v2, v3, v6 :: v_dual_mul_f32 v1, v61, v5
	s_delay_alu instid0(VALU_DEP_1) | instskip(NEXT) | instid1(VALU_DEP_2)
	v_dual_add_f32 v67, v0, v2 :: v_dual_mul_f32 v0, v62, v5
	v_fmac_f32_e32 v1, v62, v4
	s_delay_alu instid0(VALU_DEP_2) | instskip(NEXT) | instid1(VALU_DEP_2)
	v_fma_f32 v0, v61, v4, -v0
	v_add_f32_e32 v65, v65, v1
	s_delay_alu instid0(VALU_DEP_2) | instskip(SKIP_1) | instid1(VALU_DEP_2)
	v_dual_mul_f32 v1, v61, v7 :: v_dual_add_f32 v64, v64, v0
	v_mul_f32_e32 v0, v62, v7
	v_fmac_f32_e32 v1, v62, v6
	s_delay_alu instid0(VALU_DEP_2) | instskip(NEXT) | instid1(VALU_DEP_2)
	v_fma_f32 v0, v61, v6, -v0
	v_add_f32_e32 v43, v43, v1
	s_delay_alu instid0(VALU_DEP_2)
	v_add_f32_e32 v68, v59, v0
	ds_load_b128 v[0:3], v50 offset:176
	ds_load_2addr_b64 v[4:7], v55 offset0:192 offset1:208
	s_wait_dscnt 0x0
	v_mul_f32_e32 v59, v1, v5
	v_mul_f32_e32 v61, v0, v5
	s_delay_alu instid0(VALU_DEP_2) | instskip(NEXT) | instid1(VALU_DEP_2)
	v_fma_f32 v59, v0, v4, -v59
	v_fmac_f32_e32 v61, v1, v4
	s_delay_alu instid0(VALU_DEP_2) | instskip(SKIP_1) | instid1(VALU_DEP_3)
	v_add_f32_e32 v69, v60, v59
	v_mul_f32_e32 v59, v1, v7
	v_add_f32_e32 v63, v63, v61
	s_delay_alu instid0(VALU_DEP_2) | instskip(SKIP_1) | instid1(VALU_DEP_1)
	v_fma_f32 v59, v0, v6, -v59
	v_mul_f32_e32 v0, v0, v7
	v_dual_fmac_f32 v0, v1, v6 :: v_dual_add_f32 v1, v66, v59
	ds_load_b128 v[59:62], v50 offset:4272
	v_add_f32_e32 v0, v67, v0
	s_wait_dscnt 0x0
	v_mul_f32_e32 v66, v60, v5
	v_mul_f32_e32 v5, v59, v5
	s_delay_alu instid0(VALU_DEP_2) | instskip(NEXT) | instid1(VALU_DEP_2)
	v_fma_f32 v66, v59, v4, -v66
	v_fmac_f32_e32 v5, v60, v4
	v_mul_f32_e32 v4, v60, v7
	s_delay_alu instid0(VALU_DEP_2) | instskip(SKIP_1) | instid1(VALU_DEP_3)
	v_dual_add_f32 v64, v64, v66 :: v_dual_add_f32 v65, v65, v5
	v_mul_f32_e32 v5, v59, v7
	v_fma_f32 v4, v59, v6, -v4
	s_delay_alu instid0(VALU_DEP_2) | instskip(NEXT) | instid1(VALU_DEP_2)
	v_fmac_f32_e32 v5, v60, v6
	v_add_f32_e32 v59, v68, v4
	s_delay_alu instid0(VALU_DEP_2) | instskip(SKIP_4) | instid1(VALU_DEP_2)
	v_add_f32_e32 v43, v43, v5
	ds_load_2addr_b64 v[4:7], v55 offset0:224 offset1:240
	s_wait_dscnt 0x0
	v_mul_f32_e32 v66, v2, v5
	v_mul_f32_e32 v60, v3, v5
	v_fmac_f32_e32 v66, v3, v4
	s_delay_alu instid0(VALU_DEP_2) | instskip(NEXT) | instid1(VALU_DEP_2)
	v_fma_f32 v60, v2, v4, -v60
	v_add_f32_e32 v63, v63, v66
	v_mul_f32_e32 v66, v3, v7
	s_delay_alu instid0(VALU_DEP_3) | instskip(NEXT) | instid1(VALU_DEP_2)
	v_add_f32_e32 v60, v69, v60
	v_fma_f32 v66, v2, v6, -v66
	v_mul_f32_e32 v2, v2, v7
	s_delay_alu instid0(VALU_DEP_2) | instskip(NEXT) | instid1(VALU_DEP_2)
	v_add_f32_e32 v66, v1, v66
	v_dual_fmac_f32 v2, v3, v6 :: v_dual_mul_f32 v1, v61, v5
	s_delay_alu instid0(VALU_DEP_1) | instskip(NEXT) | instid1(VALU_DEP_2)
	v_dual_add_f32 v67, v0, v2 :: v_dual_mul_f32 v0, v62, v5
	v_fmac_f32_e32 v1, v62, v4
	s_delay_alu instid0(VALU_DEP_2) | instskip(NEXT) | instid1(VALU_DEP_2)
	v_fma_f32 v0, v61, v4, -v0
	v_add_f32_e32 v65, v65, v1
	s_delay_alu instid0(VALU_DEP_2) | instskip(SKIP_1) | instid1(VALU_DEP_2)
	v_dual_mul_f32 v1, v61, v7 :: v_dual_add_f32 v64, v64, v0
	v_mul_f32_e32 v0, v62, v7
	v_fmac_f32_e32 v1, v62, v6
	s_delay_alu instid0(VALU_DEP_2) | instskip(NEXT) | instid1(VALU_DEP_2)
	v_fma_f32 v0, v61, v6, -v0
	v_add_f32_e32 v43, v43, v1
	s_delay_alu instid0(VALU_DEP_2)
	v_add_f32_e32 v68, v59, v0
	ds_load_b128 v[0:3], v50 offset:192
	ds_load_2addr_b64 v[4:7], v56 offset1:16
	s_wait_dscnt 0x0
	v_mul_f32_e32 v59, v1, v5
	v_mul_f32_e32 v61, v0, v5
	s_delay_alu instid0(VALU_DEP_2) | instskip(NEXT) | instid1(VALU_DEP_2)
	v_fma_f32 v59, v0, v4, -v59
	v_fmac_f32_e32 v61, v1, v4
	s_delay_alu instid0(VALU_DEP_2) | instskip(SKIP_1) | instid1(VALU_DEP_3)
	v_add_f32_e32 v69, v60, v59
	v_mul_f32_e32 v59, v1, v7
	v_add_f32_e32 v63, v63, v61
	s_delay_alu instid0(VALU_DEP_2) | instskip(SKIP_1) | instid1(VALU_DEP_1)
	v_fma_f32 v59, v0, v6, -v59
	v_mul_f32_e32 v0, v0, v7
	v_dual_fmac_f32 v0, v1, v6 :: v_dual_add_f32 v1, v66, v59
	ds_load_b128 v[59:62], v50 offset:4288
	v_add_f32_e32 v0, v67, v0
	s_wait_dscnt 0x0
	v_mul_f32_e32 v66, v60, v5
	v_mul_f32_e32 v5, v59, v5
	s_delay_alu instid0(VALU_DEP_2) | instskip(NEXT) | instid1(VALU_DEP_2)
	v_fma_f32 v66, v59, v4, -v66
	v_fmac_f32_e32 v5, v60, v4
	v_mul_f32_e32 v4, v60, v7
	s_delay_alu instid0(VALU_DEP_2) | instskip(SKIP_1) | instid1(VALU_DEP_3)
	v_dual_add_f32 v64, v64, v66 :: v_dual_add_f32 v65, v65, v5
	v_mul_f32_e32 v5, v59, v7
	v_fma_f32 v4, v59, v6, -v4
	s_delay_alu instid0(VALU_DEP_2) | instskip(NEXT) | instid1(VALU_DEP_2)
	v_fmac_f32_e32 v5, v60, v6
	v_add_f32_e32 v59, v68, v4
	s_delay_alu instid0(VALU_DEP_2) | instskip(SKIP_4) | instid1(VALU_DEP_2)
	v_add_f32_e32 v43, v43, v5
	ds_load_2addr_b64 v[4:7], v56 offset0:32 offset1:48
	s_wait_dscnt 0x0
	v_mul_f32_e32 v66, v2, v5
	v_mul_f32_e32 v60, v3, v5
	v_fmac_f32_e32 v66, v3, v4
	s_delay_alu instid0(VALU_DEP_2) | instskip(NEXT) | instid1(VALU_DEP_2)
	v_fma_f32 v60, v2, v4, -v60
	v_add_f32_e32 v63, v63, v66
	v_mul_f32_e32 v66, v3, v7
	s_delay_alu instid0(VALU_DEP_3) | instskip(NEXT) | instid1(VALU_DEP_2)
	v_add_f32_e32 v60, v69, v60
	v_fma_f32 v66, v2, v6, -v66
	v_mul_f32_e32 v2, v2, v7
	s_delay_alu instid0(VALU_DEP_2) | instskip(NEXT) | instid1(VALU_DEP_2)
	v_add_f32_e32 v66, v1, v66
	v_dual_fmac_f32 v2, v3, v6 :: v_dual_mul_f32 v1, v61, v5
	s_delay_alu instid0(VALU_DEP_1) | instskip(NEXT) | instid1(VALU_DEP_2)
	v_dual_add_f32 v67, v0, v2 :: v_dual_mul_f32 v0, v62, v5
	v_fmac_f32_e32 v1, v62, v4
	s_delay_alu instid0(VALU_DEP_2) | instskip(NEXT) | instid1(VALU_DEP_2)
	v_fma_f32 v0, v61, v4, -v0
	v_add_f32_e32 v65, v65, v1
	s_delay_alu instid0(VALU_DEP_2) | instskip(SKIP_1) | instid1(VALU_DEP_2)
	v_dual_mul_f32 v1, v61, v7 :: v_dual_add_f32 v64, v64, v0
	v_mul_f32_e32 v0, v62, v7
	v_fmac_f32_e32 v1, v62, v6
	s_delay_alu instid0(VALU_DEP_2) | instskip(NEXT) | instid1(VALU_DEP_2)
	v_fma_f32 v0, v61, v6, -v0
	v_add_f32_e32 v43, v43, v1
	s_delay_alu instid0(VALU_DEP_2)
	v_add_f32_e32 v68, v59, v0
	ds_load_b128 v[0:3], v50 offset:208
	ds_load_2addr_b64 v[4:7], v56 offset0:64 offset1:80
	s_wait_dscnt 0x0
	v_mul_f32_e32 v59, v1, v5
	v_mul_f32_e32 v61, v0, v5
	s_delay_alu instid0(VALU_DEP_2) | instskip(NEXT) | instid1(VALU_DEP_2)
	v_fma_f32 v59, v0, v4, -v59
	v_fmac_f32_e32 v61, v1, v4
	s_delay_alu instid0(VALU_DEP_2) | instskip(SKIP_1) | instid1(VALU_DEP_3)
	v_add_f32_e32 v69, v60, v59
	v_mul_f32_e32 v59, v1, v7
	v_add_f32_e32 v63, v63, v61
	s_delay_alu instid0(VALU_DEP_2) | instskip(SKIP_1) | instid1(VALU_DEP_1)
	v_fma_f32 v59, v0, v6, -v59
	v_mul_f32_e32 v0, v0, v7
	v_dual_fmac_f32 v0, v1, v6 :: v_dual_add_f32 v1, v66, v59
	ds_load_b128 v[59:62], v50 offset:4304
	v_add_f32_e32 v0, v67, v0
	s_wait_dscnt 0x0
	v_mul_f32_e32 v66, v60, v5
	v_mul_f32_e32 v5, v59, v5
	s_delay_alu instid0(VALU_DEP_2) | instskip(NEXT) | instid1(VALU_DEP_2)
	v_fma_f32 v66, v59, v4, -v66
	v_fmac_f32_e32 v5, v60, v4
	v_mul_f32_e32 v4, v60, v7
	s_delay_alu instid0(VALU_DEP_2) | instskip(SKIP_1) | instid1(VALU_DEP_3)
	v_dual_add_f32 v64, v64, v66 :: v_dual_add_f32 v65, v65, v5
	v_mul_f32_e32 v5, v59, v7
	v_fma_f32 v4, v59, v6, -v4
	s_delay_alu instid0(VALU_DEP_2) | instskip(NEXT) | instid1(VALU_DEP_2)
	v_fmac_f32_e32 v5, v60, v6
	v_add_f32_e32 v59, v68, v4
	s_delay_alu instid0(VALU_DEP_2) | instskip(SKIP_4) | instid1(VALU_DEP_2)
	v_add_f32_e32 v43, v43, v5
	ds_load_2addr_b64 v[4:7], v56 offset0:96 offset1:112
	s_wait_dscnt 0x0
	v_mul_f32_e32 v66, v2, v5
	v_mul_f32_e32 v60, v3, v5
	v_fmac_f32_e32 v66, v3, v4
	s_delay_alu instid0(VALU_DEP_2) | instskip(NEXT) | instid1(VALU_DEP_2)
	v_fma_f32 v60, v2, v4, -v60
	v_add_f32_e32 v63, v63, v66
	v_mul_f32_e32 v66, v3, v7
	s_delay_alu instid0(VALU_DEP_3) | instskip(NEXT) | instid1(VALU_DEP_2)
	v_add_f32_e32 v60, v69, v60
	v_fma_f32 v66, v2, v6, -v66
	v_mul_f32_e32 v2, v2, v7
	s_delay_alu instid0(VALU_DEP_2) | instskip(NEXT) | instid1(VALU_DEP_2)
	v_add_f32_e32 v66, v1, v66
	v_dual_fmac_f32 v2, v3, v6 :: v_dual_mul_f32 v1, v61, v5
	s_delay_alu instid0(VALU_DEP_1) | instskip(NEXT) | instid1(VALU_DEP_2)
	v_dual_add_f32 v67, v0, v2 :: v_dual_mul_f32 v0, v62, v5
	v_fmac_f32_e32 v1, v62, v4
	s_delay_alu instid0(VALU_DEP_2) | instskip(NEXT) | instid1(VALU_DEP_2)
	v_fma_f32 v0, v61, v4, -v0
	v_add_f32_e32 v65, v65, v1
	s_delay_alu instid0(VALU_DEP_2) | instskip(SKIP_1) | instid1(VALU_DEP_2)
	v_dual_mul_f32 v1, v61, v7 :: v_dual_add_f32 v64, v64, v0
	v_mul_f32_e32 v0, v62, v7
	v_fmac_f32_e32 v1, v62, v6
	s_delay_alu instid0(VALU_DEP_2) | instskip(NEXT) | instid1(VALU_DEP_2)
	v_fma_f32 v0, v61, v6, -v0
	v_add_f32_e32 v43, v43, v1
	s_delay_alu instid0(VALU_DEP_2)
	v_add_f32_e32 v68, v59, v0
	ds_load_b128 v[0:3], v50 offset:224
	ds_load_2addr_b64 v[4:7], v56 offset0:128 offset1:144
	s_wait_dscnt 0x0
	v_mul_f32_e32 v59, v1, v5
	v_mul_f32_e32 v61, v0, v5
	s_delay_alu instid0(VALU_DEP_2) | instskip(NEXT) | instid1(VALU_DEP_2)
	v_fma_f32 v59, v0, v4, -v59
	v_fmac_f32_e32 v61, v1, v4
	s_delay_alu instid0(VALU_DEP_2) | instskip(SKIP_1) | instid1(VALU_DEP_3)
	v_add_f32_e32 v69, v60, v59
	v_mul_f32_e32 v59, v1, v7
	v_add_f32_e32 v63, v63, v61
	s_delay_alu instid0(VALU_DEP_2) | instskip(SKIP_1) | instid1(VALU_DEP_1)
	v_fma_f32 v59, v0, v6, -v59
	v_mul_f32_e32 v0, v0, v7
	v_dual_fmac_f32 v0, v1, v6 :: v_dual_add_f32 v1, v66, v59
	ds_load_b128 v[59:62], v50 offset:4320
	v_add_f32_e32 v0, v67, v0
	s_wait_dscnt 0x0
	v_mul_f32_e32 v66, v60, v5
	v_mul_f32_e32 v5, v59, v5
	s_delay_alu instid0(VALU_DEP_2) | instskip(NEXT) | instid1(VALU_DEP_2)
	v_fma_f32 v66, v59, v4, -v66
	v_fmac_f32_e32 v5, v60, v4
	v_mul_f32_e32 v4, v60, v7
	s_delay_alu instid0(VALU_DEP_2) | instskip(SKIP_1) | instid1(VALU_DEP_3)
	v_dual_add_f32 v64, v64, v66 :: v_dual_add_f32 v65, v65, v5
	v_mul_f32_e32 v5, v59, v7
	v_fma_f32 v4, v59, v6, -v4
	s_delay_alu instid0(VALU_DEP_2) | instskip(NEXT) | instid1(VALU_DEP_2)
	v_fmac_f32_e32 v5, v60, v6
	v_add_f32_e32 v59, v68, v4
	s_delay_alu instid0(VALU_DEP_2) | instskip(SKIP_4) | instid1(VALU_DEP_2)
	v_add_f32_e32 v43, v43, v5
	ds_load_2addr_b64 v[4:7], v56 offset0:160 offset1:176
	s_wait_dscnt 0x0
	v_mul_f32_e32 v66, v2, v5
	v_mul_f32_e32 v60, v3, v5
	v_fmac_f32_e32 v66, v3, v4
	s_delay_alu instid0(VALU_DEP_2) | instskip(NEXT) | instid1(VALU_DEP_2)
	v_fma_f32 v60, v2, v4, -v60
	v_add_f32_e32 v63, v63, v66
	v_mul_f32_e32 v66, v3, v7
	s_delay_alu instid0(VALU_DEP_3) | instskip(NEXT) | instid1(VALU_DEP_2)
	v_add_f32_e32 v60, v69, v60
	v_fma_f32 v66, v2, v6, -v66
	v_mul_f32_e32 v2, v2, v7
	s_delay_alu instid0(VALU_DEP_2) | instskip(NEXT) | instid1(VALU_DEP_2)
	v_add_f32_e32 v66, v1, v66
	v_dual_fmac_f32 v2, v3, v6 :: v_dual_mul_f32 v1, v61, v5
	s_delay_alu instid0(VALU_DEP_1) | instskip(NEXT) | instid1(VALU_DEP_2)
	v_dual_add_f32 v67, v0, v2 :: v_dual_mul_f32 v0, v62, v5
	v_fmac_f32_e32 v1, v62, v4
	s_delay_alu instid0(VALU_DEP_2) | instskip(NEXT) | instid1(VALU_DEP_2)
	v_fma_f32 v0, v61, v4, -v0
	v_add_f32_e32 v69, v65, v1
	s_delay_alu instid0(VALU_DEP_2) | instskip(SKIP_1) | instid1(VALU_DEP_2)
	v_dual_mul_f32 v1, v61, v7 :: v_dual_add_f32 v68, v64, v0
	v_mul_f32_e32 v0, v62, v7
	v_fmac_f32_e32 v1, v62, v6
	s_delay_alu instid0(VALU_DEP_2) | instskip(NEXT) | instid1(VALU_DEP_2)
	v_fma_f32 v0, v61, v6, -v0
	v_add_f32_e32 v43, v43, v1
	s_delay_alu instid0(VALU_DEP_2)
	v_add_f32_e32 v59, v59, v0
	ds_load_b128 v[0:3], v50 offset:240
	ds_load_2addr_b64 v[4:7], v56 offset0:192 offset1:208
	s_wait_dscnt 0x0
	v_mul_f32_e32 v61, v1, v5
	v_mul_f32_e32 v62, v0, v5
	s_delay_alu instid0(VALU_DEP_2) | instskip(NEXT) | instid1(VALU_DEP_2)
	v_fma_f32 v61, v0, v4, -v61
	v_fmac_f32_e32 v62, v1, v4
	s_delay_alu instid0(VALU_DEP_1) | instskip(SKIP_1) | instid1(VALU_DEP_1)
	v_dual_add_f32 v60, v60, v61 :: v_dual_add_f32 v61, v63, v62
	v_mul_f32_e32 v62, v1, v7
	v_fma_f32 v62, v0, v6, -v62
	v_mul_f32_e32 v0, v0, v7
	s_delay_alu instid0(VALU_DEP_1) | instskip(NEXT) | instid1(VALU_DEP_1)
	v_fmac_f32_e32 v0, v1, v6
	v_dual_add_f32 v1, v66, v62 :: v_dual_add_f32 v0, v67, v0
	ds_load_b128 v[64:67], v50 offset:4336
	s_wait_dscnt 0x0
	v_mul_f32_e32 v62, v65, v5
	v_mul_f32_e32 v5, v64, v5
	s_delay_alu instid0(VALU_DEP_2) | instskip(NEXT) | instid1(VALU_DEP_2)
	v_fma_f32 v62, v64, v4, -v62
	v_fmac_f32_e32 v5, v65, v4
	v_mul_f32_e32 v4, v65, v7
	s_delay_alu instid0(VALU_DEP_2) | instskip(SKIP_1) | instid1(VALU_DEP_3)
	v_dual_add_f32 v68, v68, v62 :: v_dual_add_f32 v69, v69, v5
	v_mul_f32_e32 v5, v64, v7
	v_fma_f32 v4, v64, v6, -v4
	s_delay_alu instid0(VALU_DEP_2) | instskip(NEXT) | instid1(VALU_DEP_2)
	v_fmac_f32_e32 v5, v65, v6
	v_add_f32_e32 v59, v59, v4
	s_delay_alu instid0(VALU_DEP_2)
	v_add_f32_e32 v43, v43, v5
	ds_load_2addr_b64 v[4:7], v56 offset0:224 offset1:240
	s_wait_loadcnt_dscnt 0x0
	s_barrier_signal -1
	s_barrier_wait -1
	global_inv scope:SCOPE_SE
	v_mul_f32_e32 v62, v3, v5
	v_mul_f32_e32 v63, v2, v5
	s_delay_alu instid0(VALU_DEP_2) | instskip(NEXT) | instid1(VALU_DEP_1)
	v_fma_f32 v62, v2, v4, -v62
	v_dual_fmac_f32 v63, v3, v4 :: v_dual_add_f32 v64, v60, v62
	v_mul_f32_e32 v60, v3, v7
	s_delay_alu instid0(VALU_DEP_2) | instskip(NEXT) | instid1(VALU_DEP_2)
	v_add_f32_e32 v65, v61, v63
	v_fma_f32 v60, v2, v6, -v60
	v_mul_f32_e32 v2, v2, v7
	s_delay_alu instid0(VALU_DEP_2) | instskip(NEXT) | instid1(VALU_DEP_2)
	v_add_f32_e32 v62, v1, v60
	v_dual_fmac_f32 v2, v3, v6 :: v_dual_mul_f32 v1, v66, v5
	s_delay_alu instid0(VALU_DEP_1) | instskip(NEXT) | instid1(VALU_DEP_2)
	v_dual_add_f32 v63, v0, v2 :: v_dual_mul_f32 v0, v67, v5
	v_fmac_f32_e32 v1, v67, v4
	s_delay_alu instid0(VALU_DEP_2) | instskip(NEXT) | instid1(VALU_DEP_2)
	v_fma_f32 v0, v66, v4, -v0
	v_dual_add_f32 v60, v69, v1 :: v_dual_mul_f32 v1, v66, v7
	s_delay_alu instid0(VALU_DEP_2) | instskip(NEXT) | instid1(VALU_DEP_2)
	v_dual_add_f32 v61, v68, v0 :: v_dual_mul_f32 v0, v67, v7
	v_fmac_f32_e32 v1, v67, v6
	s_delay_alu instid0(VALU_DEP_2) | instskip(NEXT) | instid1(VALU_DEP_2)
	v_fma_f32 v0, v66, v6, -v0
	v_add_f32_e32 v43, v43, v1
	s_delay_alu instid0(VALU_DEP_2)
	v_add_f32_e32 v59, v59, v0
	s_cbranch_scc1 .LBB81_59
.LBB81_10:                              ;   Parent Loop BB81_4 Depth=1
                                        ;     Parent Loop BB81_7 Depth=2
                                        ; =>    This Inner Loop Header: Depth=3
	s_wait_alu 0xfffe
	v_add_co_u32 v2, s5, v8, s42
	s_wait_alu 0xf1ff
	v_add_co_ci_u32_e64 v3, null, s43, v9, s5
	v_cmp_eq_u64_e64 s7, s[42:43], v[18:19]
	s_delay_alu instid0(VALU_DEP_2)
	v_cmp_le_i64_e64 s6, s[40:41], v[2:3]
	v_cmp_lt_i64_e64 s5, v[2:3], v[10:11]
	s_and_b32 s54, s49, s7
	v_add_co_u32 v0, s7, v36, s28
	s_wait_alu 0xf1ff
	v_add_co_ci_u32_e64 v1, null, s29, v37, s7
	s_or_b32 s8, s6, s5
	s_wait_alu 0xfffe
	s_or_b32 s7, s8, s54
	s_wait_alu 0xfffe
	s_nor_b32 s7, s0, s7
	s_wait_alu 0xfffe
	s_and_saveexec_b32 s8, s7
	s_wait_alu 0xfffe
	s_xor_b32 s7, exec_lo, s8
	s_cbranch_execz .LBB81_12
; %bb.11:                               ;   in Loop: Header=BB81_10 Depth=3
	global_load_b64 v[4:5], v[0:1], off
	s_wait_loadcnt 0x0
	v_xor_b32_e32 v5, 0x80000000, v5
	ds_store_b64 v51, v[4:5]
.LBB81_12:                              ;   in Loop: Header=BB81_10 Depth=3
	s_wait_alu 0xfffe
	s_or_saveexec_b32 s7, s7
	s_xor_b32 s53, s54, -1
	s_wait_alu 0xfffe
	s_xor_b32 exec_lo, exec_lo, s7
	s_cbranch_execz .LBB81_18
; %bb.13:                               ;   in Loop: Header=BB81_10 Depth=3
	s_and_saveexec_b32 s8, s53
	s_wait_alu 0xfffe
	s_xor_b32 s8, exec_lo, s8
; %bb.14:                               ;   in Loop: Header=BB81_10 Depth=3
	v_dual_mov_b32 v4, v33 :: v_dual_mov_b32 v5, v33
	ds_store_b64 v51, v[4:5]
; %bb.15:                               ;   in Loop: Header=BB81_10 Depth=3
	s_wait_alu 0xfffe
	s_and_not1_saveexec_b32 s8, s8
; %bb.16:                               ;   in Loop: Header=BB81_10 Depth=3
	ds_store_b64 v51, v[32:33]
; %bb.17:                               ;   in Loop: Header=BB81_10 Depth=3
	s_wait_alu 0xfffe
	s_or_b32 exec_lo, exec_lo, s8
.LBB81_18:                              ;   in Loop: Header=BB81_10 Depth=3
	s_delay_alu instid0(SALU_CYCLE_1)
	s_or_b32 exec_lo, exec_lo, s7
	v_cmp_eq_u64_e64 s7, s[42:43], v[20:21]
	v_cmp_gt_i64_e64 s8, v[14:15], v[2:3]
	s_and_b32 s7, s49, s7
	s_or_b32 s6, s6, s8
	s_wait_alu 0xfffe
	s_or_b32 s6, s6, s7
	s_wait_alu 0xfffe
	s_nor_b32 s6, s3, s6
	s_wait_alu 0xfffe
	s_and_saveexec_b32 s8, s6
	s_wait_alu 0xfffe
	s_xor_b32 s8, exec_lo, s8
	s_cbranch_execz .LBB81_20
; %bb.19:                               ;   in Loop: Header=BB81_10 Depth=3
	v_add_co_u32 v4, s6, v34, s28
	s_wait_alu 0xf1ff
	v_add_co_ci_u32_e64 v5, null, s29, v35, s6
	global_load_b64 v[4:5], v[4:5], off
	s_wait_loadcnt 0x0
	v_xor_b32_e32 v5, 0x80000000, v5
	ds_store_b64 v51, v[4:5] offset:128
.LBB81_20:                              ;   in Loop: Header=BB81_10 Depth=3
	s_wait_alu 0xfffe
	s_and_not1_saveexec_b32 s6, s8
	s_cbranch_execz .LBB81_26
; %bb.21:                               ;   in Loop: Header=BB81_10 Depth=3
	s_xor_b32 s7, s7, -1
	s_wait_alu 0xfffe
	s_and_saveexec_b32 s8, s7
	s_wait_alu 0xfffe
	s_xor_b32 s7, exec_lo, s8
; %bb.22:                               ;   in Loop: Header=BB81_10 Depth=3
	v_dual_mov_b32 v4, v33 :: v_dual_mov_b32 v5, v33
	ds_store_b64 v51, v[4:5] offset:128
; %bb.23:                               ;   in Loop: Header=BB81_10 Depth=3
	s_wait_alu 0xfffe
	s_and_not1_saveexec_b32 s7, s7
; %bb.24:                               ;   in Loop: Header=BB81_10 Depth=3
	ds_store_b64 v51, v[32:33] offset:128
; %bb.25:                               ;   in Loop: Header=BB81_10 Depth=3
	s_wait_alu 0xfffe
	s_or_b32 exec_lo, exec_lo, s7
.LBB81_26:                              ;   in Loop: Header=BB81_10 Depth=3
	s_wait_alu 0xfffe
	s_or_b32 exec_lo, exec_lo, s6
	v_add_co_u32 v2, s6, v2, 16
	s_wait_alu 0xf1ff
	v_add_co_ci_u32_e64 v3, null, 0, v3, s6
	v_cmp_eq_u64_e64 s7, s[42:43], v[22:23]
	s_delay_alu instid0(VALU_DEP_2)
	v_cmp_le_i64_e64 s6, s[40:41], v[2:3]
	v_cmp_lt_i64_e64 s8, v[2:3], v[10:11]
	s_and_b32 s55, s49, s7
	s_or_b32 s7, s6, s8
	s_wait_alu 0xfffe
	s_or_b32 s7, s7, s55
	s_wait_alu 0xfffe
	s_nor_b32 s7, s0, s7
	s_wait_alu 0xfffe
	s_and_saveexec_b32 s8, s7
	s_wait_alu 0xfffe
	s_xor_b32 s7, exec_lo, s8
	s_cbranch_execz .LBB81_28
; %bb.27:                               ;   in Loop: Header=BB81_10 Depth=3
	global_load_b64 v[0:1], v[0:1], off offset:128
	s_wait_loadcnt 0x0
	v_xor_b32_e32 v1, 0x80000000, v1
	ds_store_b64 v51, v[0:1] offset:4096
.LBB81_28:                              ;   in Loop: Header=BB81_10 Depth=3
	s_wait_alu 0xfffe
	s_and_not1_saveexec_b32 s7, s7
	s_cbranch_execz .LBB81_34
; %bb.29:                               ;   in Loop: Header=BB81_10 Depth=3
	s_xor_b32 s8, s55, -1
	s_wait_alu 0xfffe
	s_and_saveexec_b32 s55, s8
	s_delay_alu instid0(SALU_CYCLE_1)
	s_xor_b32 s8, exec_lo, s55
; %bb.30:                               ;   in Loop: Header=BB81_10 Depth=3
	v_dual_mov_b32 v0, v33 :: v_dual_mov_b32 v1, v33
	ds_store_b64 v51, v[0:1] offset:4096
; %bb.31:                               ;   in Loop: Header=BB81_10 Depth=3
	s_wait_alu 0xfffe
	s_and_not1_saveexec_b32 s8, s8
; %bb.32:                               ;   in Loop: Header=BB81_10 Depth=3
	ds_store_b64 v51, v[32:33] offset:4096
; %bb.33:                               ;   in Loop: Header=BB81_10 Depth=3
	s_wait_alu 0xfffe
	s_or_b32 exec_lo, exec_lo, s8
.LBB81_34:                              ;   in Loop: Header=BB81_10 Depth=3
	s_wait_alu 0xfffe
	s_or_b32 exec_lo, exec_lo, s7
	s_or_b32 s5, s6, s5
	s_wait_alu 0xfffe
	s_or_b32 s5, s5, s54
	s_wait_alu 0xfffe
	s_nor_b32 s5, s3, s5
	s_wait_alu 0xfffe
	s_and_saveexec_b32 s6, s5
	s_wait_alu 0xfffe
	s_xor_b32 s6, exec_lo, s6
	s_cbranch_execz .LBB81_36
; %bb.35:                               ;   in Loop: Header=BB81_10 Depth=3
	v_add_co_u32 v0, s5, v34, s28
	s_wait_alu 0xf1ff
	v_add_co_ci_u32_e64 v1, null, s29, v35, s5
	global_load_b64 v[0:1], v[0:1], off offset:128
	s_wait_loadcnt 0x0
	v_xor_b32_e32 v1, 0x80000000, v1
	ds_store_b64 v51, v[0:1] offset:4224
.LBB81_36:                              ;   in Loop: Header=BB81_10 Depth=3
	s_wait_alu 0xfffe
	s_and_not1_saveexec_b32 s5, s6
	s_cbranch_execz .LBB81_42
; %bb.37:                               ;   in Loop: Header=BB81_10 Depth=3
	s_and_saveexec_b32 s6, s53
	s_wait_alu 0xfffe
	s_xor_b32 s6, exec_lo, s6
; %bb.38:                               ;   in Loop: Header=BB81_10 Depth=3
	v_dual_mov_b32 v0, v33 :: v_dual_mov_b32 v1, v33
	ds_store_b64 v51, v[0:1] offset:4224
; %bb.39:                               ;   in Loop: Header=BB81_10 Depth=3
	s_wait_alu 0xfffe
	s_and_not1_saveexec_b32 s6, s6
; %bb.40:                               ;   in Loop: Header=BB81_10 Depth=3
	ds_store_b64 v51, v[32:33] offset:4224
; %bb.41:                               ;   in Loop: Header=BB81_10 Depth=3
	s_wait_alu 0xfffe
	s_or_b32 exec_lo, exec_lo, s6
.LBB81_42:                              ;   in Loop: Header=BB81_10 Depth=3
	s_wait_alu 0xfffe
	s_or_b32 exec_lo, exec_lo, s5
	v_add_co_u32 v0, s5, v10, s42
	s_wait_alu 0xf1ff
	v_add_co_ci_u32_e64 v1, null, s43, v11, s5
	s_delay_alu instid0(VALU_DEP_1)
	v_cmp_gt_i64_e64 s5, s[40:41], v[0:1]
	s_and_b32 s6, vcc_lo, s5
	s_wait_alu 0xfffe
	s_xor_b32 s6, s6, -1
	s_wait_alu 0xfffe
	s_and_saveexec_b32 s7, s6
	s_wait_alu 0xfffe
	s_xor_b32 s6, exec_lo, s7
; %bb.43:                               ;   in Loop: Header=BB81_10 Depth=3
	v_dual_mov_b32 v2, v33 :: v_dual_mov_b32 v3, v33
	ds_store_b64 v52, v[2:3]
; %bb.44:                               ;   in Loop: Header=BB81_10 Depth=3
	s_wait_alu 0xfffe
	s_or_saveexec_b32 s7, s6
	v_add_co_u32 v2, s6, v44, s28
	s_wait_alu 0xf1ff
	v_add_co_ci_u32_e64 v3, null, s29, v45, s6
	s_wait_alu 0xfffe
	s_xor_b32 exec_lo, exec_lo, s7
	s_cbranch_execz .LBB81_46
; %bb.45:                               ;   in Loop: Header=BB81_10 Depth=3
	global_load_b64 v[4:5], v[2:3], off offset:-128
	s_wait_loadcnt 0x0
	ds_store_b64 v52, v[4:5]
.LBB81_46:                              ;   in Loop: Header=BB81_10 Depth=3
	s_or_b32 exec_lo, exec_lo, s7
	v_cmp_gt_i64_e64 s6, s[22:23], v[0:1]
	s_and_b32 s7, vcc_lo, s6
	s_wait_alu 0xfffe
	s_xor_b32 s7, s7, -1
	s_wait_alu 0xfffe
	s_and_saveexec_b32 s8, s7
	s_wait_alu 0xfffe
	s_xor_b32 s7, exec_lo, s8
; %bb.47:                               ;   in Loop: Header=BB81_10 Depth=3
	v_dual_mov_b32 v0, v33 :: v_dual_mov_b32 v1, v33
                                        ; implicit-def: $vgpr2_vgpr3
	ds_store_b64 v52, v[0:1] offset:128
; %bb.48:                               ;   in Loop: Header=BB81_10 Depth=3
	s_wait_alu 0xfffe
	s_and_not1_saveexec_b32 s7, s7
	s_cbranch_execz .LBB81_50
; %bb.49:                               ;   in Loop: Header=BB81_10 Depth=3
	global_load_b64 v[0:1], v[2:3], off
	s_wait_loadcnt 0x0
	ds_store_b64 v52, v[0:1] offset:128
.LBB81_50:                              ;   in Loop: Header=BB81_10 Depth=3
	s_wait_alu 0xfffe
	s_or_b32 exec_lo, exec_lo, s7
	s_and_b32 s5, s4, s5
	s_wait_alu 0xfffe
	s_xor_b32 s5, s5, -1
	s_wait_alu 0xfffe
	s_and_saveexec_b32 s7, s5
	s_wait_alu 0xfffe
	s_xor_b32 s5, exec_lo, s7
; %bb.51:                               ;   in Loop: Header=BB81_10 Depth=3
	v_dual_mov_b32 v0, v33 :: v_dual_mov_b32 v1, v33
	ds_store_b64 v52, v[0:1] offset:4096
; %bb.52:                               ;   in Loop: Header=BB81_10 Depth=3
	s_wait_alu 0xfffe
	s_or_saveexec_b32 s7, s5
	v_add_co_u32 v0, s5, v46, s28
	s_wait_alu 0xf1ff
	v_add_co_ci_u32_e64 v1, null, s29, v47, s5
	s_wait_alu 0xfffe
	s_xor_b32 exec_lo, exec_lo, s7
	s_cbranch_execz .LBB81_54
; %bb.53:                               ;   in Loop: Header=BB81_10 Depth=3
	global_load_b64 v[2:3], v[0:1], off
	s_wait_loadcnt 0x0
	ds_store_b64 v52, v[2:3] offset:4096
.LBB81_54:                              ;   in Loop: Header=BB81_10 Depth=3
	s_or_b32 exec_lo, exec_lo, s7
	s_and_b32 s5, s4, s6
	s_wait_alu 0xfffe
	s_xor_b32 s5, s5, -1
	s_wait_alu 0xfffe
	s_and_saveexec_b32 s6, s5
	s_wait_alu 0xfffe
	s_xor_b32 s5, exec_lo, s6
; %bb.55:                               ;   in Loop: Header=BB81_10 Depth=3
	v_dual_mov_b32 v0, v33 :: v_dual_mov_b32 v1, v33
	ds_store_b64 v52, v[0:1] offset:4224
                                        ; implicit-def: $vgpr0_vgpr1
; %bb.56:                               ;   in Loop: Header=BB81_10 Depth=3
	s_wait_alu 0xfffe
	s_and_not1_saveexec_b32 s5, s5
	s_cbranch_execz .LBB81_9
; %bb.57:                               ;   in Loop: Header=BB81_10 Depth=3
	global_load_b64 v[0:1], v[0:1], off offset:128
	s_wait_loadcnt 0x0
	ds_store_b64 v52, v[0:1] offset:4224
	s_branch .LBB81_9
.LBB81_58:                              ;   in Loop: Header=BB81_7 Depth=2
	v_dual_mov_b32 v64, 0 :: v_dual_mov_b32 v65, 0
	v_dual_mov_b32 v62, 0 :: v_dual_mov_b32 v63, 0
	;; [unrolled: 1-line block ×3, first 2 shown]
	v_mov_b32_e32 v59, 0
	v_mov_b32_e32 v43, 0
.LBB81_59:                              ;   in Loop: Header=BB81_7 Depth=2
	v_mul_lo_u32 v2, s25, v57
	v_mul_lo_u32 v3, s24, v58
	v_mad_co_u64_u32 v[0:1], null, s24, v57, 0
	v_cmp_gt_i32_e32 vcc_lo, s30, v57
	s_delay_alu instid0(VALU_DEP_2) | instskip(NEXT) | instid1(VALU_DEP_1)
	v_add3_u32 v1, v1, v3, v2
	v_lshlrev_b64_e32 v[0:1], 3, v[0:1]
	s_delay_alu instid0(VALU_DEP_1) | instskip(SKIP_1) | instid1(VALU_DEP_2)
	v_add_co_u32 v0, s4, s18, v0
	s_wait_alu 0xf1ff
	v_add_co_ci_u32_e64 v1, null, s19, v1, s4
	s_and_b32 s4, s1, vcc_lo
	s_wait_alu 0xfffe
	s_and_saveexec_b32 s5, s4
	s_cbranch_execz .LBB81_61
; %bb.60:                               ;   in Loop: Header=BB81_7 Depth=2
	v_add_co_u32 v2, s4, v0, v16
	s_wait_alu 0xf1ff
	v_add_co_ci_u32_e64 v3, null, v1, v17, s4
	global_load_b64 v[4:5], v[2:3], off
	v_mul_f32_e32 v7, s36, v65
	s_delay_alu instid0(VALU_DEP_1) | instskip(NEXT) | instid1(VALU_DEP_1)
	v_dual_mul_f32 v6, s37, v65 :: v_dual_fmac_f32 v7, s37, v64
	v_fma_f32 v6, v64, s36, -v6
	s_wait_loadcnt 0x0
	s_delay_alu instid0(VALU_DEP_1)
	v_dual_add_f32 v4, v4, v6 :: v_dual_add_f32 v5, v7, v5
	global_store_b64 v[2:3], v[4:5], off
.LBB81_61:                              ;   in Loop: Header=BB81_7 Depth=2
	s_wait_alu 0xfffe
	s_or_b32 exec_lo, exec_lo, s5
	s_and_b32 s5, s2, vcc_lo
	s_wait_alu 0xfffe
	s_and_saveexec_b32 s4, s5
	s_cbranch_execz .LBB81_63
; %bb.62:                               ;   in Loop: Header=BB81_7 Depth=2
	v_lshlrev_b64_e32 v[2:3], 3, v[12:13]
	s_delay_alu instid0(VALU_DEP_1) | instskip(SKIP_1) | instid1(VALU_DEP_2)
	v_add_co_u32 v0, vcc_lo, v0, v2
	s_wait_alu 0xfffd
	v_add_co_ci_u32_e64 v1, null, v1, v3, vcc_lo
	global_load_b64 v[2:3], v[0:1], off
	v_mul_f32_e32 v5, s36, v63
	s_delay_alu instid0(VALU_DEP_1) | instskip(NEXT) | instid1(VALU_DEP_1)
	v_dual_mul_f32 v4, s37, v63 :: v_dual_fmac_f32 v5, s37, v62
	v_fma_f32 v4, v62, s36, -v4
	s_wait_loadcnt 0x0
	s_delay_alu instid0(VALU_DEP_1)
	v_dual_add_f32 v2, v2, v4 :: v_dual_add_f32 v3, v5, v3
	global_store_b64 v[0:1], v[2:3], off
.LBB81_63:                              ;   in Loop: Header=BB81_7 Depth=2
	s_wait_alu 0xfffe
	s_or_b32 exec_lo, exec_lo, s4
	v_add_nc_u32_e32 v2, 16, v57
	s_delay_alu instid0(VALU_DEP_1) | instskip(SKIP_3) | instid1(VALU_DEP_4)
	v_ashrrev_i32_e32 v3, 31, v2
	v_mul_lo_u32 v4, s25, v2
	v_mad_co_u64_u32 v[0:1], null, s24, v2, 0
	v_cmp_gt_i32_e32 vcc_lo, s30, v2
	v_mul_lo_u32 v3, s24, v3
	s_delay_alu instid0(VALU_DEP_1) | instskip(NEXT) | instid1(VALU_DEP_1)
	v_add3_u32 v1, v1, v3, v4
	v_lshlrev_b64_e32 v[0:1], 3, v[0:1]
	s_delay_alu instid0(VALU_DEP_1) | instskip(SKIP_1) | instid1(VALU_DEP_2)
	v_add_co_u32 v0, s4, s18, v0
	s_wait_alu 0xf1ff
	v_add_co_ci_u32_e64 v1, null, s19, v1, s4
	s_and_b32 s4, s1, vcc_lo
	s_wait_alu 0xfffe
	s_and_saveexec_b32 s5, s4
	s_cbranch_execz .LBB81_65
; %bb.64:                               ;   in Loop: Header=BB81_7 Depth=2
	v_add_co_u32 v2, s4, v0, v16
	s_wait_alu 0xf1ff
	v_add_co_ci_u32_e64 v3, null, v1, v17, s4
	global_load_b64 v[4:5], v[2:3], off
	v_mul_f32_e32 v7, s36, v60
	s_delay_alu instid0(VALU_DEP_1) | instskip(NEXT) | instid1(VALU_DEP_1)
	v_dual_mul_f32 v6, s37, v60 :: v_dual_fmac_f32 v7, s37, v61
	v_fma_f32 v6, v61, s36, -v6
	s_wait_loadcnt 0x0
	s_delay_alu instid0(VALU_DEP_1)
	v_dual_add_f32 v4, v4, v6 :: v_dual_add_f32 v5, v7, v5
	global_store_b64 v[2:3], v[4:5], off
.LBB81_65:                              ;   in Loop: Header=BB81_7 Depth=2
	s_wait_alu 0xfffe
	s_or_b32 exec_lo, exec_lo, s5
	s_and_b32 s5, s2, vcc_lo
	s_wait_alu 0xfffe
	s_and_saveexec_b32 s4, s5
	s_cbranch_execz .LBB81_6
; %bb.66:                               ;   in Loop: Header=BB81_7 Depth=2
	v_lshlrev_b64_e32 v[2:3], 3, v[12:13]
	v_mul_f32_e32 v4, s37, v43
	s_delay_alu instid0(VALU_DEP_1) | instskip(NEXT) | instid1(VALU_DEP_3)
	v_fma_f32 v4, v59, s36, -v4
	v_add_co_u32 v0, vcc_lo, v0, v2
	s_wait_alu 0xfffd
	s_delay_alu instid0(VALU_DEP_4) | instskip(SKIP_3) | instid1(VALU_DEP_1)
	v_add_co_ci_u32_e64 v1, null, v1, v3, vcc_lo
	global_load_b64 v[2:3], v[0:1], off
	s_wait_loadcnt 0x0
	v_dual_mul_f32 v5, s36, v43 :: v_dual_add_f32 v2, v2, v4
	v_fmac_f32_e32 v5, s37, v59
	s_delay_alu instid0(VALU_DEP_1)
	v_add_f32_e32 v3, v5, v3
	global_store_b64 v[0:1], v[2:3], off
	s_branch .LBB81_6
.LBB81_67:
	s_endpgm
	.section	.rodata,"a",@progbits
	.p2align	6, 0x0
	.amdhsa_kernel _ZL30rocblas_trmm_outofplace_kernelI19rocblas_complex_numIfELi32ELi2ELb1ELb0ELb1ELb1ES1_KS1_S1_Ev17rocblas_diagonal_iiT6_lPT7_lllS6_lllPT8_llli
		.amdhsa_group_segment_fixed_size 16384
		.amdhsa_private_segment_fixed_size 0
		.amdhsa_kernarg_size 392
		.amdhsa_user_sgpr_count 2
		.amdhsa_user_sgpr_dispatch_ptr 0
		.amdhsa_user_sgpr_queue_ptr 0
		.amdhsa_user_sgpr_kernarg_segment_ptr 1
		.amdhsa_user_sgpr_dispatch_id 0
		.amdhsa_user_sgpr_private_segment_size 0
		.amdhsa_wavefront_size32 1
		.amdhsa_uses_dynamic_stack 0
		.amdhsa_enable_private_segment 0
		.amdhsa_system_sgpr_workgroup_id_x 1
		.amdhsa_system_sgpr_workgroup_id_y 1
		.amdhsa_system_sgpr_workgroup_id_z 1
		.amdhsa_system_sgpr_workgroup_info 0
		.amdhsa_system_vgpr_workitem_id 1
		.amdhsa_next_free_vgpr 81
		.amdhsa_next_free_sgpr 56
		.amdhsa_reserve_vcc 1
		.amdhsa_float_round_mode_32 0
		.amdhsa_float_round_mode_16_64 0
		.amdhsa_float_denorm_mode_32 3
		.amdhsa_float_denorm_mode_16_64 3
		.amdhsa_fp16_overflow 0
		.amdhsa_workgroup_processor_mode 1
		.amdhsa_memory_ordered 1
		.amdhsa_forward_progress 1
		.amdhsa_inst_pref_size 65
		.amdhsa_round_robin_scheduling 0
		.amdhsa_exception_fp_ieee_invalid_op 0
		.amdhsa_exception_fp_denorm_src 0
		.amdhsa_exception_fp_ieee_div_zero 0
		.amdhsa_exception_fp_ieee_overflow 0
		.amdhsa_exception_fp_ieee_underflow 0
		.amdhsa_exception_fp_ieee_inexact 0
		.amdhsa_exception_int_div_zero 0
	.end_amdhsa_kernel
	.section	.text._ZL30rocblas_trmm_outofplace_kernelI19rocblas_complex_numIfELi32ELi2ELb1ELb0ELb1ELb1ES1_KS1_S1_Ev17rocblas_diagonal_iiT6_lPT7_lllS6_lllPT8_llli,"axG",@progbits,_ZL30rocblas_trmm_outofplace_kernelI19rocblas_complex_numIfELi32ELi2ELb1ELb0ELb1ELb1ES1_KS1_S1_Ev17rocblas_diagonal_iiT6_lPT7_lllS6_lllPT8_llli,comdat
.Lfunc_end81:
	.size	_ZL30rocblas_trmm_outofplace_kernelI19rocblas_complex_numIfELi32ELi2ELb1ELb0ELb1ELb1ES1_KS1_S1_Ev17rocblas_diagonal_iiT6_lPT7_lllS6_lllPT8_llli, .Lfunc_end81-_ZL30rocblas_trmm_outofplace_kernelI19rocblas_complex_numIfELi32ELi2ELb1ELb0ELb1ELb1ES1_KS1_S1_Ev17rocblas_diagonal_iiT6_lPT7_lllS6_lllPT8_llli
                                        ; -- End function
	.set _ZL30rocblas_trmm_outofplace_kernelI19rocblas_complex_numIfELi32ELi2ELb1ELb0ELb1ELb1ES1_KS1_S1_Ev17rocblas_diagonal_iiT6_lPT7_lllS6_lllPT8_llli.num_vgpr, 81
	.set _ZL30rocblas_trmm_outofplace_kernelI19rocblas_complex_numIfELi32ELi2ELb1ELb0ELb1ELb1ES1_KS1_S1_Ev17rocblas_diagonal_iiT6_lPT7_lllS6_lllPT8_llli.num_agpr, 0
	.set _ZL30rocblas_trmm_outofplace_kernelI19rocblas_complex_numIfELi32ELi2ELb1ELb0ELb1ELb1ES1_KS1_S1_Ev17rocblas_diagonal_iiT6_lPT7_lllS6_lllPT8_llli.numbered_sgpr, 56
	.set _ZL30rocblas_trmm_outofplace_kernelI19rocblas_complex_numIfELi32ELi2ELb1ELb0ELb1ELb1ES1_KS1_S1_Ev17rocblas_diagonal_iiT6_lPT7_lllS6_lllPT8_llli.num_named_barrier, 0
	.set _ZL30rocblas_trmm_outofplace_kernelI19rocblas_complex_numIfELi32ELi2ELb1ELb0ELb1ELb1ES1_KS1_S1_Ev17rocblas_diagonal_iiT6_lPT7_lllS6_lllPT8_llli.private_seg_size, 0
	.set _ZL30rocblas_trmm_outofplace_kernelI19rocblas_complex_numIfELi32ELi2ELb1ELb0ELb1ELb1ES1_KS1_S1_Ev17rocblas_diagonal_iiT6_lPT7_lllS6_lllPT8_llli.uses_vcc, 1
	.set _ZL30rocblas_trmm_outofplace_kernelI19rocblas_complex_numIfELi32ELi2ELb1ELb0ELb1ELb1ES1_KS1_S1_Ev17rocblas_diagonal_iiT6_lPT7_lllS6_lllPT8_llli.uses_flat_scratch, 0
	.set _ZL30rocblas_trmm_outofplace_kernelI19rocblas_complex_numIfELi32ELi2ELb1ELb0ELb1ELb1ES1_KS1_S1_Ev17rocblas_diagonal_iiT6_lPT7_lllS6_lllPT8_llli.has_dyn_sized_stack, 0
	.set _ZL30rocblas_trmm_outofplace_kernelI19rocblas_complex_numIfELi32ELi2ELb1ELb0ELb1ELb1ES1_KS1_S1_Ev17rocblas_diagonal_iiT6_lPT7_lllS6_lllPT8_llli.has_recursion, 0
	.set _ZL30rocblas_trmm_outofplace_kernelI19rocblas_complex_numIfELi32ELi2ELb1ELb0ELb1ELb1ES1_KS1_S1_Ev17rocblas_diagonal_iiT6_lPT7_lllS6_lllPT8_llli.has_indirect_call, 0
	.section	.AMDGPU.csdata,"",@progbits
; Kernel info:
; codeLenInByte = 8236
; TotalNumSgprs: 58
; NumVgprs: 81
; ScratchSize: 0
; MemoryBound: 0
; FloatMode: 240
; IeeeMode: 1
; LDSByteSize: 16384 bytes/workgroup (compile time only)
; SGPRBlocks: 0
; VGPRBlocks: 10
; NumSGPRsForWavesPerEU: 58
; NumVGPRsForWavesPerEU: 81
; Occupancy: 16
; WaveLimiterHint : 0
; COMPUTE_PGM_RSRC2:SCRATCH_EN: 0
; COMPUTE_PGM_RSRC2:USER_SGPR: 2
; COMPUTE_PGM_RSRC2:TRAP_HANDLER: 0
; COMPUTE_PGM_RSRC2:TGID_X_EN: 1
; COMPUTE_PGM_RSRC2:TGID_Y_EN: 1
; COMPUTE_PGM_RSRC2:TGID_Z_EN: 1
; COMPUTE_PGM_RSRC2:TIDIG_COMP_CNT: 1
	.section	.text._ZL30rocblas_trmm_outofplace_kernelI19rocblas_complex_numIfELi32ELi2ELb1ELb1ELb1ELb1EPKS1_S2_S1_Ev17rocblas_diagonal_iiT6_lPT7_lllS7_lllPT8_llli,"axG",@progbits,_ZL30rocblas_trmm_outofplace_kernelI19rocblas_complex_numIfELi32ELi2ELb1ELb1ELb1ELb1EPKS1_S2_S1_Ev17rocblas_diagonal_iiT6_lPT7_lllS7_lllPT8_llli,comdat
	.globl	_ZL30rocblas_trmm_outofplace_kernelI19rocblas_complex_numIfELi32ELi2ELb1ELb1ELb1ELb1EPKS1_S2_S1_Ev17rocblas_diagonal_iiT6_lPT7_lllS7_lllPT8_llli ; -- Begin function _ZL30rocblas_trmm_outofplace_kernelI19rocblas_complex_numIfELi32ELi2ELb1ELb1ELb1ELb1EPKS1_S2_S1_Ev17rocblas_diagonal_iiT6_lPT7_lllS7_lllPT8_llli
	.p2align	8
	.type	_ZL30rocblas_trmm_outofplace_kernelI19rocblas_complex_numIfELi32ELi2ELb1ELb1ELb1ELb1EPKS1_S2_S1_Ev17rocblas_diagonal_iiT6_lPT7_lllS7_lllPT8_llli,@function
_ZL30rocblas_trmm_outofplace_kernelI19rocblas_complex_numIfELi32ELi2ELb1ELb1ELb1ELb1EPKS1_S2_S1_Ev17rocblas_diagonal_iiT6_lPT7_lllS7_lllPT8_llli: ; @_ZL30rocblas_trmm_outofplace_kernelI19rocblas_complex_numIfELi32ELi2ELb1ELb1ELb1ELb1EPKS1_S2_S1_Ev17rocblas_diagonal_iiT6_lPT7_lllS7_lllPT8_llli
; %bb.0:
	s_load_b32 s11, s[0:1], 0x80
	s_lshr_b32 s34, ttmp7, 16
	s_wait_kmcnt 0x0
	s_cmp_ge_u32 s34, s11
	s_cbranch_scc1 .LBB82_67
; %bb.1:
	s_clause 0x3
	s_load_b96 s[8:10], s[0:1], 0x0
	s_load_b256 s[36:43], s[0:1], 0x50
	s_load_b512 s[12:27], s[0:1], 0x10
	s_load_b128 s[28:31], s[0:1], 0x70
	s_add_nc_u64 s[44:45], s[0:1], 0x88
	s_and_b32 s33, ttmp7, 0xffff
	v_and_b32_e32 v49, 0x3ff, v0
	v_bfe_u32 v48, v0, 10, 10
	v_mov_b32_e32 v9, 0
	s_mov_b32 s35, 0
	s_delay_alu instid0(VALU_DEP_2) | instskip(SKIP_2) | instid1(VALU_DEP_2)
	v_lshlrev_b32_e32 v24, 3, v48
	v_lshlrev_b32_e32 v0, 8, v48
	v_lshl_add_u32 v54, s33, 5, v48
	v_add_nc_u32_e32 v51, 0x2000, v0
	s_wait_kmcnt 0x0
	s_add_co_i32 s2, s10, -1
	s_mov_b32 s47, s10
	s_ashr_i32 s0, s2, 31
	s_delay_alu instid0(SALU_CYCLE_1) | instskip(NEXT) | instid1(SALU_CYCLE_1)
	s_lshr_b32 s0, s0, 27
	s_add_co_i32 s2, s2, s0
	s_lshl_b64 s[0:1], s[42:43], 3
	s_ashr_i32 s46, s2, 5
	s_mov_b32 s42, s9
	s_cmp_le_i32 s33, s46
	s_add_nc_u64 s[40:41], s[40:41], s[0:1]
	s_cselect_b32 s48, -1, 0
	s_lshl_b32 s49, ttmp9, 5
	s_cmp_gt_i32 ttmp9, -1
	v_add_nc_u32_e32 v10, s49, v49
	s_cselect_b32 s50, -1, 0
	s_cmp_eq_u32 s8, 0x84
	s_cselect_b32 s51, -1, 0
	s_delay_alu instid0(VALU_DEP_1)
	v_ashrrev_i32_e32 v11, 31, v10
	v_add_co_u32 v14, vcc_lo, v10, 16
	s_lshl_b64 s[4:5], s[18:19], 3
	v_mul_lo_u32 v22, s21, v10
	v_lshlrev_b64_e32 v[12:13], 3, v[10:11]
	v_add_co_ci_u32_e64 v15, null, 0, v11, vcc_lo
	v_mul_lo_u32 v8, s20, v11
	v_mad_co_u64_u32 v[4:5], null, s20, v10, 0
	s_delay_alu instid0(VALU_DEP_4) | instskip(SKIP_3) | instid1(VALU_DEP_3)
	v_add_co_u32 v2, vcc_lo, 0x80, v12
	s_wait_alu 0xfffd
	v_add_co_ci_u32_e64 v3, null, 0, v13, vcc_lo
	v_sub_co_u32 v16, vcc_lo, v10, v48
	v_mul_lo_u32 v7, s21, v2
	s_delay_alu instid0(VALU_DEP_3)
	v_mul_lo_u32 v6, s20, v3
	v_mad_co_u64_u32 v[2:3], null, s20, v2, s[4:5]
	s_wait_alu 0xfffd
	v_subrev_co_ci_u32_e64 v17, null, 0, v11, vcc_lo
	v_add_co_u32 v18, vcc_lo, v16, 16
	v_add3_u32 v5, v5, v8, v22
	s_wait_alu 0xfffd
	s_delay_alu instid0(VALU_DEP_3)
	v_add_co_ci_u32_e64 v19, null, 0, v17, vcc_lo
	v_add3_u32 v3, v7, v3, v6
	v_add_co_u32 v20, vcc_lo, v16, -16
	s_wait_alu 0xfffd
	v_add_co_ci_u32_e64 v21, null, -1, v17, vcc_lo
	v_add_co_u32 v6, vcc_lo, v2, v24
	s_wait_alu 0xfffd
	v_add_co_ci_u32_e64 v7, null, 0, v3, vcc_lo
	v_lshlrev_b64_e32 v[2:3], 3, v[4:5]
	s_delay_alu instid0(VALU_DEP_3)
	v_add_co_u32 v22, vcc_lo, s16, v6
	v_mov_b32_e32 v8, 1.0
	v_lshlrev_b32_e32 v50, 3, v49
	s_wait_alu 0xfffd
	v_add_co_ci_u32_e64 v23, null, s17, v7, vcc_lo
	v_add_co_u32 v2, vcc_lo, v2, s4
	s_wait_alu 0xfffd
	v_add_co_ci_u32_e64 v3, null, s5, v3, vcc_lo
	v_add_nc_u32_e32 v52, v50, v0
	v_add_nc_u32_e32 v0, 16, v10
	s_lshl_b64 s[4:5], s[26:27], 3
	v_add_co_u32 v2, vcc_lo, v2, v24
	s_wait_alu 0xfffe
	s_add_nc_u64 s[4:5], s[24:25], s[4:5]
	s_wait_alu 0xfffd
	v_add_co_ci_u32_e64 v3, null, 0, v3, vcc_lo
	s_wait_alu 0xfffe
	v_add_co_u32 v24, s4, s4, v50
	v_ashrrev_i32_e32 v1, 31, v0
	s_wait_alu 0xf1ff
	v_add_co_ci_u32_e64 v25, null, s5, 0, s4
	v_add_co_u32 v26, vcc_lo, s16, v2
	s_ashr_i32 s43, s9, 31
	s_wait_alu 0xfffd
	v_add_co_ci_u32_e64 v27, null, s17, v3, vcc_lo
	v_add_co_u32 v28, vcc_lo, 0x80, v24
	v_cmp_le_i64_e64 s3, s[42:43], v[14:15]
	v_lshlrev_b64_e32 v[30:31], 3, v[0:1]
	v_add_nc_u32_e32 v53, v51, v50
	v_cmp_le_i32_e64 s0, s9, v10
	v_cmp_gt_i32_e64 s1, s9, v10
	v_cmp_gt_i32_e64 s2, s9, v0
	s_wait_alu 0xfffd
	v_add_co_ci_u32_e64 v29, null, 0, v25, vcc_lo
	v_add_nc_u32_e32 v55, 0x800, v50
	v_add_nc_u32_e32 v56, 0x1000, v50
	;; [unrolled: 1-line block ×3, first 2 shown]
	s_ashr_i32 s52, s10, 31
	s_add_nc_u64 s[18:19], s[42:43], -16
	s_lshl_b64 s[20:21], s[22:23], 3
	s_lshl_b64 s[16:17], s[38:39], 3
	;; [unrolled: 1-line block ×3, first 2 shown]
	s_branch .LBB82_4
.LBB82_2:                               ;   in Loop: Header=BB82_4 Depth=1
	s_add_co_i32 s34, s34, 0x10000
	s_wait_alu 0xfffe
	s_cmp_ge_u32 s34, s11
	s_cselect_b32 s4, -1, 0
.LBB82_3:                               ;   in Loop: Header=BB82_4 Depth=1
	s_wait_alu 0xfffe
	s_and_b32 vcc_lo, exec_lo, s4
	s_wait_alu 0xfffe
	s_cbranch_vccnz .LBB82_67
.LBB82_4:                               ; =>This Loop Header: Depth=1
                                        ;     Child Loop BB82_8 Depth 2
                                        ;       Child Loop BB82_11 Depth 3
	s_mul_u64 s[4:5], s[14:15], s[34:35]
	s_wait_alu 0xfffe
	s_lshl_b64 s[4:5], s[4:5], 3
	s_wait_alu 0xfffe
	s_add_nc_u64 s[4:5], s[12:13], s[4:5]
	global_load_b64 v[32:33], v9, s[4:5]
	s_mov_b32 s4, -1
	s_wait_loadcnt 0x0
	v_or_b32_e32 v0, v32, v33
	s_delay_alu instid0(VALU_DEP_1) | instskip(NEXT) | instid1(VALU_DEP_1)
	v_and_b32_e32 v0, 0x7fffffff, v0
	v_cmp_eq_u32_e32 vcc_lo, 0, v0
	s_cbranch_vccnz .LBB82_3
; %bb.5:                                ;   in Loop: Header=BB82_4 Depth=1
	s_and_not1_b32 vcc_lo, exec_lo, s48
	s_wait_alu 0xfffe
	s_cbranch_vccnz .LBB82_2
; %bb.6:                                ;   in Loop: Header=BB82_4 Depth=1
	s_load_b32 s9, s[44:45], 0x4
	v_mad_co_u64_u32 v[34:35], null, s20, s34, v[22:23]
	v_mad_co_u64_u32 v[36:37], null, s20, s34, v[26:27]
	;; [unrolled: 1-line block ×4, first 2 shown]
	s_mul_i32 s6, s21, s34
	s_mul_i32 s7, s17, s34
	s_mul_u64 s[4:5], s[30:31], s[34:35]
	s_wait_alu 0xfffe
	v_dual_mov_b32 v42, v54 :: v_dual_add_nc_u32 v35, s6, v35
	v_add_nc_u32_e32 v37, s6, v37
	v_add_nc_u32_e32 v39, s7, v39
	;; [unrolled: 1-line block ×3, first 2 shown]
	s_lshl_b64 s[4:5], s[4:5], 3
	s_mov_b32 s54, s33
	s_wait_alu 0xfffe
	s_add_nc_u64 s[24:25], s[40:41], s[4:5]
	s_wait_kmcnt 0x0
	s_lshl_b32 s53, s9, 5
	s_branch .LBB82_8
.LBB82_7:                               ;   in Loop: Header=BB82_8 Depth=2
	s_wait_alu 0xfffe
	s_or_b32 exec_lo, exec_lo, s4
	v_add_nc_u32_e32 v42, s53, v42
	s_add_co_i32 s54, s9, s54
	s_wait_alu 0xfffe
	s_cmp_gt_i32 s54, s46
	s_cbranch_scc1 .LBB82_2
.LBB82_8:                               ;   Parent Loop BB82_4 Depth=1
                                        ; =>  This Loop Header: Depth=2
                                        ;       Child Loop BB82_11 Depth 3
	v_lshl_add_u32 v58, s54, 5, v48
	v_dual_mov_b32 v65, 0 :: v_dual_mov_b32 v66, 0
	v_dual_mov_b32 v63, 0 :: v_dual_mov_b32 v64, 0
	s_delay_alu instid0(VALU_DEP_3)
	v_ashrrev_i32_e32 v59, 31, v58
	v_dual_mov_b32 v62, 0 :: v_dual_mov_b32 v61, 0
	v_dual_mov_b32 v60, 0 :: v_dual_mov_b32 v43, 0
	s_and_not1_b32 vcc_lo, exec_lo, s50
	s_wait_alu 0xfffe
	s_cbranch_vccnz .LBB82_59
; %bb.9:                                ;   in Loop: Header=BB82_8 Depth=2
	v_ashrrev_i32_e32 v43, 31, v42
	v_mad_co_u64_u32 v[44:45], null, s22, v42, v[38:39]
	v_mul_lo_u32 v2, s23, v42
	v_dual_mov_b32 v61, 0 :: v_dual_mov_b32 v62, 0
	s_delay_alu instid0(VALU_DEP_4) | instskip(SKIP_3) | instid1(VALU_DEP_4)
	v_lshlrev_b64_e32 v[0:1], 3, v[42:43]
	v_mul_lo_u32 v5, s22, v43
	v_dual_mov_b32 v43, 0 :: v_dual_mov_b32 v60, 0
	v_dual_mov_b32 v64, 0 :: v_dual_mov_b32 v63, 0
	v_add_co_u32 v3, vcc_lo, 0x80, v0
	s_wait_alu 0xfffd
	v_add_co_ci_u32_e64 v4, null, 0, v1, vcc_lo
	v_sub_co_u32 v0, vcc_lo, s47, v58
	s_delay_alu instid0(VALU_DEP_3) | instskip(NEXT) | instid1(VALU_DEP_3)
	v_mul_lo_u32 v6, s37, v3
	v_mul_lo_u32 v4, s36, v4
	v_mad_co_u64_u32 v[46:47], null, s36, v3, v[40:41]
	s_wait_alu 0xfffd
	v_sub_co_ci_u32_e64 v1, null, s52, v59, vcc_lo
	v_add3_u32 v45, v2, v45, v5
	v_dual_mov_b32 v66, 0 :: v_dual_mov_b32 v65, 0
	s_delay_alu instid0(VALU_DEP_3)
	v_cmp_lt_i64_e64 s4, 16, v[0:1]
	v_add3_u32 v47, v6, v47, v4
	s_mov_b64 s[26:27], 0
	s_mov_b64 s[38:39], 0
	v_cmp_lt_i64_e32 vcc_lo, 0, v[0:1]
	s_branch .LBB82_11
.LBB82_10:                              ;   in Loop: Header=BB82_11 Depth=3
	s_wait_alu 0xfffe
	s_or_b32 exec_lo, exec_lo, s5
	s_wait_dscnt 0x0
	s_barrier_signal -1
	s_barrier_wait -1
	global_inv scope:SCOPE_SE
	ds_load_b128 v[67:70], v51
	ds_load_b128 v[71:74], v51 offset:16
	ds_load_b128 v[4:7], v51 offset:32
	;; [unrolled: 1-line block ×3, first 2 shown]
	ds_load_2addr_b64 v[75:78], v50 offset1:16
	s_add_nc_u64 s[38:39], s[38:39], 32
	s_add_nc_u64 s[26:27], s[26:27], 0x100
	s_wait_alu 0xfffe
	s_sub_co_i32 s5, s38, 32
	s_wait_alu 0xfffe
	s_cmp_ge_i32 s5, s49
	s_wait_dscnt 0x0
	v_mul_f32_e32 v80, v67, v76
	v_mul_f32_e32 v79, v68, v76
	s_delay_alu instid0(VALU_DEP_2) | instskip(NEXT) | instid1(VALU_DEP_1)
	v_fmac_f32_e32 v80, v68, v75
	v_add_f32_e32 v80, v66, v80
	v_mul_f32_e32 v66, v67, v78
	s_delay_alu instid0(VALU_DEP_4) | instskip(NEXT) | instid1(VALU_DEP_1)
	v_fma_f32 v79, v67, v75, -v79
	v_dual_fmac_f32 v66, v68, v77 :: v_dual_add_f32 v79, v65, v79
	v_mul_f32_e32 v65, v68, v78
	s_delay_alu instid0(VALU_DEP_2) | instskip(NEXT) | instid1(VALU_DEP_2)
	v_add_f32_e32 v68, v64, v66
	v_fma_f32 v65, v67, v77, -v65
	s_delay_alu instid0(VALU_DEP_1) | instskip(SKIP_4) | instid1(VALU_DEP_2)
	v_add_f32_e32 v67, v63, v65
	ds_load_b128 v[63:66], v51 offset:4096
	s_wait_dscnt 0x0
	v_mul_f32_e32 v81, v64, v76
	v_mul_f32_e32 v76, v63, v76
	v_fma_f32 v81, v63, v75, -v81
	s_delay_alu instid0(VALU_DEP_1) | instskip(NEXT) | instid1(VALU_DEP_1)
	v_dual_fmac_f32 v76, v64, v75 :: v_dual_add_f32 v75, v62, v81
	v_dual_add_f32 v76, v61, v76 :: v_dual_mul_f32 v61, v64, v78
	v_mul_f32_e32 v62, v63, v78
	s_delay_alu instid0(VALU_DEP_2) | instskip(NEXT) | instid1(VALU_DEP_2)
	v_fma_f32 v61, v63, v77, -v61
	v_fmac_f32_e32 v62, v64, v77
	s_delay_alu instid0(VALU_DEP_1) | instskip(SKIP_4) | instid1(VALU_DEP_2)
	v_dual_add_f32 v64, v60, v61 :: v_dual_add_f32 v43, v43, v62
	ds_load_2addr_b64 v[60:63], v50 offset0:32 offset1:48
	s_wait_dscnt 0x0
	v_mul_f32_e32 v77, v70, v61
	v_mul_f32_e32 v78, v69, v61
	v_fma_f32 v77, v69, v60, -v77
	s_delay_alu instid0(VALU_DEP_1) | instskip(SKIP_1) | instid1(VALU_DEP_1)
	v_add_f32_e32 v77, v79, v77
	v_mul_f32_e32 v79, v70, v63
	v_fma_f32 v79, v69, v62, -v79
	v_mul_f32_e32 v69, v69, v63
	s_delay_alu instid0(VALU_DEP_2) | instskip(NEXT) | instid1(VALU_DEP_2)
	v_add_f32_e32 v67, v67, v79
	v_fmac_f32_e32 v69, v70, v62
	v_fmac_f32_e32 v78, v70, v60
	s_delay_alu instid0(VALU_DEP_2) | instskip(NEXT) | instid1(VALU_DEP_2)
	v_add_f32_e32 v68, v68, v69
	v_dual_add_f32 v78, v80, v78 :: v_dual_mul_f32 v69, v66, v61
	v_mul_f32_e32 v61, v65, v61
	s_delay_alu instid0(VALU_DEP_2) | instskip(NEXT) | instid1(VALU_DEP_2)
	v_fma_f32 v69, v65, v60, -v69
	v_fmac_f32_e32 v61, v66, v60
	s_delay_alu instid0(VALU_DEP_2) | instskip(NEXT) | instid1(VALU_DEP_2)
	v_dual_mul_f32 v60, v66, v63 :: v_dual_add_f32 v69, v75, v69
	v_dual_add_f32 v70, v76, v61 :: v_dual_mul_f32 v61, v65, v63
	s_delay_alu instid0(VALU_DEP_2) | instskip(NEXT) | instid1(VALU_DEP_2)
	v_fma_f32 v60, v65, v62, -v60
	v_fmac_f32_e32 v61, v66, v62
	s_delay_alu instid0(VALU_DEP_2) | instskip(NEXT) | instid1(VALU_DEP_2)
	v_add_f32_e32 v75, v64, v60
	v_add_f32_e32 v43, v43, v61
	ds_load_2addr_b64 v[60:63], v50 offset0:64 offset1:80
	s_wait_dscnt 0x0
	v_mul_f32_e32 v64, v72, v61
	v_mul_f32_e32 v65, v71, v61
	s_delay_alu instid0(VALU_DEP_2) | instskip(NEXT) | instid1(VALU_DEP_2)
	v_fma_f32 v64, v71, v60, -v64
	v_fmac_f32_e32 v65, v72, v60
	s_delay_alu instid0(VALU_DEP_1) | instskip(SKIP_2) | instid1(VALU_DEP_2)
	v_dual_add_f32 v76, v77, v64 :: v_dual_add_f32 v77, v78, v65
	v_mul_f32_e32 v64, v72, v63
	v_mul_f32_e32 v65, v71, v63
	v_fma_f32 v64, v71, v62, -v64
	s_delay_alu instid0(VALU_DEP_2) | instskip(NEXT) | instid1(VALU_DEP_1)
	v_fmac_f32_e32 v65, v72, v62
	v_dual_add_f32 v71, v67, v64 :: v_dual_add_f32 v68, v68, v65
	ds_load_b128 v[64:67], v51 offset:4112
	s_wait_dscnt 0x0
	v_mul_f32_e32 v72, v65, v61
	v_mul_f32_e32 v61, v64, v61
	s_delay_alu instid0(VALU_DEP_2) | instskip(NEXT) | instid1(VALU_DEP_2)
	v_fma_f32 v72, v64, v60, -v72
	v_fmac_f32_e32 v61, v65, v60
	v_mul_f32_e32 v60, v65, v63
	s_delay_alu instid0(VALU_DEP_2) | instskip(NEXT) | instid1(VALU_DEP_2)
	v_dual_add_f32 v70, v70, v61 :: v_dual_mul_f32 v61, v64, v63
	v_fma_f32 v60, v64, v62, -v60
	v_add_f32_e32 v69, v69, v72
	s_delay_alu instid0(VALU_DEP_2) | instskip(NEXT) | instid1(VALU_DEP_1)
	v_dual_fmac_f32 v61, v65, v62 :: v_dual_add_f32 v64, v75, v60
	v_add_f32_e32 v43, v43, v61
	ds_load_2addr_b64 v[60:63], v50 offset0:96 offset1:112
	s_wait_dscnt 0x0
	v_dual_mul_f32 v72, v73, v61 :: v_dual_mul_f32 v75, v74, v63
	s_delay_alu instid0(VALU_DEP_1) | instskip(NEXT) | instid1(VALU_DEP_2)
	v_fmac_f32_e32 v72, v74, v60
	v_fma_f32 v75, v73, v62, -v75
	s_delay_alu instid0(VALU_DEP_2) | instskip(NEXT) | instid1(VALU_DEP_1)
	v_dual_add_f32 v72, v77, v72 :: v_dual_mul_f32 v65, v74, v61
	v_fma_f32 v65, v73, v60, -v65
	v_mul_f32_e32 v73, v73, v63
	s_delay_alu instid0(VALU_DEP_1) | instskip(NEXT) | instid1(VALU_DEP_1)
	v_fmac_f32_e32 v73, v74, v62
	v_add_f32_e32 v68, v68, v73
	v_mul_f32_e32 v73, v67, v61
	v_mul_f32_e32 v61, v66, v61
	s_delay_alu instid0(VALU_DEP_2) | instskip(NEXT) | instid1(VALU_DEP_2)
	v_fma_f32 v73, v66, v60, -v73
	v_fmac_f32_e32 v61, v67, v60
	v_mul_f32_e32 v60, v67, v63
	s_delay_alu instid0(VALU_DEP_2) | instskip(NEXT) | instid1(VALU_DEP_2)
	v_add_f32_e32 v70, v70, v61
	v_fma_f32 v60, v66, v62, -v60
	v_add_f32_e32 v69, v69, v73
	s_delay_alu instid0(VALU_DEP_2) | instskip(SKIP_1) | instid1(VALU_DEP_1)
	v_add_f32_e32 v73, v64, v60
	v_mul_f32_e32 v61, v66, v63
	v_fmac_f32_e32 v61, v67, v62
	s_delay_alu instid0(VALU_DEP_1)
	v_add_f32_e32 v43, v43, v61
	ds_load_2addr_b64 v[60:63], v50 offset0:128 offset1:144
	v_add_f32_e32 v65, v76, v65
	s_wait_dscnt 0x0
	v_mul_f32_e32 v64, v5, v61
	v_mul_f32_e32 v66, v4, v61
	s_delay_alu instid0(VALU_DEP_2) | instskip(NEXT) | instid1(VALU_DEP_2)
	v_fma_f32 v64, v4, v60, -v64
	v_fmac_f32_e32 v66, v5, v60
	s_delay_alu instid0(VALU_DEP_2) | instskip(SKIP_1) | instid1(VALU_DEP_3)
	v_add_f32_e32 v74, v65, v64
	v_mul_f32_e32 v64, v5, v63
	v_add_f32_e32 v72, v72, v66
	s_delay_alu instid0(VALU_DEP_2) | instskip(SKIP_1) | instid1(VALU_DEP_1)
	v_fma_f32 v64, v4, v62, -v64
	v_mul_f32_e32 v4, v4, v63
	v_dual_add_f32 v71, v71, v75 :: v_dual_fmac_f32 v4, v5, v62
	s_delay_alu instid0(VALU_DEP_1)
	v_add_f32_e32 v5, v71, v64
	ds_load_b128 v[64:67], v51 offset:4128
	v_add_f32_e32 v4, v68, v4
	s_wait_dscnt 0x0
	v_mul_f32_e32 v68, v65, v61
	v_mul_f32_e32 v61, v64, v61
	s_delay_alu instid0(VALU_DEP_2) | instskip(NEXT) | instid1(VALU_DEP_2)
	v_fma_f32 v68, v64, v60, -v68
	v_fmac_f32_e32 v61, v65, v60
	v_mul_f32_e32 v60, v65, v63
	s_delay_alu instid0(VALU_DEP_2) | instskip(SKIP_1) | instid1(VALU_DEP_3)
	v_dual_add_f32 v68, v69, v68 :: v_dual_add_f32 v69, v70, v61
	v_mul_f32_e32 v61, v64, v63
	v_fma_f32 v60, v64, v62, -v60
	s_delay_alu instid0(VALU_DEP_2) | instskip(NEXT) | instid1(VALU_DEP_1)
	v_fmac_f32_e32 v61, v65, v62
	v_dual_add_f32 v64, v73, v60 :: v_dual_add_f32 v43, v43, v61
	ds_load_2addr_b64 v[60:63], v50 offset0:160 offset1:176
	s_wait_dscnt 0x0
	v_mul_f32_e32 v70, v6, v61
	v_mul_f32_e32 v65, v7, v61
	s_delay_alu instid0(VALU_DEP_2) | instskip(NEXT) | instid1(VALU_DEP_2)
	v_fmac_f32_e32 v70, v7, v60
	v_fma_f32 v65, v6, v60, -v65
	s_delay_alu instid0(VALU_DEP_2) | instskip(NEXT) | instid1(VALU_DEP_1)
	v_dual_add_f32 v70, v72, v70 :: v_dual_mul_f32 v71, v7, v63
	v_fma_f32 v71, v6, v62, -v71
	v_mul_f32_e32 v6, v6, v63
	s_delay_alu instid0(VALU_DEP_1) | instskip(NEXT) | instid1(VALU_DEP_1)
	v_dual_add_f32 v71, v5, v71 :: v_dual_fmac_f32 v6, v7, v62
	v_dual_mul_f32 v5, v66, v61 :: v_dual_add_f32 v72, v4, v6
	v_mul_f32_e32 v4, v67, v61
	s_delay_alu instid0(VALU_DEP_2) | instskip(NEXT) | instid1(VALU_DEP_2)
	v_fmac_f32_e32 v5, v67, v60
	v_fma_f32 v4, v66, v60, -v4
	s_delay_alu instid0(VALU_DEP_1) | instskip(NEXT) | instid1(VALU_DEP_3)
	v_add_f32_e32 v68, v68, v4
	v_dual_mul_f32 v4, v67, v63 :: v_dual_add_f32 v69, v69, v5
	s_delay_alu instid0(VALU_DEP_1) | instskip(NEXT) | instid1(VALU_DEP_1)
	v_fma_f32 v4, v66, v62, -v4
	v_dual_add_f32 v64, v64, v4 :: v_dual_mul_f32 v5, v66, v63
	s_delay_alu instid0(VALU_DEP_1) | instskip(NEXT) | instid1(VALU_DEP_1)
	v_fmac_f32_e32 v5, v67, v62
	v_add_f32_e32 v43, v43, v5
	ds_load_2addr_b64 v[4:7], v50 offset0:192 offset1:208
	v_add_f32_e32 v65, v74, v65
	s_wait_dscnt 0x0
	v_mul_f32_e32 v60, v1, v5
	v_mul_f32_e32 v61, v0, v5
	s_delay_alu instid0(VALU_DEP_2) | instskip(NEXT) | instid1(VALU_DEP_2)
	v_fma_f32 v60, v0, v4, -v60
	v_fmac_f32_e32 v61, v1, v4
	s_delay_alu instid0(VALU_DEP_2) | instskip(SKIP_1) | instid1(VALU_DEP_3)
	v_add_f32_e32 v65, v65, v60
	v_mul_f32_e32 v60, v1, v7
	v_add_f32_e32 v66, v70, v61
	s_delay_alu instid0(VALU_DEP_2) | instskip(SKIP_1) | instid1(VALU_DEP_1)
	v_fma_f32 v60, v0, v6, -v60
	v_mul_f32_e32 v0, v0, v7
	v_fmac_f32_e32 v0, v1, v6
	s_delay_alu instid0(VALU_DEP_1) | instskip(NEXT) | instid1(VALU_DEP_4)
	v_add_f32_e32 v0, v72, v0
	v_add_f32_e32 v1, v71, v60
	ds_load_b128 v[60:63], v51 offset:4144
	s_wait_dscnt 0x0
	v_mul_f32_e32 v67, v61, v5
	v_mul_f32_e32 v5, v60, v5
	s_delay_alu instid0(VALU_DEP_2) | instskip(NEXT) | instid1(VALU_DEP_2)
	v_fma_f32 v67, v60, v4, -v67
	v_fmac_f32_e32 v5, v61, v4
	v_mul_f32_e32 v4, v61, v7
	s_delay_alu instid0(VALU_DEP_2) | instskip(SKIP_1) | instid1(VALU_DEP_3)
	v_dual_add_f32 v67, v68, v67 :: v_dual_add_f32 v68, v69, v5
	v_mul_f32_e32 v5, v60, v7
	v_fma_f32 v4, v60, v6, -v4
	s_delay_alu instid0(VALU_DEP_1) | instskip(NEXT) | instid1(VALU_DEP_1)
	v_dual_fmac_f32 v5, v61, v6 :: v_dual_add_f32 v60, v64, v4
	v_add_f32_e32 v43, v43, v5
	ds_load_2addr_b64 v[4:7], v50 offset0:224 offset1:240
	s_wait_dscnt 0x0
	v_mul_f32_e32 v64, v2, v5
	s_delay_alu instid0(VALU_DEP_1) | instskip(NEXT) | instid1(VALU_DEP_1)
	v_fmac_f32_e32 v64, v3, v4
	v_dual_add_f32 v64, v66, v64 :: v_dual_mul_f32 v61, v3, v5
	s_delay_alu instid0(VALU_DEP_1) | instskip(NEXT) | instid1(VALU_DEP_1)
	v_fma_f32 v61, v2, v4, -v61
	v_add_f32_e32 v61, v65, v61
	v_mul_f32_e32 v65, v3, v7
	s_delay_alu instid0(VALU_DEP_1) | instskip(NEXT) | instid1(VALU_DEP_1)
	v_fma_f32 v65, v2, v6, -v65
	v_dual_mul_f32 v2, v2, v7 :: v_dual_add_f32 v65, v1, v65
	s_delay_alu instid0(VALU_DEP_1) | instskip(NEXT) | instid1(VALU_DEP_1)
	v_dual_fmac_f32 v2, v3, v6 :: v_dual_mul_f32 v1, v62, v5
	v_add_f32_e32 v66, v0, v2
	v_mul_f32_e32 v0, v63, v5
	s_delay_alu instid0(VALU_DEP_3) | instskip(NEXT) | instid1(VALU_DEP_2)
	v_fmac_f32_e32 v1, v63, v4
	v_fma_f32 v0, v62, v4, -v0
	s_delay_alu instid0(VALU_DEP_2) | instskip(NEXT) | instid1(VALU_DEP_2)
	v_dual_add_f32 v68, v68, v1 :: v_dual_mul_f32 v1, v62, v7
	v_add_f32_e32 v67, v67, v0
	v_mul_f32_e32 v0, v63, v7
	s_delay_alu instid0(VALU_DEP_1) | instskip(NEXT) | instid1(VALU_DEP_1)
	v_fma_f32 v0, v62, v6, -v0
	v_add_f32_e32 v69, v60, v0
	v_fmac_f32_e32 v1, v63, v6
	s_delay_alu instid0(VALU_DEP_1)
	v_add_f32_e32 v43, v43, v1
	ds_load_b128 v[0:3], v51 offset:64
	ds_load_2addr_b64 v[4:7], v55 offset1:16
	s_wait_dscnt 0x0
	v_mul_f32_e32 v60, v1, v5
	v_mul_f32_e32 v62, v0, v5
	s_delay_alu instid0(VALU_DEP_2) | instskip(NEXT) | instid1(VALU_DEP_2)
	v_fma_f32 v60, v0, v4, -v60
	v_fmac_f32_e32 v62, v1, v4
	s_delay_alu instid0(VALU_DEP_2) | instskip(SKIP_1) | instid1(VALU_DEP_3)
	v_add_f32_e32 v70, v61, v60
	v_mul_f32_e32 v60, v1, v7
	v_add_f32_e32 v64, v64, v62
	s_delay_alu instid0(VALU_DEP_2) | instskip(SKIP_1) | instid1(VALU_DEP_1)
	v_fma_f32 v60, v0, v6, -v60
	v_mul_f32_e32 v0, v0, v7
	v_fmac_f32_e32 v0, v1, v6
	s_delay_alu instid0(VALU_DEP_3) | instskip(SKIP_4) | instid1(VALU_DEP_2)
	v_add_f32_e32 v1, v65, v60
	ds_load_b128 v[60:63], v51 offset:4160
	s_wait_dscnt 0x0
	v_dual_add_f32 v0, v66, v0 :: v_dual_mul_f32 v65, v61, v5
	v_mul_f32_e32 v5, v60, v5
	v_fma_f32 v65, v60, v4, -v65
	s_delay_alu instid0(VALU_DEP_2) | instskip(NEXT) | instid1(VALU_DEP_2)
	v_fmac_f32_e32 v5, v61, v4
	v_dual_mul_f32 v4, v61, v7 :: v_dual_add_f32 v65, v67, v65
	s_delay_alu instid0(VALU_DEP_2) | instskip(SKIP_1) | instid1(VALU_DEP_3)
	v_add_f32_e32 v66, v68, v5
	v_mul_f32_e32 v5, v60, v7
	v_fma_f32 v4, v60, v6, -v4
	s_delay_alu instid0(VALU_DEP_2) | instskip(NEXT) | instid1(VALU_DEP_1)
	v_fmac_f32_e32 v5, v61, v6
	v_dual_add_f32 v60, v69, v4 :: v_dual_add_f32 v43, v43, v5
	ds_load_2addr_b64 v[4:7], v55 offset0:32 offset1:48
	s_wait_dscnt 0x0
	v_mul_f32_e32 v67, v2, v5
	v_mul_f32_e32 v61, v3, v5
	s_delay_alu instid0(VALU_DEP_2) | instskip(NEXT) | instid1(VALU_DEP_2)
	v_fmac_f32_e32 v67, v3, v4
	v_fma_f32 v61, v2, v4, -v61
	s_delay_alu instid0(VALU_DEP_2) | instskip(SKIP_1) | instid1(VALU_DEP_1)
	v_add_f32_e32 v64, v64, v67
	v_mul_f32_e32 v67, v3, v7
	v_fma_f32 v67, v2, v6, -v67
	v_mul_f32_e32 v2, v2, v7
	s_delay_alu instid0(VALU_DEP_1) | instskip(NEXT) | instid1(VALU_DEP_1)
	v_dual_fmac_f32 v2, v3, v6 :: v_dual_add_f32 v67, v1, v67
	v_dual_mul_f32 v1, v62, v5 :: v_dual_add_f32 v68, v0, v2
	v_mul_f32_e32 v0, v63, v5
	s_delay_alu instid0(VALU_DEP_2) | instskip(SKIP_1) | instid1(VALU_DEP_3)
	v_fmac_f32_e32 v1, v63, v4
	v_add_f32_e32 v61, v70, v61
	v_fma_f32 v0, v62, v4, -v0
	s_delay_alu instid0(VALU_DEP_1) | instskip(SKIP_1) | instid1(VALU_DEP_1)
	v_dual_add_f32 v66, v66, v1 :: v_dual_add_f32 v65, v65, v0
	v_mul_f32_e32 v0, v63, v7
	v_fma_f32 v0, v62, v6, -v0
	s_delay_alu instid0(VALU_DEP_1) | instskip(SKIP_1) | instid1(VALU_DEP_1)
	v_add_f32_e32 v69, v60, v0
	v_mul_f32_e32 v1, v62, v7
	v_fmac_f32_e32 v1, v63, v6
	s_delay_alu instid0(VALU_DEP_1)
	v_add_f32_e32 v43, v43, v1
	ds_load_b128 v[0:3], v51 offset:80
	ds_load_2addr_b64 v[4:7], v55 offset0:64 offset1:80
	s_wait_dscnt 0x0
	v_mul_f32_e32 v60, v1, v5
	v_mul_f32_e32 v62, v0, v5
	s_delay_alu instid0(VALU_DEP_2) | instskip(NEXT) | instid1(VALU_DEP_2)
	v_fma_f32 v60, v0, v4, -v60
	v_fmac_f32_e32 v62, v1, v4
	s_delay_alu instid0(VALU_DEP_2) | instskip(SKIP_1) | instid1(VALU_DEP_3)
	v_add_f32_e32 v70, v61, v60
	v_mul_f32_e32 v60, v1, v7
	v_add_f32_e32 v64, v64, v62
	s_delay_alu instid0(VALU_DEP_2) | instskip(SKIP_1) | instid1(VALU_DEP_1)
	v_fma_f32 v60, v0, v6, -v60
	v_mul_f32_e32 v0, v0, v7
	v_dual_fmac_f32 v0, v1, v6 :: v_dual_add_f32 v1, v67, v60
	ds_load_b128 v[60:63], v51 offset:4176
	s_wait_dscnt 0x0
	v_dual_add_f32 v0, v68, v0 :: v_dual_mul_f32 v67, v61, v5
	v_mul_f32_e32 v5, v60, v5
	s_delay_alu instid0(VALU_DEP_2) | instskip(NEXT) | instid1(VALU_DEP_2)
	v_fma_f32 v67, v60, v4, -v67
	v_fmac_f32_e32 v5, v61, v4
	v_mul_f32_e32 v4, v61, v7
	s_delay_alu instid0(VALU_DEP_2) | instskip(NEXT) | instid1(VALU_DEP_2)
	v_dual_add_f32 v66, v66, v5 :: v_dual_mul_f32 v5, v60, v7
	v_fma_f32 v4, v60, v6, -v4
	s_delay_alu instid0(VALU_DEP_2) | instskip(NEXT) | instid1(VALU_DEP_1)
	v_fmac_f32_e32 v5, v61, v6
	v_dual_add_f32 v60, v69, v4 :: v_dual_add_f32 v43, v43, v5
	ds_load_2addr_b64 v[4:7], v55 offset0:96 offset1:112
	v_add_f32_e32 v65, v65, v67
	s_wait_dscnt 0x0
	v_mul_f32_e32 v67, v2, v5
	v_mul_f32_e32 v61, v3, v5
	s_delay_alu instid0(VALU_DEP_2) | instskip(NEXT) | instid1(VALU_DEP_2)
	v_fmac_f32_e32 v67, v3, v4
	v_fma_f32 v61, v2, v4, -v61
	s_delay_alu instid0(VALU_DEP_2) | instskip(SKIP_1) | instid1(VALU_DEP_1)
	v_add_f32_e32 v64, v64, v67
	v_mul_f32_e32 v67, v3, v7
	v_fma_f32 v67, v2, v6, -v67
	v_mul_f32_e32 v2, v2, v7
	s_delay_alu instid0(VALU_DEP_1) | instskip(NEXT) | instid1(VALU_DEP_1)
	v_dual_add_f32 v67, v1, v67 :: v_dual_fmac_f32 v2, v3, v6
	v_dual_mul_f32 v1, v62, v5 :: v_dual_add_f32 v68, v0, v2
	v_mul_f32_e32 v0, v63, v5
	s_delay_alu instid0(VALU_DEP_2) | instskip(SKIP_1) | instid1(VALU_DEP_3)
	v_fmac_f32_e32 v1, v63, v4
	v_add_f32_e32 v61, v70, v61
	v_fma_f32 v0, v62, v4, -v0
	s_delay_alu instid0(VALU_DEP_1) | instskip(SKIP_1) | instid1(VALU_DEP_1)
	v_dual_add_f32 v66, v66, v1 :: v_dual_add_f32 v65, v65, v0
	v_mul_f32_e32 v0, v63, v7
	v_fma_f32 v0, v62, v6, -v0
	s_delay_alu instid0(VALU_DEP_1) | instskip(SKIP_1) | instid1(VALU_DEP_1)
	v_add_f32_e32 v69, v60, v0
	v_mul_f32_e32 v1, v62, v7
	v_fmac_f32_e32 v1, v63, v6
	s_delay_alu instid0(VALU_DEP_1)
	v_add_f32_e32 v43, v43, v1
	ds_load_b128 v[0:3], v51 offset:96
	ds_load_2addr_b64 v[4:7], v55 offset0:128 offset1:144
	s_wait_dscnt 0x0
	v_mul_f32_e32 v60, v1, v5
	v_mul_f32_e32 v62, v0, v5
	s_delay_alu instid0(VALU_DEP_2) | instskip(NEXT) | instid1(VALU_DEP_2)
	v_fma_f32 v60, v0, v4, -v60
	v_fmac_f32_e32 v62, v1, v4
	s_delay_alu instid0(VALU_DEP_2) | instskip(SKIP_1) | instid1(VALU_DEP_3)
	v_add_f32_e32 v70, v61, v60
	v_mul_f32_e32 v60, v1, v7
	v_add_f32_e32 v64, v64, v62
	s_delay_alu instid0(VALU_DEP_2) | instskip(SKIP_1) | instid1(VALU_DEP_1)
	v_fma_f32 v60, v0, v6, -v60
	v_mul_f32_e32 v0, v0, v7
	v_dual_fmac_f32 v0, v1, v6 :: v_dual_add_f32 v1, v67, v60
	ds_load_b128 v[60:63], v51 offset:4192
	s_wait_dscnt 0x0
	v_dual_add_f32 v0, v68, v0 :: v_dual_mul_f32 v67, v61, v5
	v_mul_f32_e32 v5, v60, v5
	s_delay_alu instid0(VALU_DEP_2) | instskip(NEXT) | instid1(VALU_DEP_2)
	v_fma_f32 v67, v60, v4, -v67
	v_fmac_f32_e32 v5, v61, v4
	v_mul_f32_e32 v4, v61, v7
	s_delay_alu instid0(VALU_DEP_2) | instskip(SKIP_1) | instid1(VALU_DEP_3)
	v_dual_add_f32 v65, v65, v67 :: v_dual_add_f32 v66, v66, v5
	v_mul_f32_e32 v5, v60, v7
	v_fma_f32 v4, v60, v6, -v4
	s_delay_alu instid0(VALU_DEP_2) | instskip(NEXT) | instid1(VALU_DEP_1)
	v_fmac_f32_e32 v5, v61, v6
	v_dual_add_f32 v60, v69, v4 :: v_dual_add_f32 v43, v43, v5
	ds_load_2addr_b64 v[4:7], v55 offset0:160 offset1:176
	s_wait_dscnt 0x0
	v_mul_f32_e32 v67, v2, v5
	v_mul_f32_e32 v61, v3, v5
	s_delay_alu instid0(VALU_DEP_2) | instskip(NEXT) | instid1(VALU_DEP_2)
	v_fmac_f32_e32 v67, v3, v4
	v_fma_f32 v61, v2, v4, -v61
	s_delay_alu instid0(VALU_DEP_2) | instskip(SKIP_1) | instid1(VALU_DEP_1)
	v_add_f32_e32 v64, v64, v67
	v_mul_f32_e32 v67, v3, v7
	v_fma_f32 v67, v2, v6, -v67
	v_mul_f32_e32 v2, v2, v7
	s_delay_alu instid0(VALU_DEP_1) | instskip(NEXT) | instid1(VALU_DEP_1)
	v_dual_add_f32 v67, v1, v67 :: v_dual_fmac_f32 v2, v3, v6
	v_dual_mul_f32 v1, v62, v5 :: v_dual_add_f32 v68, v0, v2
	v_mul_f32_e32 v0, v63, v5
	s_delay_alu instid0(VALU_DEP_2) | instskip(NEXT) | instid1(VALU_DEP_2)
	v_fmac_f32_e32 v1, v63, v4
	v_fma_f32 v0, v62, v4, -v0
	s_delay_alu instid0(VALU_DEP_2) | instskip(SKIP_1) | instid1(VALU_DEP_3)
	v_add_f32_e32 v66, v66, v1
	v_mul_f32_e32 v1, v62, v7
	v_dual_add_f32 v65, v65, v0 :: v_dual_mul_f32 v0, v63, v7
	s_delay_alu instid0(VALU_DEP_2) | instskip(NEXT) | instid1(VALU_DEP_2)
	v_fmac_f32_e32 v1, v63, v6
	v_fma_f32 v0, v62, v6, -v0
	s_delay_alu instid0(VALU_DEP_2) | instskip(NEXT) | instid1(VALU_DEP_2)
	v_add_f32_e32 v43, v43, v1
	v_add_f32_e32 v69, v60, v0
	ds_load_b128 v[0:3], v51 offset:112
	ds_load_2addr_b64 v[4:7], v55 offset0:192 offset1:208
	v_add_f32_e32 v61, v70, v61
	s_wait_dscnt 0x0
	v_mul_f32_e32 v60, v1, v5
	v_mul_f32_e32 v62, v0, v5
	s_delay_alu instid0(VALU_DEP_2) | instskip(NEXT) | instid1(VALU_DEP_2)
	v_fma_f32 v60, v0, v4, -v60
	v_fmac_f32_e32 v62, v1, v4
	s_delay_alu instid0(VALU_DEP_2) | instskip(SKIP_1) | instid1(VALU_DEP_3)
	v_add_f32_e32 v70, v61, v60
	v_mul_f32_e32 v60, v1, v7
	v_add_f32_e32 v64, v64, v62
	s_delay_alu instid0(VALU_DEP_2) | instskip(SKIP_1) | instid1(VALU_DEP_1)
	v_fma_f32 v60, v0, v6, -v60
	v_mul_f32_e32 v0, v0, v7
	v_dual_fmac_f32 v0, v1, v6 :: v_dual_add_f32 v1, v67, v60
	ds_load_b128 v[60:63], v51 offset:4208
	s_wait_dscnt 0x0
	v_dual_add_f32 v0, v68, v0 :: v_dual_mul_f32 v67, v61, v5
	v_mul_f32_e32 v5, v60, v5
	s_delay_alu instid0(VALU_DEP_2) | instskip(NEXT) | instid1(VALU_DEP_2)
	v_fma_f32 v67, v60, v4, -v67
	v_fmac_f32_e32 v5, v61, v4
	v_mul_f32_e32 v4, v61, v7
	s_delay_alu instid0(VALU_DEP_2) | instskip(SKIP_1) | instid1(VALU_DEP_3)
	v_dual_add_f32 v65, v65, v67 :: v_dual_add_f32 v66, v66, v5
	v_mul_f32_e32 v5, v60, v7
	v_fma_f32 v4, v60, v6, -v4
	s_delay_alu instid0(VALU_DEP_2) | instskip(NEXT) | instid1(VALU_DEP_1)
	v_fmac_f32_e32 v5, v61, v6
	v_dual_add_f32 v60, v69, v4 :: v_dual_add_f32 v43, v43, v5
	ds_load_2addr_b64 v[4:7], v55 offset0:224 offset1:240
	s_wait_dscnt 0x0
	v_mul_f32_e32 v67, v2, v5
	v_mul_f32_e32 v61, v3, v5
	s_delay_alu instid0(VALU_DEP_2) | instskip(NEXT) | instid1(VALU_DEP_2)
	v_fmac_f32_e32 v67, v3, v4
	v_fma_f32 v61, v2, v4, -v61
	s_delay_alu instid0(VALU_DEP_2) | instskip(SKIP_1) | instid1(VALU_DEP_1)
	v_add_f32_e32 v64, v64, v67
	v_mul_f32_e32 v67, v3, v7
	v_fma_f32 v67, v2, v6, -v67
	v_mul_f32_e32 v2, v2, v7
	s_delay_alu instid0(VALU_DEP_1) | instskip(NEXT) | instid1(VALU_DEP_1)
	v_dual_add_f32 v67, v1, v67 :: v_dual_fmac_f32 v2, v3, v6
	v_dual_mul_f32 v1, v62, v5 :: v_dual_add_f32 v68, v0, v2
	v_mul_f32_e32 v0, v63, v5
	s_delay_alu instid0(VALU_DEP_2) | instskip(NEXT) | instid1(VALU_DEP_2)
	v_fmac_f32_e32 v1, v63, v4
	v_fma_f32 v0, v62, v4, -v0
	s_delay_alu instid0(VALU_DEP_2) | instskip(SKIP_1) | instid1(VALU_DEP_3)
	v_add_f32_e32 v66, v66, v1
	v_mul_f32_e32 v1, v62, v7
	v_dual_add_f32 v65, v65, v0 :: v_dual_mul_f32 v0, v63, v7
	s_delay_alu instid0(VALU_DEP_2) | instskip(NEXT) | instid1(VALU_DEP_2)
	v_fmac_f32_e32 v1, v63, v6
	v_fma_f32 v0, v62, v6, -v0
	s_delay_alu instid0(VALU_DEP_2) | instskip(NEXT) | instid1(VALU_DEP_2)
	v_add_f32_e32 v43, v43, v1
	v_add_f32_e32 v69, v60, v0
	ds_load_b128 v[0:3], v51 offset:128
	ds_load_2addr_b64 v[4:7], v56 offset1:16
	v_add_f32_e32 v61, v70, v61
	s_wait_dscnt 0x0
	v_mul_f32_e32 v60, v1, v5
	v_mul_f32_e32 v62, v0, v5
	s_delay_alu instid0(VALU_DEP_2) | instskip(NEXT) | instid1(VALU_DEP_2)
	v_fma_f32 v60, v0, v4, -v60
	v_fmac_f32_e32 v62, v1, v4
	s_delay_alu instid0(VALU_DEP_2) | instskip(SKIP_1) | instid1(VALU_DEP_3)
	v_add_f32_e32 v70, v61, v60
	v_mul_f32_e32 v60, v1, v7
	v_add_f32_e32 v64, v64, v62
	s_delay_alu instid0(VALU_DEP_2) | instskip(SKIP_1) | instid1(VALU_DEP_1)
	v_fma_f32 v60, v0, v6, -v60
	v_mul_f32_e32 v0, v0, v7
	v_dual_fmac_f32 v0, v1, v6 :: v_dual_add_f32 v1, v67, v60
	ds_load_b128 v[60:63], v51 offset:4224
	s_wait_dscnt 0x0
	v_dual_add_f32 v0, v68, v0 :: v_dual_mul_f32 v67, v61, v5
	v_mul_f32_e32 v5, v60, v5
	s_delay_alu instid0(VALU_DEP_2) | instskip(NEXT) | instid1(VALU_DEP_2)
	v_fma_f32 v67, v60, v4, -v67
	v_fmac_f32_e32 v5, v61, v4
	v_mul_f32_e32 v4, v61, v7
	s_delay_alu instid0(VALU_DEP_2) | instskip(SKIP_1) | instid1(VALU_DEP_3)
	v_dual_add_f32 v65, v65, v67 :: v_dual_add_f32 v66, v66, v5
	v_mul_f32_e32 v5, v60, v7
	v_fma_f32 v4, v60, v6, -v4
	s_delay_alu instid0(VALU_DEP_2) | instskip(NEXT) | instid1(VALU_DEP_1)
	v_fmac_f32_e32 v5, v61, v6
	v_dual_add_f32 v60, v69, v4 :: v_dual_add_f32 v43, v43, v5
	ds_load_2addr_b64 v[4:7], v56 offset0:32 offset1:48
	s_wait_dscnt 0x0
	v_mul_f32_e32 v67, v2, v5
	v_mul_f32_e32 v61, v3, v5
	s_delay_alu instid0(VALU_DEP_2) | instskip(NEXT) | instid1(VALU_DEP_2)
	v_fmac_f32_e32 v67, v3, v4
	v_fma_f32 v61, v2, v4, -v61
	s_delay_alu instid0(VALU_DEP_2) | instskip(SKIP_1) | instid1(VALU_DEP_3)
	v_add_f32_e32 v64, v64, v67
	v_mul_f32_e32 v67, v3, v7
	v_add_f32_e32 v61, v70, v61
	s_delay_alu instid0(VALU_DEP_2) | instskip(SKIP_1) | instid1(VALU_DEP_1)
	v_fma_f32 v67, v2, v6, -v67
	v_mul_f32_e32 v2, v2, v7
	v_dual_add_f32 v67, v1, v67 :: v_dual_fmac_f32 v2, v3, v6
	s_delay_alu instid0(VALU_DEP_1) | instskip(SKIP_1) | instid1(VALU_DEP_2)
	v_dual_mul_f32 v1, v62, v5 :: v_dual_add_f32 v68, v0, v2
	v_mul_f32_e32 v0, v63, v5
	v_fmac_f32_e32 v1, v63, v4
	s_delay_alu instid0(VALU_DEP_2) | instskip(NEXT) | instid1(VALU_DEP_2)
	v_fma_f32 v0, v62, v4, -v0
	v_add_f32_e32 v66, v66, v1
	v_mul_f32_e32 v1, v62, v7
	s_delay_alu instid0(VALU_DEP_3) | instskip(NEXT) | instid1(VALU_DEP_2)
	v_dual_add_f32 v65, v65, v0 :: v_dual_mul_f32 v0, v63, v7
	v_fmac_f32_e32 v1, v63, v6
	s_delay_alu instid0(VALU_DEP_2) | instskip(NEXT) | instid1(VALU_DEP_2)
	v_fma_f32 v0, v62, v6, -v0
	v_add_f32_e32 v43, v43, v1
	s_delay_alu instid0(VALU_DEP_2)
	v_add_f32_e32 v69, v60, v0
	ds_load_b128 v[0:3], v51 offset:144
	ds_load_2addr_b64 v[4:7], v56 offset0:64 offset1:80
	s_wait_dscnt 0x0
	v_mul_f32_e32 v60, v1, v5
	v_mul_f32_e32 v62, v0, v5
	s_delay_alu instid0(VALU_DEP_2) | instskip(NEXT) | instid1(VALU_DEP_2)
	v_fma_f32 v60, v0, v4, -v60
	v_fmac_f32_e32 v62, v1, v4
	s_delay_alu instid0(VALU_DEP_2) | instskip(SKIP_1) | instid1(VALU_DEP_3)
	v_add_f32_e32 v70, v61, v60
	v_mul_f32_e32 v60, v1, v7
	v_add_f32_e32 v64, v64, v62
	s_delay_alu instid0(VALU_DEP_2) | instskip(SKIP_1) | instid1(VALU_DEP_1)
	v_fma_f32 v60, v0, v6, -v60
	v_mul_f32_e32 v0, v0, v7
	v_dual_fmac_f32 v0, v1, v6 :: v_dual_add_f32 v1, v67, v60
	ds_load_b128 v[60:63], v51 offset:4240
	s_wait_dscnt 0x0
	v_dual_add_f32 v0, v68, v0 :: v_dual_mul_f32 v67, v61, v5
	v_mul_f32_e32 v5, v60, v5
	s_delay_alu instid0(VALU_DEP_2) | instskip(NEXT) | instid1(VALU_DEP_2)
	v_fma_f32 v67, v60, v4, -v67
	v_fmac_f32_e32 v5, v61, v4
	v_mul_f32_e32 v4, v61, v7
	s_delay_alu instid0(VALU_DEP_2) | instskip(SKIP_1) | instid1(VALU_DEP_3)
	v_dual_add_f32 v65, v65, v67 :: v_dual_add_f32 v66, v66, v5
	v_mul_f32_e32 v5, v60, v7
	v_fma_f32 v4, v60, v6, -v4
	s_delay_alu instid0(VALU_DEP_2) | instskip(NEXT) | instid1(VALU_DEP_1)
	v_fmac_f32_e32 v5, v61, v6
	v_dual_add_f32 v60, v69, v4 :: v_dual_add_f32 v43, v43, v5
	ds_load_2addr_b64 v[4:7], v56 offset0:96 offset1:112
	s_wait_dscnt 0x0
	v_mul_f32_e32 v67, v2, v5
	v_mul_f32_e32 v61, v3, v5
	s_delay_alu instid0(VALU_DEP_2) | instskip(NEXT) | instid1(VALU_DEP_2)
	v_fmac_f32_e32 v67, v3, v4
	v_fma_f32 v61, v2, v4, -v61
	s_delay_alu instid0(VALU_DEP_2) | instskip(SKIP_1) | instid1(VALU_DEP_3)
	v_add_f32_e32 v64, v64, v67
	v_mul_f32_e32 v67, v3, v7
	v_add_f32_e32 v61, v70, v61
	s_delay_alu instid0(VALU_DEP_2) | instskip(SKIP_1) | instid1(VALU_DEP_1)
	v_fma_f32 v67, v2, v6, -v67
	v_mul_f32_e32 v2, v2, v7
	v_dual_add_f32 v67, v1, v67 :: v_dual_fmac_f32 v2, v3, v6
	s_delay_alu instid0(VALU_DEP_1) | instskip(SKIP_1) | instid1(VALU_DEP_2)
	v_dual_mul_f32 v1, v62, v5 :: v_dual_add_f32 v68, v0, v2
	v_mul_f32_e32 v0, v63, v5
	v_fmac_f32_e32 v1, v63, v4
	s_delay_alu instid0(VALU_DEP_2) | instskip(NEXT) | instid1(VALU_DEP_2)
	v_fma_f32 v0, v62, v4, -v0
	v_add_f32_e32 v66, v66, v1
	v_mul_f32_e32 v1, v62, v7
	s_delay_alu instid0(VALU_DEP_3) | instskip(NEXT) | instid1(VALU_DEP_2)
	v_dual_add_f32 v65, v65, v0 :: v_dual_mul_f32 v0, v63, v7
	v_fmac_f32_e32 v1, v63, v6
	s_delay_alu instid0(VALU_DEP_2) | instskip(NEXT) | instid1(VALU_DEP_2)
	v_fma_f32 v0, v62, v6, -v0
	v_add_f32_e32 v43, v43, v1
	s_delay_alu instid0(VALU_DEP_2)
	v_add_f32_e32 v69, v60, v0
	ds_load_b128 v[0:3], v51 offset:160
	ds_load_2addr_b64 v[4:7], v56 offset0:128 offset1:144
	;; [unrolled: 62-line block ×3, first 2 shown]
	s_wait_dscnt 0x0
	v_mul_f32_e32 v60, v1, v5
	v_mul_f32_e32 v62, v0, v5
	s_delay_alu instid0(VALU_DEP_2) | instskip(NEXT) | instid1(VALU_DEP_2)
	v_fma_f32 v60, v0, v4, -v60
	v_fmac_f32_e32 v62, v1, v4
	s_delay_alu instid0(VALU_DEP_2) | instskip(SKIP_1) | instid1(VALU_DEP_3)
	v_add_f32_e32 v70, v61, v60
	v_mul_f32_e32 v60, v1, v7
	v_add_f32_e32 v64, v64, v62
	s_delay_alu instid0(VALU_DEP_2) | instskip(SKIP_1) | instid1(VALU_DEP_1)
	v_fma_f32 v60, v0, v6, -v60
	v_mul_f32_e32 v0, v0, v7
	v_dual_fmac_f32 v0, v1, v6 :: v_dual_add_f32 v1, v67, v60
	ds_load_b128 v[60:63], v51 offset:4272
	s_wait_dscnt 0x0
	v_dual_add_f32 v0, v68, v0 :: v_dual_mul_f32 v67, v61, v5
	v_mul_f32_e32 v5, v60, v5
	s_delay_alu instid0(VALU_DEP_2) | instskip(NEXT) | instid1(VALU_DEP_2)
	v_fma_f32 v67, v60, v4, -v67
	v_fmac_f32_e32 v5, v61, v4
	v_mul_f32_e32 v4, v61, v7
	s_delay_alu instid0(VALU_DEP_2) | instskip(SKIP_1) | instid1(VALU_DEP_3)
	v_dual_add_f32 v65, v65, v67 :: v_dual_add_f32 v66, v66, v5
	v_mul_f32_e32 v5, v60, v7
	v_fma_f32 v4, v60, v6, -v4
	s_delay_alu instid0(VALU_DEP_2) | instskip(NEXT) | instid1(VALU_DEP_1)
	v_fmac_f32_e32 v5, v61, v6
	v_dual_add_f32 v60, v69, v4 :: v_dual_add_f32 v43, v43, v5
	ds_load_2addr_b64 v[4:7], v56 offset0:224 offset1:240
	s_wait_dscnt 0x0
	v_mul_f32_e32 v67, v2, v5
	v_mul_f32_e32 v61, v3, v5
	s_delay_alu instid0(VALU_DEP_2) | instskip(NEXT) | instid1(VALU_DEP_2)
	v_fmac_f32_e32 v67, v3, v4
	v_fma_f32 v61, v2, v4, -v61
	s_delay_alu instid0(VALU_DEP_2) | instskip(SKIP_1) | instid1(VALU_DEP_3)
	v_add_f32_e32 v64, v64, v67
	v_mul_f32_e32 v67, v3, v7
	v_add_f32_e32 v61, v70, v61
	s_delay_alu instid0(VALU_DEP_2) | instskip(SKIP_1) | instid1(VALU_DEP_1)
	v_fma_f32 v67, v2, v6, -v67
	v_mul_f32_e32 v2, v2, v7
	v_dual_add_f32 v67, v1, v67 :: v_dual_fmac_f32 v2, v3, v6
	s_delay_alu instid0(VALU_DEP_1) | instskip(SKIP_1) | instid1(VALU_DEP_2)
	v_dual_mul_f32 v1, v62, v5 :: v_dual_add_f32 v68, v0, v2
	v_mul_f32_e32 v0, v63, v5
	v_fmac_f32_e32 v1, v63, v4
	s_delay_alu instid0(VALU_DEP_2) | instskip(NEXT) | instid1(VALU_DEP_2)
	v_fma_f32 v0, v62, v4, -v0
	v_add_f32_e32 v66, v66, v1
	v_mul_f32_e32 v1, v62, v7
	s_delay_alu instid0(VALU_DEP_3) | instskip(NEXT) | instid1(VALU_DEP_2)
	v_dual_add_f32 v65, v65, v0 :: v_dual_mul_f32 v0, v63, v7
	v_fmac_f32_e32 v1, v63, v6
	s_delay_alu instid0(VALU_DEP_2) | instskip(NEXT) | instid1(VALU_DEP_2)
	v_fma_f32 v0, v62, v6, -v0
	v_add_f32_e32 v43, v43, v1
	s_delay_alu instid0(VALU_DEP_2)
	v_add_f32_e32 v69, v60, v0
	ds_load_b128 v[0:3], v51 offset:192
	ds_load_2addr_b64 v[4:7], v57 offset1:16
	s_wait_dscnt 0x0
	v_mul_f32_e32 v60, v1, v5
	v_mul_f32_e32 v62, v0, v5
	s_delay_alu instid0(VALU_DEP_2) | instskip(NEXT) | instid1(VALU_DEP_2)
	v_fma_f32 v60, v0, v4, -v60
	v_fmac_f32_e32 v62, v1, v4
	s_delay_alu instid0(VALU_DEP_2) | instskip(SKIP_1) | instid1(VALU_DEP_3)
	v_add_f32_e32 v70, v61, v60
	v_mul_f32_e32 v60, v1, v7
	v_add_f32_e32 v64, v64, v62
	s_delay_alu instid0(VALU_DEP_2) | instskip(SKIP_1) | instid1(VALU_DEP_1)
	v_fma_f32 v60, v0, v6, -v60
	v_mul_f32_e32 v0, v0, v7
	v_dual_fmac_f32 v0, v1, v6 :: v_dual_add_f32 v1, v67, v60
	ds_load_b128 v[60:63], v51 offset:4288
	s_wait_dscnt 0x0
	v_dual_add_f32 v0, v68, v0 :: v_dual_mul_f32 v67, v61, v5
	v_mul_f32_e32 v5, v60, v5
	s_delay_alu instid0(VALU_DEP_2) | instskip(NEXT) | instid1(VALU_DEP_2)
	v_fma_f32 v67, v60, v4, -v67
	v_fmac_f32_e32 v5, v61, v4
	v_mul_f32_e32 v4, v61, v7
	s_delay_alu instid0(VALU_DEP_2) | instskip(SKIP_1) | instid1(VALU_DEP_3)
	v_dual_add_f32 v65, v65, v67 :: v_dual_add_f32 v66, v66, v5
	v_mul_f32_e32 v5, v60, v7
	v_fma_f32 v4, v60, v6, -v4
	s_delay_alu instid0(VALU_DEP_2) | instskip(NEXT) | instid1(VALU_DEP_1)
	v_fmac_f32_e32 v5, v61, v6
	v_dual_add_f32 v60, v69, v4 :: v_dual_add_f32 v43, v43, v5
	ds_load_2addr_b64 v[4:7], v57 offset0:32 offset1:48
	s_wait_dscnt 0x0
	v_mul_f32_e32 v67, v2, v5
	v_mul_f32_e32 v61, v3, v5
	s_delay_alu instid0(VALU_DEP_2) | instskip(NEXT) | instid1(VALU_DEP_2)
	v_fmac_f32_e32 v67, v3, v4
	v_fma_f32 v61, v2, v4, -v61
	s_delay_alu instid0(VALU_DEP_2) | instskip(SKIP_1) | instid1(VALU_DEP_3)
	v_add_f32_e32 v64, v64, v67
	v_mul_f32_e32 v67, v3, v7
	v_add_f32_e32 v61, v70, v61
	s_delay_alu instid0(VALU_DEP_2) | instskip(SKIP_1) | instid1(VALU_DEP_1)
	v_fma_f32 v67, v2, v6, -v67
	v_mul_f32_e32 v2, v2, v7
	v_dual_add_f32 v67, v1, v67 :: v_dual_fmac_f32 v2, v3, v6
	s_delay_alu instid0(VALU_DEP_1) | instskip(SKIP_1) | instid1(VALU_DEP_2)
	v_dual_mul_f32 v1, v62, v5 :: v_dual_add_f32 v68, v0, v2
	v_mul_f32_e32 v0, v63, v5
	v_fmac_f32_e32 v1, v63, v4
	s_delay_alu instid0(VALU_DEP_2) | instskip(NEXT) | instid1(VALU_DEP_2)
	v_fma_f32 v0, v62, v4, -v0
	v_add_f32_e32 v66, v66, v1
	v_mul_f32_e32 v1, v62, v7
	s_delay_alu instid0(VALU_DEP_3) | instskip(NEXT) | instid1(VALU_DEP_2)
	v_dual_add_f32 v65, v65, v0 :: v_dual_mul_f32 v0, v63, v7
	v_fmac_f32_e32 v1, v63, v6
	s_delay_alu instid0(VALU_DEP_2) | instskip(NEXT) | instid1(VALU_DEP_2)
	v_fma_f32 v0, v62, v6, -v0
	v_add_f32_e32 v43, v43, v1
	s_delay_alu instid0(VALU_DEP_2)
	v_add_f32_e32 v69, v60, v0
	ds_load_b128 v[0:3], v51 offset:208
	ds_load_2addr_b64 v[4:7], v57 offset0:64 offset1:80
	s_wait_dscnt 0x0
	v_mul_f32_e32 v60, v1, v5
	v_mul_f32_e32 v62, v0, v5
	s_delay_alu instid0(VALU_DEP_2) | instskip(NEXT) | instid1(VALU_DEP_2)
	v_fma_f32 v60, v0, v4, -v60
	v_fmac_f32_e32 v62, v1, v4
	s_delay_alu instid0(VALU_DEP_2) | instskip(SKIP_1) | instid1(VALU_DEP_3)
	v_add_f32_e32 v70, v61, v60
	v_mul_f32_e32 v60, v1, v7
	v_add_f32_e32 v64, v64, v62
	s_delay_alu instid0(VALU_DEP_2) | instskip(SKIP_1) | instid1(VALU_DEP_1)
	v_fma_f32 v60, v0, v6, -v60
	v_mul_f32_e32 v0, v0, v7
	v_dual_fmac_f32 v0, v1, v6 :: v_dual_add_f32 v1, v67, v60
	ds_load_b128 v[60:63], v51 offset:4304
	s_wait_dscnt 0x0
	v_dual_add_f32 v0, v68, v0 :: v_dual_mul_f32 v67, v61, v5
	v_mul_f32_e32 v5, v60, v5
	s_delay_alu instid0(VALU_DEP_2) | instskip(NEXT) | instid1(VALU_DEP_2)
	v_fma_f32 v67, v60, v4, -v67
	v_fmac_f32_e32 v5, v61, v4
	v_mul_f32_e32 v4, v61, v7
	s_delay_alu instid0(VALU_DEP_2) | instskip(SKIP_1) | instid1(VALU_DEP_3)
	v_dual_add_f32 v65, v65, v67 :: v_dual_add_f32 v66, v66, v5
	v_mul_f32_e32 v5, v60, v7
	v_fma_f32 v4, v60, v6, -v4
	s_delay_alu instid0(VALU_DEP_2) | instskip(NEXT) | instid1(VALU_DEP_1)
	v_fmac_f32_e32 v5, v61, v6
	v_dual_add_f32 v60, v69, v4 :: v_dual_add_f32 v43, v43, v5
	ds_load_2addr_b64 v[4:7], v57 offset0:96 offset1:112
	s_wait_dscnt 0x0
	v_mul_f32_e32 v67, v2, v5
	v_mul_f32_e32 v61, v3, v5
	s_delay_alu instid0(VALU_DEP_2) | instskip(NEXT) | instid1(VALU_DEP_2)
	v_fmac_f32_e32 v67, v3, v4
	v_fma_f32 v61, v2, v4, -v61
	s_delay_alu instid0(VALU_DEP_2) | instskip(SKIP_1) | instid1(VALU_DEP_3)
	v_add_f32_e32 v64, v64, v67
	v_mul_f32_e32 v67, v3, v7
	v_add_f32_e32 v61, v70, v61
	s_delay_alu instid0(VALU_DEP_2) | instskip(SKIP_1) | instid1(VALU_DEP_1)
	v_fma_f32 v67, v2, v6, -v67
	v_mul_f32_e32 v2, v2, v7
	v_dual_add_f32 v67, v1, v67 :: v_dual_fmac_f32 v2, v3, v6
	s_delay_alu instid0(VALU_DEP_1) | instskip(SKIP_1) | instid1(VALU_DEP_2)
	v_dual_mul_f32 v1, v62, v5 :: v_dual_add_f32 v68, v0, v2
	v_mul_f32_e32 v0, v63, v5
	v_fmac_f32_e32 v1, v63, v4
	s_delay_alu instid0(VALU_DEP_2) | instskip(NEXT) | instid1(VALU_DEP_2)
	v_fma_f32 v0, v62, v4, -v0
	v_add_f32_e32 v66, v66, v1
	v_mul_f32_e32 v1, v62, v7
	s_delay_alu instid0(VALU_DEP_3) | instskip(NEXT) | instid1(VALU_DEP_2)
	v_dual_add_f32 v65, v65, v0 :: v_dual_mul_f32 v0, v63, v7
	v_fmac_f32_e32 v1, v63, v6
	s_delay_alu instid0(VALU_DEP_2) | instskip(NEXT) | instid1(VALU_DEP_2)
	v_fma_f32 v0, v62, v6, -v0
	v_add_f32_e32 v43, v43, v1
	s_delay_alu instid0(VALU_DEP_2)
	v_add_f32_e32 v69, v60, v0
	ds_load_b128 v[0:3], v51 offset:224
	ds_load_2addr_b64 v[4:7], v57 offset0:128 offset1:144
	s_wait_dscnt 0x0
	v_mul_f32_e32 v60, v1, v5
	v_mul_f32_e32 v62, v0, v5
	s_delay_alu instid0(VALU_DEP_2) | instskip(NEXT) | instid1(VALU_DEP_2)
	v_fma_f32 v60, v0, v4, -v60
	v_fmac_f32_e32 v62, v1, v4
	s_delay_alu instid0(VALU_DEP_2) | instskip(SKIP_1) | instid1(VALU_DEP_3)
	v_add_f32_e32 v70, v61, v60
	v_mul_f32_e32 v60, v1, v7
	v_add_f32_e32 v64, v64, v62
	s_delay_alu instid0(VALU_DEP_2) | instskip(SKIP_1) | instid1(VALU_DEP_1)
	v_fma_f32 v60, v0, v6, -v60
	v_mul_f32_e32 v0, v0, v7
	v_dual_fmac_f32 v0, v1, v6 :: v_dual_add_f32 v1, v67, v60
	ds_load_b128 v[60:63], v51 offset:4320
	s_wait_dscnt 0x0
	v_dual_add_f32 v0, v68, v0 :: v_dual_mul_f32 v67, v61, v5
	v_mul_f32_e32 v5, v60, v5
	s_delay_alu instid0(VALU_DEP_2) | instskip(NEXT) | instid1(VALU_DEP_2)
	v_fma_f32 v67, v60, v4, -v67
	v_fmac_f32_e32 v5, v61, v4
	v_mul_f32_e32 v4, v61, v7
	s_delay_alu instid0(VALU_DEP_2) | instskip(SKIP_1) | instid1(VALU_DEP_3)
	v_dual_add_f32 v65, v65, v67 :: v_dual_add_f32 v66, v66, v5
	v_mul_f32_e32 v5, v60, v7
	v_fma_f32 v4, v60, v6, -v4
	s_delay_alu instid0(VALU_DEP_2) | instskip(NEXT) | instid1(VALU_DEP_1)
	v_fmac_f32_e32 v5, v61, v6
	v_dual_add_f32 v60, v69, v4 :: v_dual_add_f32 v43, v43, v5
	ds_load_2addr_b64 v[4:7], v57 offset0:160 offset1:176
	s_wait_dscnt 0x0
	v_mul_f32_e32 v67, v2, v5
	v_mul_f32_e32 v61, v3, v5
	s_delay_alu instid0(VALU_DEP_2) | instskip(NEXT) | instid1(VALU_DEP_2)
	v_fmac_f32_e32 v67, v3, v4
	v_fma_f32 v61, v2, v4, -v61
	s_delay_alu instid0(VALU_DEP_2) | instskip(SKIP_1) | instid1(VALU_DEP_3)
	v_add_f32_e32 v64, v64, v67
	v_mul_f32_e32 v67, v3, v7
	v_add_f32_e32 v61, v70, v61
	s_delay_alu instid0(VALU_DEP_2) | instskip(SKIP_1) | instid1(VALU_DEP_1)
	v_fma_f32 v67, v2, v6, -v67
	v_mul_f32_e32 v2, v2, v7
	v_dual_add_f32 v67, v1, v67 :: v_dual_fmac_f32 v2, v3, v6
	s_delay_alu instid0(VALU_DEP_1) | instskip(SKIP_1) | instid1(VALU_DEP_2)
	v_dual_mul_f32 v1, v62, v5 :: v_dual_add_f32 v68, v0, v2
	v_mul_f32_e32 v0, v63, v5
	v_fmac_f32_e32 v1, v63, v4
	s_delay_alu instid0(VALU_DEP_2) | instskip(NEXT) | instid1(VALU_DEP_2)
	v_fma_f32 v0, v62, v4, -v0
	v_add_f32_e32 v70, v66, v1
	v_mul_f32_e32 v1, v62, v7
	s_delay_alu instid0(VALU_DEP_3) | instskip(NEXT) | instid1(VALU_DEP_2)
	v_dual_add_f32 v69, v65, v0 :: v_dual_mul_f32 v0, v63, v7
	v_fmac_f32_e32 v1, v63, v6
	s_delay_alu instid0(VALU_DEP_2) | instskip(NEXT) | instid1(VALU_DEP_1)
	v_fma_f32 v0, v62, v6, -v0
	v_dual_add_f32 v43, v43, v1 :: v_dual_add_f32 v60, v60, v0
	ds_load_b128 v[0:3], v51 offset:240
	ds_load_2addr_b64 v[4:7], v57 offset0:192 offset1:208
	s_wait_dscnt 0x0
	v_mul_f32_e32 v62, v1, v5
	v_mul_f32_e32 v63, v0, v5
	s_delay_alu instid0(VALU_DEP_2) | instskip(NEXT) | instid1(VALU_DEP_2)
	v_fma_f32 v62, v0, v4, -v62
	v_fmac_f32_e32 v63, v1, v4
	s_delay_alu instid0(VALU_DEP_1) | instskip(SKIP_1) | instid1(VALU_DEP_1)
	v_dual_add_f32 v61, v61, v62 :: v_dual_add_f32 v62, v64, v63
	v_mul_f32_e32 v63, v1, v7
	v_fma_f32 v63, v0, v6, -v63
	v_mul_f32_e32 v0, v0, v7
	s_delay_alu instid0(VALU_DEP_1) | instskip(NEXT) | instid1(VALU_DEP_1)
	v_dual_fmac_f32 v0, v1, v6 :: v_dual_add_f32 v1, v67, v63
	v_add_f32_e32 v0, v68, v0
	ds_load_b128 v[65:68], v51 offset:4336
	s_wait_dscnt 0x0
	v_mul_f32_e32 v63, v66, v5
	v_mul_f32_e32 v5, v65, v5
	s_delay_alu instid0(VALU_DEP_2) | instskip(NEXT) | instid1(VALU_DEP_2)
	v_fma_f32 v63, v65, v4, -v63
	v_fmac_f32_e32 v5, v66, v4
	v_mul_f32_e32 v4, v66, v7
	s_delay_alu instid0(VALU_DEP_2) | instskip(SKIP_1) | instid1(VALU_DEP_3)
	v_dual_add_f32 v69, v69, v63 :: v_dual_add_f32 v70, v70, v5
	v_mul_f32_e32 v5, v65, v7
	v_fma_f32 v4, v65, v6, -v4
	s_delay_alu instid0(VALU_DEP_1) | instskip(NEXT) | instid1(VALU_DEP_1)
	v_dual_fmac_f32 v5, v66, v6 :: v_dual_add_f32 v60, v60, v4
	v_add_f32_e32 v43, v43, v5
	ds_load_2addr_b64 v[4:7], v57 offset0:224 offset1:240
	s_wait_loadcnt_dscnt 0x0
	s_barrier_signal -1
	s_barrier_wait -1
	global_inv scope:SCOPE_SE
	v_mul_f32_e32 v63, v3, v5
	v_mul_f32_e32 v64, v2, v5
	s_delay_alu instid0(VALU_DEP_2) | instskip(NEXT) | instid1(VALU_DEP_1)
	v_fma_f32 v63, v2, v4, -v63
	v_dual_fmac_f32 v64, v3, v4 :: v_dual_add_f32 v65, v61, v63
	s_delay_alu instid0(VALU_DEP_1) | instskip(NEXT) | instid1(VALU_DEP_1)
	v_dual_mul_f32 v61, v3, v7 :: v_dual_add_f32 v66, v62, v64
	v_fma_f32 v61, v2, v6, -v61
	s_delay_alu instid0(VALU_DEP_1) | instskip(NEXT) | instid1(VALU_DEP_1)
	v_dual_mul_f32 v2, v2, v7 :: v_dual_add_f32 v63, v1, v61
	v_fmac_f32_e32 v2, v3, v6
	s_delay_alu instid0(VALU_DEP_1) | instskip(SKIP_1) | instid1(VALU_DEP_2)
	v_dual_mul_f32 v1, v67, v5 :: v_dual_add_f32 v64, v0, v2
	v_mul_f32_e32 v0, v68, v5
	v_fmac_f32_e32 v1, v68, v4
	s_delay_alu instid0(VALU_DEP_2) | instskip(NEXT) | instid1(VALU_DEP_2)
	v_fma_f32 v0, v67, v4, -v0
	v_add_f32_e32 v61, v70, v1
	s_delay_alu instid0(VALU_DEP_2) | instskip(SKIP_1) | instid1(VALU_DEP_2)
	v_dual_mul_f32 v1, v67, v7 :: v_dual_add_f32 v62, v69, v0
	v_mul_f32_e32 v0, v68, v7
	v_fmac_f32_e32 v1, v68, v6
	s_delay_alu instid0(VALU_DEP_2) | instskip(NEXT) | instid1(VALU_DEP_1)
	v_fma_f32 v0, v67, v6, -v0
	v_dual_add_f32 v43, v43, v1 :: v_dual_add_f32 v60, v60, v0
	s_cbranch_scc1 .LBB82_59
.LBB82_11:                              ;   Parent Loop BB82_4 Depth=1
                                        ;     Parent Loop BB82_8 Depth=2
                                        ; =>    This Inner Loop Header: Depth=3
	s_wait_alu 0xfffe
	v_add_co_u32 v2, s5, v48, s38
	s_wait_alu 0xf1ff
	v_add_co_ci_u32_e64 v3, null, 0, s39, s5
	v_cmp_eq_u64_e64 s7, s[38:39], v[16:17]
	s_delay_alu instid0(VALU_DEP_2)
	v_cmp_le_i64_e64 s6, s[42:43], v[2:3]
	v_cmp_gt_i64_e64 s5, v[2:3], v[10:11]
	s_and_b32 s56, s51, s7
	v_add_co_u32 v0, s7, v36, s26
	s_wait_alu 0xf1ff
	v_add_co_ci_u32_e64 v1, null, s27, v37, s7
	s_or_b32 s8, s6, s5
	s_wait_alu 0xfffe
	s_or_b32 s7, s8, s56
	s_wait_alu 0xfffe
	s_nor_b32 s7, s0, s7
	s_wait_alu 0xfffe
	s_and_saveexec_b32 s8, s7
	s_wait_alu 0xfffe
	s_xor_b32 s7, exec_lo, s8
	s_cbranch_execz .LBB82_13
; %bb.12:                               ;   in Loop: Header=BB82_11 Depth=3
	global_load_b64 v[4:5], v[0:1], off
	s_wait_loadcnt 0x0
	v_xor_b32_e32 v5, 0x80000000, v5
	ds_store_b64 v52, v[4:5]
.LBB82_13:                              ;   in Loop: Header=BB82_11 Depth=3
	s_wait_alu 0xfffe
	s_or_saveexec_b32 s7, s7
	s_xor_b32 s55, s56, -1
	s_wait_alu 0xfffe
	s_xor_b32 exec_lo, exec_lo, s7
	s_cbranch_execz .LBB82_19
; %bb.14:                               ;   in Loop: Header=BB82_11 Depth=3
	s_and_saveexec_b32 s8, s55
	s_wait_alu 0xfffe
	s_xor_b32 s8, exec_lo, s8
; %bb.15:                               ;   in Loop: Header=BB82_11 Depth=3
	v_dual_mov_b32 v4, v9 :: v_dual_mov_b32 v5, v9
	ds_store_b64 v52, v[4:5]
; %bb.16:                               ;   in Loop: Header=BB82_11 Depth=3
	s_wait_alu 0xfffe
	s_and_not1_saveexec_b32 s8, s8
; %bb.17:                               ;   in Loop: Header=BB82_11 Depth=3
	ds_store_b64 v52, v[8:9]
; %bb.18:                               ;   in Loop: Header=BB82_11 Depth=3
	s_wait_alu 0xfffe
	s_or_b32 exec_lo, exec_lo, s8
.LBB82_19:                              ;   in Loop: Header=BB82_11 Depth=3
	s_delay_alu instid0(SALU_CYCLE_1)
	s_or_b32 exec_lo, exec_lo, s7
	v_cmp_eq_u64_e64 s7, s[38:39], v[18:19]
	v_cmp_lt_i64_e64 s8, v[14:15], v[2:3]
	s_and_b32 s7, s51, s7
	s_or_b32 s6, s6, s8
	s_wait_alu 0xfffe
	s_or_b32 s6, s6, s7
	s_wait_alu 0xfffe
	s_nor_b32 s6, s3, s6
	s_wait_alu 0xfffe
	s_and_saveexec_b32 s8, s6
	s_wait_alu 0xfffe
	s_xor_b32 s8, exec_lo, s8
	s_cbranch_execz .LBB82_21
; %bb.20:                               ;   in Loop: Header=BB82_11 Depth=3
	v_add_co_u32 v4, s6, v34, s26
	s_wait_alu 0xf1ff
	v_add_co_ci_u32_e64 v5, null, s27, v35, s6
	global_load_b64 v[4:5], v[4:5], off
	s_wait_loadcnt 0x0
	v_xor_b32_e32 v5, 0x80000000, v5
	ds_store_b64 v52, v[4:5] offset:128
.LBB82_21:                              ;   in Loop: Header=BB82_11 Depth=3
	s_wait_alu 0xfffe
	s_and_not1_saveexec_b32 s6, s8
	s_cbranch_execz .LBB82_27
; %bb.22:                               ;   in Loop: Header=BB82_11 Depth=3
	s_xor_b32 s7, s7, -1
	s_wait_alu 0xfffe
	s_and_saveexec_b32 s8, s7
	s_wait_alu 0xfffe
	s_xor_b32 s7, exec_lo, s8
; %bb.23:                               ;   in Loop: Header=BB82_11 Depth=3
	v_dual_mov_b32 v4, v9 :: v_dual_mov_b32 v5, v9
	ds_store_b64 v52, v[4:5] offset:128
; %bb.24:                               ;   in Loop: Header=BB82_11 Depth=3
	s_wait_alu 0xfffe
	s_and_not1_saveexec_b32 s7, s7
; %bb.25:                               ;   in Loop: Header=BB82_11 Depth=3
	ds_store_b64 v52, v[8:9] offset:128
; %bb.26:                               ;   in Loop: Header=BB82_11 Depth=3
	s_wait_alu 0xfffe
	s_or_b32 exec_lo, exec_lo, s7
.LBB82_27:                              ;   in Loop: Header=BB82_11 Depth=3
	s_wait_alu 0xfffe
	s_or_b32 exec_lo, exec_lo, s6
	v_add_co_u32 v2, s6, v2, 16
	s_wait_alu 0xf1ff
	v_add_co_ci_u32_e64 v3, null, 0, v3, s6
	v_cmp_eq_u64_e64 s7, s[38:39], v[20:21]
	s_delay_alu instid0(VALU_DEP_2)
	v_cmp_le_i64_e64 s6, s[42:43], v[2:3]
	v_cmp_gt_i64_e64 s8, v[2:3], v[10:11]
	s_and_b32 s57, s51, s7
	s_or_b32 s7, s6, s8
	s_wait_alu 0xfffe
	s_or_b32 s7, s7, s57
	s_wait_alu 0xfffe
	s_nor_b32 s7, s0, s7
	s_wait_alu 0xfffe
	s_and_saveexec_b32 s8, s7
	s_wait_alu 0xfffe
	s_xor_b32 s7, exec_lo, s8
	s_cbranch_execz .LBB82_29
; %bb.28:                               ;   in Loop: Header=BB82_11 Depth=3
	global_load_b64 v[0:1], v[0:1], off offset:128
	s_wait_loadcnt 0x0
	v_xor_b32_e32 v1, 0x80000000, v1
	ds_store_b64 v52, v[0:1] offset:4096
.LBB82_29:                              ;   in Loop: Header=BB82_11 Depth=3
	s_wait_alu 0xfffe
	s_and_not1_saveexec_b32 s7, s7
	s_cbranch_execz .LBB82_35
; %bb.30:                               ;   in Loop: Header=BB82_11 Depth=3
	s_xor_b32 s8, s57, -1
	s_wait_alu 0xfffe
	s_and_saveexec_b32 s57, s8
	s_delay_alu instid0(SALU_CYCLE_1)
	s_xor_b32 s8, exec_lo, s57
; %bb.31:                               ;   in Loop: Header=BB82_11 Depth=3
	v_dual_mov_b32 v0, v9 :: v_dual_mov_b32 v1, v9
	ds_store_b64 v52, v[0:1] offset:4096
; %bb.32:                               ;   in Loop: Header=BB82_11 Depth=3
	s_wait_alu 0xfffe
	s_and_not1_saveexec_b32 s8, s8
; %bb.33:                               ;   in Loop: Header=BB82_11 Depth=3
	ds_store_b64 v52, v[8:9] offset:4096
; %bb.34:                               ;   in Loop: Header=BB82_11 Depth=3
	s_wait_alu 0xfffe
	s_or_b32 exec_lo, exec_lo, s8
.LBB82_35:                              ;   in Loop: Header=BB82_11 Depth=3
	s_wait_alu 0xfffe
	s_or_b32 exec_lo, exec_lo, s7
	s_or_b32 s5, s6, s5
	s_wait_alu 0xfffe
	s_or_b32 s5, s5, s56
	s_wait_alu 0xfffe
	s_nor_b32 s5, s3, s5
	s_wait_alu 0xfffe
	s_and_saveexec_b32 s6, s5
	s_wait_alu 0xfffe
	s_xor_b32 s6, exec_lo, s6
	s_cbranch_execz .LBB82_37
; %bb.36:                               ;   in Loop: Header=BB82_11 Depth=3
	v_add_co_u32 v0, s5, v34, s26
	s_wait_alu 0xf1ff
	v_add_co_ci_u32_e64 v1, null, s27, v35, s5
	global_load_b64 v[0:1], v[0:1], off offset:128
	s_wait_loadcnt 0x0
	v_xor_b32_e32 v1, 0x80000000, v1
	ds_store_b64 v52, v[0:1] offset:4224
.LBB82_37:                              ;   in Loop: Header=BB82_11 Depth=3
	s_wait_alu 0xfffe
	s_and_not1_saveexec_b32 s5, s6
	s_cbranch_execz .LBB82_43
; %bb.38:                               ;   in Loop: Header=BB82_11 Depth=3
	s_and_saveexec_b32 s6, s55
	s_wait_alu 0xfffe
	s_xor_b32 s6, exec_lo, s6
; %bb.39:                               ;   in Loop: Header=BB82_11 Depth=3
	v_dual_mov_b32 v0, v9 :: v_dual_mov_b32 v1, v9
	ds_store_b64 v52, v[0:1] offset:4224
; %bb.40:                               ;   in Loop: Header=BB82_11 Depth=3
	s_wait_alu 0xfffe
	s_and_not1_saveexec_b32 s6, s6
; %bb.41:                               ;   in Loop: Header=BB82_11 Depth=3
	ds_store_b64 v52, v[8:9] offset:4224
; %bb.42:                               ;   in Loop: Header=BB82_11 Depth=3
	s_wait_alu 0xfffe
	s_or_b32 exec_lo, exec_lo, s6
.LBB82_43:                              ;   in Loop: Header=BB82_11 Depth=3
	s_wait_alu 0xfffe
	s_or_b32 exec_lo, exec_lo, s5
	v_add_co_u32 v0, s5, v49, s38
	s_wait_alu 0xf1ff
	v_add_co_ci_u32_e64 v1, null, 0, s39, s5
	s_delay_alu instid0(VALU_DEP_1)
	v_cmp_gt_i64_e64 s5, s[42:43], v[0:1]
	s_and_b32 s6, vcc_lo, s5
	s_wait_alu 0xfffe
	s_xor_b32 s6, s6, -1
	s_wait_alu 0xfffe
	s_and_saveexec_b32 s7, s6
	s_wait_alu 0xfffe
	s_xor_b32 s6, exec_lo, s7
; %bb.44:                               ;   in Loop: Header=BB82_11 Depth=3
	v_dual_mov_b32 v2, v9 :: v_dual_mov_b32 v3, v9
	ds_store_b64 v53, v[2:3]
; %bb.45:                               ;   in Loop: Header=BB82_11 Depth=3
	s_wait_alu 0xfffe
	s_or_saveexec_b32 s7, s6
	v_add_co_u32 v2, s6, v44, s26
	s_wait_alu 0xf1ff
	v_add_co_ci_u32_e64 v3, null, s27, v45, s6
	s_wait_alu 0xfffe
	s_xor_b32 exec_lo, exec_lo, s7
	s_cbranch_execz .LBB82_47
; %bb.46:                               ;   in Loop: Header=BB82_11 Depth=3
	global_load_b64 v[4:5], v[2:3], off offset:-128
	s_wait_loadcnt 0x0
	ds_store_b64 v53, v[4:5]
.LBB82_47:                              ;   in Loop: Header=BB82_11 Depth=3
	s_or_b32 exec_lo, exec_lo, s7
	v_cmp_gt_i64_e64 s6, s[18:19], v[0:1]
	s_and_b32 s7, vcc_lo, s6
	s_wait_alu 0xfffe
	s_xor_b32 s7, s7, -1
	s_wait_alu 0xfffe
	s_and_saveexec_b32 s8, s7
	s_wait_alu 0xfffe
	s_xor_b32 s7, exec_lo, s8
; %bb.48:                               ;   in Loop: Header=BB82_11 Depth=3
	v_dual_mov_b32 v0, v9 :: v_dual_mov_b32 v1, v9
                                        ; implicit-def: $vgpr2_vgpr3
	ds_store_b64 v53, v[0:1] offset:128
; %bb.49:                               ;   in Loop: Header=BB82_11 Depth=3
	s_wait_alu 0xfffe
	s_and_not1_saveexec_b32 s7, s7
	s_cbranch_execz .LBB82_51
; %bb.50:                               ;   in Loop: Header=BB82_11 Depth=3
	global_load_b64 v[0:1], v[2:3], off
	s_wait_loadcnt 0x0
	ds_store_b64 v53, v[0:1] offset:128
.LBB82_51:                              ;   in Loop: Header=BB82_11 Depth=3
	s_wait_alu 0xfffe
	s_or_b32 exec_lo, exec_lo, s7
	s_and_b32 s5, s4, s5
	s_wait_alu 0xfffe
	s_xor_b32 s5, s5, -1
	s_wait_alu 0xfffe
	s_and_saveexec_b32 s7, s5
	s_wait_alu 0xfffe
	s_xor_b32 s5, exec_lo, s7
; %bb.52:                               ;   in Loop: Header=BB82_11 Depth=3
	v_dual_mov_b32 v0, v9 :: v_dual_mov_b32 v1, v9
	ds_store_b64 v53, v[0:1] offset:4096
; %bb.53:                               ;   in Loop: Header=BB82_11 Depth=3
	s_wait_alu 0xfffe
	s_or_saveexec_b32 s7, s5
	v_add_co_u32 v0, s5, v46, s26
	s_wait_alu 0xf1ff
	v_add_co_ci_u32_e64 v1, null, s27, v47, s5
	s_wait_alu 0xfffe
	s_xor_b32 exec_lo, exec_lo, s7
	s_cbranch_execz .LBB82_55
; %bb.54:                               ;   in Loop: Header=BB82_11 Depth=3
	global_load_b64 v[2:3], v[0:1], off
	s_wait_loadcnt 0x0
	ds_store_b64 v53, v[2:3] offset:4096
.LBB82_55:                              ;   in Loop: Header=BB82_11 Depth=3
	s_or_b32 exec_lo, exec_lo, s7
	s_and_b32 s5, s4, s6
	s_wait_alu 0xfffe
	s_xor_b32 s5, s5, -1
	s_wait_alu 0xfffe
	s_and_saveexec_b32 s6, s5
	s_wait_alu 0xfffe
	s_xor_b32 s5, exec_lo, s6
; %bb.56:                               ;   in Loop: Header=BB82_11 Depth=3
	v_dual_mov_b32 v0, v9 :: v_dual_mov_b32 v1, v9
	ds_store_b64 v53, v[0:1] offset:4224
                                        ; implicit-def: $vgpr0_vgpr1
; %bb.57:                               ;   in Loop: Header=BB82_11 Depth=3
	s_wait_alu 0xfffe
	s_and_not1_saveexec_b32 s5, s5
	s_cbranch_execz .LBB82_10
; %bb.58:                               ;   in Loop: Header=BB82_11 Depth=3
	global_load_b64 v[0:1], v[0:1], off offset:128
	s_wait_loadcnt 0x0
	ds_store_b64 v53, v[0:1] offset:4224
	s_branch .LBB82_10
.LBB82_59:                              ;   in Loop: Header=BB82_8 Depth=2
	v_mul_lo_u32 v2, s29, v58
	v_mul_lo_u32 v3, s28, v59
	v_mad_co_u64_u32 v[0:1], null, s28, v58, 0
	v_cmp_gt_i32_e32 vcc_lo, s10, v58
	s_delay_alu instid0(VALU_DEP_2) | instskip(NEXT) | instid1(VALU_DEP_1)
	v_add3_u32 v1, v1, v3, v2
	v_lshlrev_b64_e32 v[0:1], 3, v[0:1]
	s_delay_alu instid0(VALU_DEP_1) | instskip(SKIP_1) | instid1(VALU_DEP_2)
	v_add_co_u32 v0, s4, s24, v0
	s_wait_alu 0xf1ff
	v_add_co_ci_u32_e64 v1, null, s25, v1, s4
	s_and_b32 s4, s1, vcc_lo
	s_wait_alu 0xfffe
	s_and_saveexec_b32 s5, s4
	s_cbranch_execz .LBB82_61
; %bb.60:                               ;   in Loop: Header=BB82_8 Depth=2
	v_add_co_u32 v2, s4, v0, v12
	s_wait_alu 0xf1ff
	v_add_co_ci_u32_e64 v3, null, v1, v13, s4
	v_mul_f32_e32 v6, v66, v33
	global_load_b64 v[4:5], v[2:3], off
	v_fma_f32 v6, v65, v32, -v6
	s_wait_loadcnt 0x0
	s_delay_alu instid0(VALU_DEP_1) | instskip(NEXT) | instid1(VALU_DEP_1)
	v_dual_mul_f32 v7, v66, v32 :: v_dual_add_f32 v4, v4, v6
	v_fmac_f32_e32 v7, v65, v33
	s_delay_alu instid0(VALU_DEP_1)
	v_add_f32_e32 v5, v7, v5
	global_store_b64 v[2:3], v[4:5], off
.LBB82_61:                              ;   in Loop: Header=BB82_8 Depth=2
	s_wait_alu 0xfffe
	s_or_b32 exec_lo, exec_lo, s5
	s_and_b32 s5, s2, vcc_lo
	s_wait_alu 0xfffe
	s_and_saveexec_b32 s4, s5
	s_cbranch_execz .LBB82_63
; %bb.62:                               ;   in Loop: Header=BB82_8 Depth=2
	v_add_co_u32 v0, vcc_lo, v0, v30
	s_wait_alu 0xfffd
	v_add_co_ci_u32_e64 v1, null, v1, v31, vcc_lo
	v_mul_f32_e32 v5, v64, v32
	global_load_b64 v[2:3], v[0:1], off
	v_fmac_f32_e32 v5, v63, v33
	s_wait_loadcnt 0x0
	s_delay_alu instid0(VALU_DEP_1) | instskip(NEXT) | instid1(VALU_DEP_1)
	v_dual_mul_f32 v4, v64, v33 :: v_dual_add_f32 v3, v5, v3
	v_fma_f32 v4, v63, v32, -v4
	s_delay_alu instid0(VALU_DEP_1)
	v_add_f32_e32 v2, v2, v4
	global_store_b64 v[0:1], v[2:3], off
.LBB82_63:                              ;   in Loop: Header=BB82_8 Depth=2
	s_wait_alu 0xfffe
	s_or_b32 exec_lo, exec_lo, s4
	v_add_nc_u32_e32 v2, 16, v58
	s_delay_alu instid0(VALU_DEP_1) | instskip(SKIP_3) | instid1(VALU_DEP_4)
	v_ashrrev_i32_e32 v3, 31, v2
	v_mul_lo_u32 v4, s29, v2
	v_mad_co_u64_u32 v[0:1], null, s28, v2, 0
	v_cmp_gt_i32_e32 vcc_lo, s10, v2
	v_mul_lo_u32 v3, s28, v3
	s_delay_alu instid0(VALU_DEP_1) | instskip(NEXT) | instid1(VALU_DEP_1)
	v_add3_u32 v1, v1, v3, v4
	v_lshlrev_b64_e32 v[0:1], 3, v[0:1]
	s_delay_alu instid0(VALU_DEP_1) | instskip(SKIP_1) | instid1(VALU_DEP_2)
	v_add_co_u32 v0, s4, s24, v0
	s_wait_alu 0xf1ff
	v_add_co_ci_u32_e64 v1, null, s25, v1, s4
	s_and_b32 s4, s1, vcc_lo
	s_wait_alu 0xfffe
	s_and_saveexec_b32 s5, s4
	s_cbranch_execz .LBB82_65
; %bb.64:                               ;   in Loop: Header=BB82_8 Depth=2
	v_add_co_u32 v2, s4, v0, v12
	s_wait_alu 0xf1ff
	v_add_co_ci_u32_e64 v3, null, v1, v13, s4
	v_mul_f32_e32 v6, v61, v33
	global_load_b64 v[4:5], v[2:3], off
	v_fma_f32 v6, v62, v32, -v6
	s_wait_loadcnt 0x0
	s_delay_alu instid0(VALU_DEP_1) | instskip(NEXT) | instid1(VALU_DEP_1)
	v_dual_mul_f32 v7, v61, v32 :: v_dual_add_f32 v4, v4, v6
	v_fmac_f32_e32 v7, v62, v33
	s_delay_alu instid0(VALU_DEP_1)
	v_add_f32_e32 v5, v7, v5
	global_store_b64 v[2:3], v[4:5], off
.LBB82_65:                              ;   in Loop: Header=BB82_8 Depth=2
	s_wait_alu 0xfffe
	s_or_b32 exec_lo, exec_lo, s5
	s_and_b32 s5, s2, vcc_lo
	s_wait_alu 0xfffe
	s_and_saveexec_b32 s4, s5
	s_cbranch_execz .LBB82_7
; %bb.66:                               ;   in Loop: Header=BB82_8 Depth=2
	v_add_co_u32 v0, vcc_lo, v0, v30
	s_wait_alu 0xfffd
	v_add_co_ci_u32_e64 v1, null, v1, v31, vcc_lo
	v_mul_f32_e32 v5, v43, v32
	global_load_b64 v[2:3], v[0:1], off
	v_fmac_f32_e32 v5, v60, v33
	s_wait_loadcnt 0x0
	s_delay_alu instid0(VALU_DEP_1) | instskip(NEXT) | instid1(VALU_DEP_1)
	v_dual_mul_f32 v4, v43, v33 :: v_dual_add_f32 v3, v5, v3
	v_fma_f32 v4, v60, v32, -v4
	s_delay_alu instid0(VALU_DEP_1)
	v_add_f32_e32 v2, v2, v4
	global_store_b64 v[0:1], v[2:3], off
	s_branch .LBB82_7
.LBB82_67:
	s_endpgm
	.section	.rodata,"a",@progbits
	.p2align	6, 0x0
	.amdhsa_kernel _ZL30rocblas_trmm_outofplace_kernelI19rocblas_complex_numIfELi32ELi2ELb1ELb1ELb1ELb1EPKS1_S2_S1_Ev17rocblas_diagonal_iiT6_lPT7_lllS7_lllPT8_llli
		.amdhsa_group_segment_fixed_size 16384
		.amdhsa_private_segment_fixed_size 0
		.amdhsa_kernarg_size 392
		.amdhsa_user_sgpr_count 2
		.amdhsa_user_sgpr_dispatch_ptr 0
		.amdhsa_user_sgpr_queue_ptr 0
		.amdhsa_user_sgpr_kernarg_segment_ptr 1
		.amdhsa_user_sgpr_dispatch_id 0
		.amdhsa_user_sgpr_private_segment_size 0
		.amdhsa_wavefront_size32 1
		.amdhsa_uses_dynamic_stack 0
		.amdhsa_enable_private_segment 0
		.amdhsa_system_sgpr_workgroup_id_x 1
		.amdhsa_system_sgpr_workgroup_id_y 1
		.amdhsa_system_sgpr_workgroup_id_z 1
		.amdhsa_system_sgpr_workgroup_info 0
		.amdhsa_system_vgpr_workitem_id 1
		.amdhsa_next_free_vgpr 82
		.amdhsa_next_free_sgpr 58
		.amdhsa_reserve_vcc 1
		.amdhsa_float_round_mode_32 0
		.amdhsa_float_round_mode_16_64 0
		.amdhsa_float_denorm_mode_32 3
		.amdhsa_float_denorm_mode_16_64 3
		.amdhsa_fp16_overflow 0
		.amdhsa_workgroup_processor_mode 1
		.amdhsa_memory_ordered 1
		.amdhsa_forward_progress 1
		.amdhsa_inst_pref_size 65
		.amdhsa_round_robin_scheduling 0
		.amdhsa_exception_fp_ieee_invalid_op 0
		.amdhsa_exception_fp_denorm_src 0
		.amdhsa_exception_fp_ieee_div_zero 0
		.amdhsa_exception_fp_ieee_overflow 0
		.amdhsa_exception_fp_ieee_underflow 0
		.amdhsa_exception_fp_ieee_inexact 0
		.amdhsa_exception_int_div_zero 0
	.end_amdhsa_kernel
	.section	.text._ZL30rocblas_trmm_outofplace_kernelI19rocblas_complex_numIfELi32ELi2ELb1ELb1ELb1ELb1EPKS1_S2_S1_Ev17rocblas_diagonal_iiT6_lPT7_lllS7_lllPT8_llli,"axG",@progbits,_ZL30rocblas_trmm_outofplace_kernelI19rocblas_complex_numIfELi32ELi2ELb1ELb1ELb1ELb1EPKS1_S2_S1_Ev17rocblas_diagonal_iiT6_lPT7_lllS7_lllPT8_llli,comdat
.Lfunc_end82:
	.size	_ZL30rocblas_trmm_outofplace_kernelI19rocblas_complex_numIfELi32ELi2ELb1ELb1ELb1ELb1EPKS1_S2_S1_Ev17rocblas_diagonal_iiT6_lPT7_lllS7_lllPT8_llli, .Lfunc_end82-_ZL30rocblas_trmm_outofplace_kernelI19rocblas_complex_numIfELi32ELi2ELb1ELb1ELb1ELb1EPKS1_S2_S1_Ev17rocblas_diagonal_iiT6_lPT7_lllS7_lllPT8_llli
                                        ; -- End function
	.set _ZL30rocblas_trmm_outofplace_kernelI19rocblas_complex_numIfELi32ELi2ELb1ELb1ELb1ELb1EPKS1_S2_S1_Ev17rocblas_diagonal_iiT6_lPT7_lllS7_lllPT8_llli.num_vgpr, 82
	.set _ZL30rocblas_trmm_outofplace_kernelI19rocblas_complex_numIfELi32ELi2ELb1ELb1ELb1ELb1EPKS1_S2_S1_Ev17rocblas_diagonal_iiT6_lPT7_lllS7_lllPT8_llli.num_agpr, 0
	.set _ZL30rocblas_trmm_outofplace_kernelI19rocblas_complex_numIfELi32ELi2ELb1ELb1ELb1ELb1EPKS1_S2_S1_Ev17rocblas_diagonal_iiT6_lPT7_lllS7_lllPT8_llli.numbered_sgpr, 58
	.set _ZL30rocblas_trmm_outofplace_kernelI19rocblas_complex_numIfELi32ELi2ELb1ELb1ELb1ELb1EPKS1_S2_S1_Ev17rocblas_diagonal_iiT6_lPT7_lllS7_lllPT8_llli.num_named_barrier, 0
	.set _ZL30rocblas_trmm_outofplace_kernelI19rocblas_complex_numIfELi32ELi2ELb1ELb1ELb1ELb1EPKS1_S2_S1_Ev17rocblas_diagonal_iiT6_lPT7_lllS7_lllPT8_llli.private_seg_size, 0
	.set _ZL30rocblas_trmm_outofplace_kernelI19rocblas_complex_numIfELi32ELi2ELb1ELb1ELb1ELb1EPKS1_S2_S1_Ev17rocblas_diagonal_iiT6_lPT7_lllS7_lllPT8_llli.uses_vcc, 1
	.set _ZL30rocblas_trmm_outofplace_kernelI19rocblas_complex_numIfELi32ELi2ELb1ELb1ELb1ELb1EPKS1_S2_S1_Ev17rocblas_diagonal_iiT6_lPT7_lllS7_lllPT8_llli.uses_flat_scratch, 0
	.set _ZL30rocblas_trmm_outofplace_kernelI19rocblas_complex_numIfELi32ELi2ELb1ELb1ELb1ELb1EPKS1_S2_S1_Ev17rocblas_diagonal_iiT6_lPT7_lllS7_lllPT8_llli.has_dyn_sized_stack, 0
	.set _ZL30rocblas_trmm_outofplace_kernelI19rocblas_complex_numIfELi32ELi2ELb1ELb1ELb1ELb1EPKS1_S2_S1_Ev17rocblas_diagonal_iiT6_lPT7_lllS7_lllPT8_llli.has_recursion, 0
	.set _ZL30rocblas_trmm_outofplace_kernelI19rocblas_complex_numIfELi32ELi2ELb1ELb1ELb1ELb1EPKS1_S2_S1_Ev17rocblas_diagonal_iiT6_lPT7_lllS7_lllPT8_llli.has_indirect_call, 0
	.section	.AMDGPU.csdata,"",@progbits
; Kernel info:
; codeLenInByte = 8224
; TotalNumSgprs: 60
; NumVgprs: 82
; ScratchSize: 0
; MemoryBound: 0
; FloatMode: 240
; IeeeMode: 1
; LDSByteSize: 16384 bytes/workgroup (compile time only)
; SGPRBlocks: 0
; VGPRBlocks: 10
; NumSGPRsForWavesPerEU: 60
; NumVGPRsForWavesPerEU: 82
; Occupancy: 16
; WaveLimiterHint : 0
; COMPUTE_PGM_RSRC2:SCRATCH_EN: 0
; COMPUTE_PGM_RSRC2:USER_SGPR: 2
; COMPUTE_PGM_RSRC2:TRAP_HANDLER: 0
; COMPUTE_PGM_RSRC2:TGID_X_EN: 1
; COMPUTE_PGM_RSRC2:TGID_Y_EN: 1
; COMPUTE_PGM_RSRC2:TGID_Z_EN: 1
; COMPUTE_PGM_RSRC2:TIDIG_COMP_CNT: 1
	.section	.text._ZL30rocblas_trmm_outofplace_kernelI19rocblas_complex_numIfELi32ELi2ELb1ELb1ELb1ELb1ES1_KS1_S1_Ev17rocblas_diagonal_iiT6_lPT7_lllS6_lllPT8_llli,"axG",@progbits,_ZL30rocblas_trmm_outofplace_kernelI19rocblas_complex_numIfELi32ELi2ELb1ELb1ELb1ELb1ES1_KS1_S1_Ev17rocblas_diagonal_iiT6_lPT7_lllS6_lllPT8_llli,comdat
	.globl	_ZL30rocblas_trmm_outofplace_kernelI19rocblas_complex_numIfELi32ELi2ELb1ELb1ELb1ELb1ES1_KS1_S1_Ev17rocblas_diagonal_iiT6_lPT7_lllS6_lllPT8_llli ; -- Begin function _ZL30rocblas_trmm_outofplace_kernelI19rocblas_complex_numIfELi32ELi2ELb1ELb1ELb1ELb1ES1_KS1_S1_Ev17rocblas_diagonal_iiT6_lPT7_lllS6_lllPT8_llli
	.p2align	8
	.type	_ZL30rocblas_trmm_outofplace_kernelI19rocblas_complex_numIfELi32ELi2ELb1ELb1ELb1ELb1ES1_KS1_S1_Ev17rocblas_diagonal_iiT6_lPT7_lllS6_lllPT8_llli,@function
_ZL30rocblas_trmm_outofplace_kernelI19rocblas_complex_numIfELi32ELi2ELb1ELb1ELb1ELb1ES1_KS1_S1_Ev17rocblas_diagonal_iiT6_lPT7_lllS6_lllPT8_llli: ; @_ZL30rocblas_trmm_outofplace_kernelI19rocblas_complex_numIfELi32ELi2ELb1ELb1ELb1ELb1ES1_KS1_S1_Ev17rocblas_diagonal_iiT6_lPT7_lllS6_lllPT8_llli
; %bb.0:
	s_load_b32 s31, s[0:1], 0x80
	s_lshr_b32 s34, ttmp7, 16
	s_wait_kmcnt 0x0
	s_cmp_ge_u32 s34, s31
	s_cbranch_scc1 .LBB83_66
; %bb.1:
	s_load_b64 s[36:37], s[0:1], 0xc
	s_mov_b32 s35, 0
	s_wait_kmcnt 0x0
	s_or_b32 s2, s36, s37
	s_delay_alu instid0(SALU_CYCLE_1) | instskip(NEXT) | instid1(SALU_CYCLE_1)
	s_bitset0_b32 s2, 31
	s_cmp_eq_u32 s2, 0
	s_cbranch_scc1 .LBB83_66
; %bb.2:
	s_load_b96 s[28:30], s[0:1], 0x0
	s_and_b32 s33, ttmp7, 0xffff
	v_and_b32_e32 v47, 0x3ff, v0
	s_load_b512 s[4:19], s[0:1], 0x20
	v_bfe_u32 v46, v0, 10, 10
	s_load_b256 s[20:27], s[0:1], 0x60
	v_mov_b32_e32 v9, 0
	s_add_nc_u64 s[38:39], s[0:1], 0x88
	s_delay_alu instid0(VALU_DEP_2) | instskip(SKIP_2) | instid1(VALU_DEP_2)
	v_lshlrev_b32_e32 v24, 3, v46
	v_lshlrev_b32_e32 v0, 8, v46
	v_lshl_add_u32 v52, s33, 5, v46
	v_add_nc_u32_e32 v49, 0x2000, v0
	s_wait_kmcnt 0x0
	s_add_co_i32 s2, s30, -1
	s_mov_b32 s40, s29
	s_ashr_i32 s3, s2, 31
	s_mov_b32 s47, s30
	s_lshr_b32 s3, s3, 27
	s_delay_alu instid0(SALU_CYCLE_1) | instskip(NEXT) | instid1(SALU_CYCLE_1)
	s_add_co_i32 s2, s2, s3
	s_ashr_i32 s44, s2, 5
	s_delay_alu instid0(SALU_CYCLE_1)
	s_cmp_le_i32 s33, s44
	s_cselect_b32 s45, -1, 0
	s_lshl_b32 s46, ttmp9, 5
	s_cmp_gt_i32 ttmp9, -1
	v_add_nc_u32_e32 v10, s46, v47
	s_cselect_b32 s48, -1, 0
	s_cmp_eq_u32 s28, 0x84
	s_cselect_b32 s49, -1, 0
	s_delay_alu instid0(VALU_DEP_1)
	v_ashrrev_i32_e32 v11, 31, v10
	v_add_co_u32 v14, vcc_lo, v10, 16
	s_lshl_b64 s[6:7], s[6:7], 3
	v_mul_lo_u32 v22, s9, v10
	v_lshlrev_b64_e32 v[12:13], 3, v[10:11]
	v_add_co_ci_u32_e64 v15, null, 0, v11, vcc_lo
	v_mul_lo_u32 v8, s8, v11
	v_mad_co_u64_u32 v[4:5], null, s8, v10, 0
	s_delay_alu instid0(VALU_DEP_4) | instskip(SKIP_3) | instid1(VALU_DEP_3)
	v_add_co_u32 v2, vcc_lo, 0x80, v12
	s_wait_alu 0xfffd
	v_add_co_ci_u32_e64 v3, null, 0, v13, vcc_lo
	v_sub_co_u32 v16, vcc_lo, v10, v46
	v_mul_lo_u32 v7, s9, v2
	s_delay_alu instid0(VALU_DEP_3)
	v_mul_lo_u32 v6, s8, v3
	v_mad_co_u64_u32 v[2:3], null, s8, v2, s[6:7]
	s_wait_alu 0xfffd
	v_subrev_co_ci_u32_e64 v17, null, 0, v11, vcc_lo
	v_add_co_u32 v18, vcc_lo, v16, 16
	v_add3_u32 v5, v5, v8, v22
	s_wait_alu 0xfffd
	s_delay_alu instid0(VALU_DEP_3)
	v_add_co_ci_u32_e64 v19, null, 0, v17, vcc_lo
	v_add3_u32 v3, v7, v3, v6
	v_add_co_u32 v20, vcc_lo, v16, -16
	s_wait_alu 0xfffd
	v_add_co_ci_u32_e64 v21, null, -1, v17, vcc_lo
	v_add_co_u32 v6, vcc_lo, v2, v24
	s_wait_alu 0xfffd
	v_add_co_ci_u32_e64 v7, null, 0, v3, vcc_lo
	v_lshlrev_b64_e32 v[2:3], 3, v[4:5]
	s_delay_alu instid0(VALU_DEP_3)
	v_add_co_u32 v22, vcc_lo, s4, v6
	v_mov_b32_e32 v8, 1.0
	v_lshlrev_b32_e32 v48, 3, v47
	s_wait_alu 0xfffd
	v_add_co_ci_u32_e64 v23, null, s5, v7, vcc_lo
	v_add_co_u32 v2, vcc_lo, v2, s6
	s_wait_alu 0xfffd
	v_add_co_ci_u32_e64 v3, null, s7, v3, vcc_lo
	v_add_nc_u32_e32 v50, v48, v0
	v_add_nc_u32_e32 v0, 16, v10
	s_lshl_b64 s[6:7], s[14:15], 3
	v_add_co_u32 v2, vcc_lo, v2, v24
	s_wait_alu 0xfffe
	s_add_nc_u64 s[6:7], s[12:13], s[6:7]
	s_wait_alu 0xfffd
	v_add_co_ci_u32_e64 v3, null, 0, v3, vcc_lo
	s_wait_alu 0xfffe
	v_add_co_u32 v24, s6, s6, v48
	v_ashrrev_i32_e32 v1, 31, v0
	s_wait_alu 0xf1ff
	v_add_co_ci_u32_e64 v25, null, s7, 0, s6
	v_add_co_u32 v26, vcc_lo, s4, v2
	s_ashr_i32 s41, s29, 31
	s_lshl_b64 s[0:1], s[22:23], 3
	s_wait_alu 0xfffd
	v_add_co_ci_u32_e64 v27, null, s5, v3, vcc_lo
	v_add_co_u32 v28, vcc_lo, 0x80, v24
	v_cmp_le_i64_e64 s3, s[40:41], v[14:15]
	v_lshlrev_b64_e32 v[30:31], 3, v[0:1]
	v_add_nc_u32_e32 v51, v49, v48
	s_add_nc_u64 s[20:21], s[20:21], s[0:1]
	v_cmp_le_i32_e64 s0, s29, v10
	v_cmp_gt_i32_e64 s1, s29, v10
	v_cmp_gt_i32_e64 s2, s29, v0
	s_wait_alu 0xfffd
	v_add_co_ci_u32_e64 v29, null, 0, v25, vcc_lo
	v_add_nc_u32_e32 v53, 0x800, v48
	v_add_nc_u32_e32 v54, 0x1000, v48
	;; [unrolled: 1-line block ×3, first 2 shown]
	s_ashr_i32 s50, s30, 31
	s_add_nc_u64 s[22:23], s[40:41], -16
	s_lshl_b64 s[10:11], s[10:11], 3
	s_lshl_b64 s[12:13], s[18:19], 3
	;; [unrolled: 1-line block ×3, first 2 shown]
	s_branch .LBB83_4
.LBB83_3:                               ;   in Loop: Header=BB83_4 Depth=1
	s_add_co_i32 s34, s34, 0x10000
	s_wait_alu 0xfffe
	s_cmp_ge_u32 s34, s31
	s_cbranch_scc1 .LBB83_66
.LBB83_4:                               ; =>This Loop Header: Depth=1
                                        ;     Child Loop BB83_7 Depth 2
                                        ;       Child Loop BB83_10 Depth 3
	s_and_not1_b32 vcc_lo, exec_lo, s45
	s_wait_alu 0xfffe
	s_cbranch_vccnz .LBB83_3
; %bb.5:                                ;   in Loop: Header=BB83_4 Depth=1
	s_load_b32 s9, s[38:39], 0x4
	v_mad_co_u64_u32 v[32:33], null, s10, s34, v[22:23]
	v_mad_co_u64_u32 v[34:35], null, s10, s34, v[26:27]
	;; [unrolled: 1-line block ×4, first 2 shown]
	s_mul_i32 s6, s11, s34
	s_mul_i32 s7, s13, s34
	s_mul_u64 s[4:5], s[26:27], s[34:35]
	s_wait_alu 0xfffe
	v_dual_mov_b32 v40, v52 :: v_dual_add_nc_u32 v33, s6, v33
	v_add_nc_u32_e32 v35, s6, v35
	v_add_nc_u32_e32 v37, s7, v37
	;; [unrolled: 1-line block ×3, first 2 shown]
	s_lshl_b64 s[4:5], s[4:5], 3
	s_mov_b32 s52, s33
	s_wait_alu 0xfffe
	s_add_nc_u64 s[18:19], s[20:21], s[4:5]
	s_wait_kmcnt 0x0
	s_lshl_b32 s51, s9, 5
	s_branch .LBB83_7
.LBB83_6:                               ;   in Loop: Header=BB83_7 Depth=2
	s_wait_alu 0xfffe
	s_or_b32 exec_lo, exec_lo, s4
	v_add_nc_u32_e32 v40, s51, v40
	s_add_co_i32 s52, s9, s52
	s_wait_alu 0xfffe
	s_cmp_gt_i32 s52, s44
	s_cbranch_scc1 .LBB83_3
.LBB83_7:                               ;   Parent Loop BB83_4 Depth=1
                                        ; =>  This Loop Header: Depth=2
                                        ;       Child Loop BB83_10 Depth 3
	v_lshl_add_u32 v56, s52, 5, v46
	v_dual_mov_b32 v63, 0 :: v_dual_mov_b32 v64, 0
	v_dual_mov_b32 v61, 0 :: v_dual_mov_b32 v62, 0
	s_delay_alu instid0(VALU_DEP_3)
	v_ashrrev_i32_e32 v57, 31, v56
	v_dual_mov_b32 v60, 0 :: v_dual_mov_b32 v59, 0
	v_dual_mov_b32 v58, 0 :: v_dual_mov_b32 v41, 0
	s_and_not1_b32 vcc_lo, exec_lo, s48
	s_wait_alu 0xfffe
	s_cbranch_vccnz .LBB83_58
; %bb.8:                                ;   in Loop: Header=BB83_7 Depth=2
	v_ashrrev_i32_e32 v41, 31, v40
	v_mad_co_u64_u32 v[42:43], null, s14, v40, v[36:37]
	v_mul_lo_u32 v2, s15, v40
	v_dual_mov_b32 v59, 0 :: v_dual_mov_b32 v60, 0
	s_delay_alu instid0(VALU_DEP_4) | instskip(SKIP_3) | instid1(VALU_DEP_4)
	v_lshlrev_b64_e32 v[0:1], 3, v[40:41]
	v_mul_lo_u32 v5, s14, v41
	v_dual_mov_b32 v41, 0 :: v_dual_mov_b32 v58, 0
	v_dual_mov_b32 v62, 0 :: v_dual_mov_b32 v61, 0
	v_add_co_u32 v3, vcc_lo, 0x80, v0
	s_wait_alu 0xfffd
	v_add_co_ci_u32_e64 v4, null, 0, v1, vcc_lo
	v_sub_co_u32 v0, vcc_lo, s47, v56
	s_delay_alu instid0(VALU_DEP_3) | instskip(NEXT) | instid1(VALU_DEP_3)
	v_mul_lo_u32 v6, s17, v3
	v_mul_lo_u32 v4, s16, v4
	v_mad_co_u64_u32 v[44:45], null, s16, v3, v[38:39]
	s_wait_alu 0xfffd
	v_sub_co_ci_u32_e64 v1, null, s50, v57, vcc_lo
	v_add3_u32 v43, v2, v43, v5
	v_dual_mov_b32 v64, 0 :: v_dual_mov_b32 v63, 0
	s_delay_alu instid0(VALU_DEP_3)
	v_cmp_lt_i64_e64 s4, 16, v[0:1]
	v_add3_u32 v45, v6, v45, v4
	s_mov_b64 s[28:29], 0
	s_mov_b64 s[42:43], 0
	v_cmp_lt_i64_e32 vcc_lo, 0, v[0:1]
	s_branch .LBB83_10
.LBB83_9:                               ;   in Loop: Header=BB83_10 Depth=3
	s_wait_alu 0xfffe
	s_or_b32 exec_lo, exec_lo, s5
	s_wait_dscnt 0x0
	s_barrier_signal -1
	s_barrier_wait -1
	global_inv scope:SCOPE_SE
	ds_load_b128 v[65:68], v49
	ds_load_b128 v[69:72], v49 offset:16
	ds_load_b128 v[4:7], v49 offset:32
	;; [unrolled: 1-line block ×3, first 2 shown]
	ds_load_2addr_b64 v[73:76], v48 offset1:16
	s_add_nc_u64 s[42:43], s[42:43], 32
	s_add_nc_u64 s[28:29], s[28:29], 0x100
	s_wait_alu 0xfffe
	s_sub_co_i32 s5, s42, 32
	s_wait_alu 0xfffe
	s_cmp_ge_i32 s5, s46
	s_wait_dscnt 0x0
	v_mul_f32_e32 v78, v65, v74
	v_mul_f32_e32 v77, v66, v74
	s_delay_alu instid0(VALU_DEP_2) | instskip(NEXT) | instid1(VALU_DEP_1)
	v_fmac_f32_e32 v78, v66, v73
	v_add_f32_e32 v78, v64, v78
	v_mul_f32_e32 v64, v65, v76
	s_delay_alu instid0(VALU_DEP_4) | instskip(NEXT) | instid1(VALU_DEP_1)
	v_fma_f32 v77, v65, v73, -v77
	v_dual_fmac_f32 v64, v66, v75 :: v_dual_add_f32 v77, v63, v77
	v_mul_f32_e32 v63, v66, v76
	s_delay_alu instid0(VALU_DEP_2) | instskip(NEXT) | instid1(VALU_DEP_2)
	v_add_f32_e32 v66, v62, v64
	v_fma_f32 v63, v65, v75, -v63
	s_delay_alu instid0(VALU_DEP_1) | instskip(SKIP_4) | instid1(VALU_DEP_2)
	v_add_f32_e32 v65, v61, v63
	ds_load_b128 v[61:64], v49 offset:4096
	s_wait_dscnt 0x0
	v_mul_f32_e32 v79, v62, v74
	v_mul_f32_e32 v74, v61, v74
	v_fma_f32 v79, v61, v73, -v79
	s_delay_alu instid0(VALU_DEP_1) | instskip(NEXT) | instid1(VALU_DEP_1)
	v_dual_fmac_f32 v74, v62, v73 :: v_dual_add_f32 v73, v60, v79
	v_dual_add_f32 v74, v59, v74 :: v_dual_mul_f32 v59, v62, v76
	v_mul_f32_e32 v60, v61, v76
	s_delay_alu instid0(VALU_DEP_2) | instskip(NEXT) | instid1(VALU_DEP_2)
	v_fma_f32 v59, v61, v75, -v59
	v_fmac_f32_e32 v60, v62, v75
	s_delay_alu instid0(VALU_DEP_1) | instskip(SKIP_4) | instid1(VALU_DEP_2)
	v_dual_add_f32 v62, v58, v59 :: v_dual_add_f32 v41, v41, v60
	ds_load_2addr_b64 v[58:61], v48 offset0:32 offset1:48
	s_wait_dscnt 0x0
	v_mul_f32_e32 v75, v68, v59
	v_mul_f32_e32 v76, v67, v59
	v_fma_f32 v75, v67, v58, -v75
	s_delay_alu instid0(VALU_DEP_1) | instskip(SKIP_1) | instid1(VALU_DEP_1)
	v_add_f32_e32 v75, v77, v75
	v_mul_f32_e32 v77, v68, v61
	v_fma_f32 v77, v67, v60, -v77
	v_mul_f32_e32 v67, v67, v61
	s_delay_alu instid0(VALU_DEP_2) | instskip(NEXT) | instid1(VALU_DEP_2)
	v_add_f32_e32 v65, v65, v77
	v_fmac_f32_e32 v67, v68, v60
	v_fmac_f32_e32 v76, v68, v58
	s_delay_alu instid0(VALU_DEP_2) | instskip(NEXT) | instid1(VALU_DEP_2)
	v_add_f32_e32 v66, v66, v67
	v_dual_add_f32 v76, v78, v76 :: v_dual_mul_f32 v67, v64, v59
	v_mul_f32_e32 v59, v63, v59
	s_delay_alu instid0(VALU_DEP_2) | instskip(NEXT) | instid1(VALU_DEP_2)
	v_fma_f32 v67, v63, v58, -v67
	v_fmac_f32_e32 v59, v64, v58
	s_delay_alu instid0(VALU_DEP_2) | instskip(NEXT) | instid1(VALU_DEP_2)
	v_dual_mul_f32 v58, v64, v61 :: v_dual_add_f32 v67, v73, v67
	v_dual_add_f32 v68, v74, v59 :: v_dual_mul_f32 v59, v63, v61
	s_delay_alu instid0(VALU_DEP_2) | instskip(NEXT) | instid1(VALU_DEP_2)
	v_fma_f32 v58, v63, v60, -v58
	v_fmac_f32_e32 v59, v64, v60
	s_delay_alu instid0(VALU_DEP_2) | instskip(NEXT) | instid1(VALU_DEP_2)
	v_add_f32_e32 v73, v62, v58
	v_add_f32_e32 v41, v41, v59
	ds_load_2addr_b64 v[58:61], v48 offset0:64 offset1:80
	s_wait_dscnt 0x0
	v_mul_f32_e32 v62, v70, v59
	v_mul_f32_e32 v63, v69, v59
	s_delay_alu instid0(VALU_DEP_2) | instskip(NEXT) | instid1(VALU_DEP_2)
	v_fma_f32 v62, v69, v58, -v62
	v_fmac_f32_e32 v63, v70, v58
	s_delay_alu instid0(VALU_DEP_1) | instskip(SKIP_2) | instid1(VALU_DEP_2)
	v_dual_add_f32 v74, v75, v62 :: v_dual_add_f32 v75, v76, v63
	v_mul_f32_e32 v62, v70, v61
	v_mul_f32_e32 v63, v69, v61
	v_fma_f32 v62, v69, v60, -v62
	s_delay_alu instid0(VALU_DEP_2) | instskip(NEXT) | instid1(VALU_DEP_1)
	v_fmac_f32_e32 v63, v70, v60
	v_dual_add_f32 v69, v65, v62 :: v_dual_add_f32 v66, v66, v63
	ds_load_b128 v[62:65], v49 offset:4112
	s_wait_dscnt 0x0
	v_mul_f32_e32 v70, v63, v59
	v_mul_f32_e32 v59, v62, v59
	s_delay_alu instid0(VALU_DEP_2) | instskip(NEXT) | instid1(VALU_DEP_2)
	v_fma_f32 v70, v62, v58, -v70
	v_fmac_f32_e32 v59, v63, v58
	v_mul_f32_e32 v58, v63, v61
	s_delay_alu instid0(VALU_DEP_2) | instskip(NEXT) | instid1(VALU_DEP_2)
	v_dual_add_f32 v68, v68, v59 :: v_dual_mul_f32 v59, v62, v61
	v_fma_f32 v58, v62, v60, -v58
	v_add_f32_e32 v67, v67, v70
	s_delay_alu instid0(VALU_DEP_2) | instskip(NEXT) | instid1(VALU_DEP_1)
	v_dual_fmac_f32 v59, v63, v60 :: v_dual_add_f32 v62, v73, v58
	v_add_f32_e32 v41, v41, v59
	ds_load_2addr_b64 v[58:61], v48 offset0:96 offset1:112
	s_wait_dscnt 0x0
	v_dual_mul_f32 v70, v71, v59 :: v_dual_mul_f32 v73, v72, v61
	s_delay_alu instid0(VALU_DEP_1) | instskip(NEXT) | instid1(VALU_DEP_2)
	v_fmac_f32_e32 v70, v72, v58
	v_fma_f32 v73, v71, v60, -v73
	s_delay_alu instid0(VALU_DEP_2) | instskip(NEXT) | instid1(VALU_DEP_1)
	v_dual_add_f32 v70, v75, v70 :: v_dual_mul_f32 v63, v72, v59
	v_fma_f32 v63, v71, v58, -v63
	v_mul_f32_e32 v71, v71, v61
	s_delay_alu instid0(VALU_DEP_1) | instskip(NEXT) | instid1(VALU_DEP_1)
	v_fmac_f32_e32 v71, v72, v60
	v_add_f32_e32 v66, v66, v71
	v_mul_f32_e32 v71, v65, v59
	v_mul_f32_e32 v59, v64, v59
	s_delay_alu instid0(VALU_DEP_2) | instskip(NEXT) | instid1(VALU_DEP_2)
	v_fma_f32 v71, v64, v58, -v71
	v_fmac_f32_e32 v59, v65, v58
	v_mul_f32_e32 v58, v65, v61
	s_delay_alu instid0(VALU_DEP_2) | instskip(NEXT) | instid1(VALU_DEP_4)
	v_add_f32_e32 v68, v68, v59
	v_add_f32_e32 v67, v67, v71
	s_delay_alu instid0(VALU_DEP_3) | instskip(SKIP_1) | instid1(VALU_DEP_2)
	v_fma_f32 v58, v64, v60, -v58
	v_mul_f32_e32 v59, v64, v61
	v_add_f32_e32 v71, v62, v58
	s_delay_alu instid0(VALU_DEP_2) | instskip(NEXT) | instid1(VALU_DEP_1)
	v_fmac_f32_e32 v59, v65, v60
	v_add_f32_e32 v41, v41, v59
	ds_load_2addr_b64 v[58:61], v48 offset0:128 offset1:144
	v_add_f32_e32 v63, v74, v63
	s_wait_dscnt 0x0
	v_mul_f32_e32 v62, v5, v59
	v_mul_f32_e32 v64, v4, v59
	s_delay_alu instid0(VALU_DEP_2) | instskip(NEXT) | instid1(VALU_DEP_2)
	v_fma_f32 v62, v4, v58, -v62
	v_fmac_f32_e32 v64, v5, v58
	s_delay_alu instid0(VALU_DEP_2) | instskip(SKIP_1) | instid1(VALU_DEP_3)
	v_add_f32_e32 v72, v63, v62
	v_mul_f32_e32 v62, v5, v61
	v_add_f32_e32 v70, v70, v64
	s_delay_alu instid0(VALU_DEP_2) | instskip(SKIP_1) | instid1(VALU_DEP_1)
	v_fma_f32 v62, v4, v60, -v62
	v_mul_f32_e32 v4, v4, v61
	v_fmac_f32_e32 v4, v5, v60
	s_delay_alu instid0(VALU_DEP_1) | instskip(NEXT) | instid1(VALU_DEP_1)
	v_dual_add_f32 v69, v69, v73 :: v_dual_add_f32 v4, v66, v4
	v_add_f32_e32 v5, v69, v62
	ds_load_b128 v[62:65], v49 offset:4128
	s_wait_dscnt 0x0
	v_mul_f32_e32 v66, v63, v59
	v_mul_f32_e32 v59, v62, v59
	s_delay_alu instid0(VALU_DEP_2) | instskip(NEXT) | instid1(VALU_DEP_2)
	v_fma_f32 v66, v62, v58, -v66
	v_fmac_f32_e32 v59, v63, v58
	v_mul_f32_e32 v58, v63, v61
	s_delay_alu instid0(VALU_DEP_2) | instskip(SKIP_1) | instid1(VALU_DEP_3)
	v_dual_add_f32 v66, v67, v66 :: v_dual_add_f32 v67, v68, v59
	v_mul_f32_e32 v59, v62, v61
	v_fma_f32 v58, v62, v60, -v58
	s_delay_alu instid0(VALU_DEP_2) | instskip(NEXT) | instid1(VALU_DEP_1)
	v_fmac_f32_e32 v59, v63, v60
	v_dual_add_f32 v62, v71, v58 :: v_dual_add_f32 v41, v41, v59
	ds_load_2addr_b64 v[58:61], v48 offset0:160 offset1:176
	s_wait_dscnt 0x0
	v_mul_f32_e32 v63, v7, v59
	v_dual_mul_f32 v69, v7, v61 :: v_dual_mul_f32 v68, v6, v59
	s_delay_alu instid0(VALU_DEP_2) | instskip(NEXT) | instid1(VALU_DEP_2)
	v_fma_f32 v63, v6, v58, -v63
	v_fma_f32 v69, v6, v60, -v69
	v_mul_f32_e32 v6, v6, v61
	s_delay_alu instid0(VALU_DEP_4) | instskip(NEXT) | instid1(VALU_DEP_2)
	v_fmac_f32_e32 v68, v7, v58
	v_fmac_f32_e32 v6, v7, v60
	s_delay_alu instid0(VALU_DEP_2) | instskip(NEXT) | instid1(VALU_DEP_2)
	v_dual_add_f32 v68, v70, v68 :: v_dual_add_f32 v69, v5, v69
	v_add_f32_e32 v70, v4, v6
	v_mul_f32_e32 v4, v65, v59
	v_mul_f32_e32 v5, v64, v59
	s_delay_alu instid0(VALU_DEP_2) | instskip(NEXT) | instid1(VALU_DEP_1)
	v_fma_f32 v4, v64, v58, -v4
	v_dual_fmac_f32 v5, v65, v58 :: v_dual_add_f32 v66, v66, v4
	v_mul_f32_e32 v4, v65, v61
	s_delay_alu instid0(VALU_DEP_1) | instskip(NEXT) | instid1(VALU_DEP_1)
	v_fma_f32 v4, v64, v60, -v4
	v_dual_add_f32 v62, v62, v4 :: v_dual_add_f32 v67, v67, v5
	v_mul_f32_e32 v5, v64, v61
	s_delay_alu instid0(VALU_DEP_1) | instskip(NEXT) | instid1(VALU_DEP_1)
	v_fmac_f32_e32 v5, v65, v60
	v_add_f32_e32 v41, v41, v5
	ds_load_2addr_b64 v[4:7], v48 offset0:192 offset1:208
	s_wait_dscnt 0x0
	v_dual_add_f32 v63, v72, v63 :: v_dual_mul_f32 v58, v1, v5
	v_mul_f32_e32 v59, v0, v5
	s_delay_alu instid0(VALU_DEP_2) | instskip(NEXT) | instid1(VALU_DEP_2)
	v_fma_f32 v58, v0, v4, -v58
	v_fmac_f32_e32 v59, v1, v4
	s_delay_alu instid0(VALU_DEP_2) | instskip(NEXT) | instid1(VALU_DEP_2)
	v_dual_add_f32 v63, v63, v58 :: v_dual_mul_f32 v58, v1, v7
	v_add_f32_e32 v64, v68, v59
	s_delay_alu instid0(VALU_DEP_2) | instskip(SKIP_1) | instid1(VALU_DEP_1)
	v_fma_f32 v58, v0, v6, -v58
	v_mul_f32_e32 v0, v0, v7
	v_fmac_f32_e32 v0, v1, v6
	s_delay_alu instid0(VALU_DEP_3) | instskip(SKIP_4) | instid1(VALU_DEP_2)
	v_add_f32_e32 v1, v69, v58
	ds_load_b128 v[58:61], v49 offset:4144
	s_wait_dscnt 0x0
	v_dual_add_f32 v0, v70, v0 :: v_dual_mul_f32 v65, v59, v5
	v_mul_f32_e32 v5, v58, v5
	v_fma_f32 v65, v58, v4, -v65
	s_delay_alu instid0(VALU_DEP_2) | instskip(NEXT) | instid1(VALU_DEP_2)
	v_fmac_f32_e32 v5, v59, v4
	v_dual_mul_f32 v4, v59, v7 :: v_dual_add_f32 v65, v66, v65
	s_delay_alu instid0(VALU_DEP_2) | instskip(NEXT) | instid1(VALU_DEP_2)
	v_dual_add_f32 v66, v67, v5 :: v_dual_mul_f32 v5, v58, v7
	v_fma_f32 v4, v58, v6, -v4
	s_delay_alu instid0(VALU_DEP_1) | instskip(NEXT) | instid1(VALU_DEP_1)
	v_dual_fmac_f32 v5, v59, v6 :: v_dual_add_f32 v58, v62, v4
	v_add_f32_e32 v41, v41, v5
	ds_load_2addr_b64 v[4:7], v48 offset0:224 offset1:240
	s_wait_dscnt 0x0
	v_mul_f32_e32 v59, v3, v5
	v_mul_f32_e32 v62, v2, v5
	s_delay_alu instid0(VALU_DEP_2) | instskip(NEXT) | instid1(VALU_DEP_2)
	v_fma_f32 v59, v2, v4, -v59
	v_fmac_f32_e32 v62, v3, v4
	s_delay_alu instid0(VALU_DEP_2) | instskip(NEXT) | instid1(VALU_DEP_2)
	v_add_f32_e32 v59, v63, v59
	v_dual_mul_f32 v63, v3, v7 :: v_dual_add_f32 v62, v64, v62
	s_delay_alu instid0(VALU_DEP_1) | instskip(SKIP_1) | instid1(VALU_DEP_1)
	v_fma_f32 v63, v2, v6, -v63
	v_mul_f32_e32 v2, v2, v7
	v_fmac_f32_e32 v2, v3, v6
	s_delay_alu instid0(VALU_DEP_1) | instskip(SKIP_2) | instid1(VALU_DEP_2)
	v_dual_add_f32 v64, v0, v2 :: v_dual_add_f32 v63, v1, v63
	v_mul_f32_e32 v0, v61, v5
	v_mul_f32_e32 v1, v60, v5
	v_fma_f32 v0, v60, v4, -v0
	s_delay_alu instid0(VALU_DEP_2) | instskip(NEXT) | instid1(VALU_DEP_1)
	v_fmac_f32_e32 v1, v61, v4
	v_dual_add_f32 v66, v66, v1 :: v_dual_add_f32 v65, v65, v0
	v_mul_f32_e32 v0, v61, v7
	s_delay_alu instid0(VALU_DEP_1) | instskip(NEXT) | instid1(VALU_DEP_1)
	v_fma_f32 v0, v60, v6, -v0
	v_add_f32_e32 v67, v58, v0
	v_mul_f32_e32 v1, v60, v7
	s_delay_alu instid0(VALU_DEP_1) | instskip(NEXT) | instid1(VALU_DEP_1)
	v_fmac_f32_e32 v1, v61, v6
	v_add_f32_e32 v41, v41, v1
	ds_load_b128 v[0:3], v49 offset:64
	ds_load_2addr_b64 v[4:7], v53 offset1:16
	s_wait_dscnt 0x0
	v_mul_f32_e32 v58, v1, v5
	v_mul_f32_e32 v60, v0, v5
	s_delay_alu instid0(VALU_DEP_2) | instskip(NEXT) | instid1(VALU_DEP_2)
	v_fma_f32 v58, v0, v4, -v58
	v_fmac_f32_e32 v60, v1, v4
	s_delay_alu instid0(VALU_DEP_2) | instskip(SKIP_1) | instid1(VALU_DEP_3)
	v_add_f32_e32 v68, v59, v58
	v_mul_f32_e32 v58, v1, v7
	v_add_f32_e32 v62, v62, v60
	s_delay_alu instid0(VALU_DEP_2) | instskip(SKIP_1) | instid1(VALU_DEP_1)
	v_fma_f32 v58, v0, v6, -v58
	v_mul_f32_e32 v0, v0, v7
	v_fmac_f32_e32 v0, v1, v6
	s_delay_alu instid0(VALU_DEP_1) | instskip(SKIP_4) | instid1(VALU_DEP_2)
	v_dual_add_f32 v0, v64, v0 :: v_dual_add_f32 v1, v63, v58
	ds_load_b128 v[58:61], v49 offset:4160
	s_wait_dscnt 0x0
	v_mul_f32_e32 v63, v59, v5
	v_mul_f32_e32 v5, v58, v5
	v_fma_f32 v63, v58, v4, -v63
	s_delay_alu instid0(VALU_DEP_2) | instskip(SKIP_1) | instid1(VALU_DEP_2)
	v_fmac_f32_e32 v5, v59, v4
	v_mul_f32_e32 v4, v59, v7
	v_add_f32_e32 v64, v66, v5
	v_mul_f32_e32 v5, v58, v7
	s_delay_alu instid0(VALU_DEP_3) | instskip(SKIP_1) | instid1(VALU_DEP_3)
	v_fma_f32 v4, v58, v6, -v4
	v_add_f32_e32 v63, v65, v63
	v_fmac_f32_e32 v5, v59, v6
	s_delay_alu instid0(VALU_DEP_1) | instskip(SKIP_3) | instid1(VALU_DEP_1)
	v_dual_add_f32 v58, v67, v4 :: v_dual_add_f32 v41, v41, v5
	ds_load_2addr_b64 v[4:7], v53 offset0:32 offset1:48
	s_wait_dscnt 0x0
	v_mul_f32_e32 v65, v2, v5
	v_fmac_f32_e32 v65, v3, v4
	s_delay_alu instid0(VALU_DEP_1) | instskip(SKIP_2) | instid1(VALU_DEP_2)
	v_add_f32_e32 v62, v62, v65
	v_mul_f32_e32 v59, v3, v5
	v_mul_f32_e32 v65, v3, v7
	v_fma_f32 v59, v2, v4, -v59
	s_delay_alu instid0(VALU_DEP_2) | instskip(SKIP_1) | instid1(VALU_DEP_1)
	v_fma_f32 v65, v2, v6, -v65
	v_mul_f32_e32 v2, v2, v7
	v_fmac_f32_e32 v2, v3, v6
	s_delay_alu instid0(VALU_DEP_1) | instskip(SKIP_3) | instid1(VALU_DEP_3)
	v_add_f32_e32 v66, v0, v2
	v_mul_f32_e32 v0, v61, v5
	v_add_f32_e32 v65, v1, v65
	v_mul_f32_e32 v1, v60, v5
	v_fma_f32 v0, v60, v4, -v0
	s_delay_alu instid0(VALU_DEP_2) | instskip(NEXT) | instid1(VALU_DEP_2)
	v_fmac_f32_e32 v1, v61, v4
	v_dual_add_f32 v63, v63, v0 :: v_dual_mul_f32 v0, v61, v7
	s_delay_alu instid0(VALU_DEP_2) | instskip(NEXT) | instid1(VALU_DEP_2)
	v_add_f32_e32 v64, v64, v1
	v_fma_f32 v0, v60, v6, -v0
	s_delay_alu instid0(VALU_DEP_1) | instskip(SKIP_1) | instid1(VALU_DEP_1)
	v_add_f32_e32 v67, v58, v0
	v_mul_f32_e32 v1, v60, v7
	v_fmac_f32_e32 v1, v61, v6
	s_delay_alu instid0(VALU_DEP_1)
	v_add_f32_e32 v41, v41, v1
	ds_load_b128 v[0:3], v49 offset:80
	ds_load_2addr_b64 v[4:7], v53 offset0:64 offset1:80
	s_wait_dscnt 0x0
	v_dual_add_f32 v59, v68, v59 :: v_dual_mul_f32 v58, v1, v5
	v_mul_f32_e32 v60, v0, v5
	s_delay_alu instid0(VALU_DEP_2) | instskip(NEXT) | instid1(VALU_DEP_2)
	v_fma_f32 v58, v0, v4, -v58
	v_fmac_f32_e32 v60, v1, v4
	s_delay_alu instid0(VALU_DEP_2) | instskip(SKIP_1) | instid1(VALU_DEP_3)
	v_add_f32_e32 v68, v59, v58
	v_mul_f32_e32 v58, v1, v7
	v_add_f32_e32 v62, v62, v60
	s_delay_alu instid0(VALU_DEP_2) | instskip(SKIP_1) | instid1(VALU_DEP_1)
	v_fma_f32 v58, v0, v6, -v58
	v_mul_f32_e32 v0, v0, v7
	v_fmac_f32_e32 v0, v1, v6
	s_delay_alu instid0(VALU_DEP_3) | instskip(SKIP_4) | instid1(VALU_DEP_2)
	v_add_f32_e32 v1, v65, v58
	ds_load_b128 v[58:61], v49 offset:4176
	s_wait_dscnt 0x0
	v_dual_add_f32 v0, v66, v0 :: v_dual_mul_f32 v65, v59, v5
	v_mul_f32_e32 v5, v58, v5
	v_fma_f32 v65, v58, v4, -v65
	s_delay_alu instid0(VALU_DEP_2) | instskip(SKIP_1) | instid1(VALU_DEP_3)
	v_fmac_f32_e32 v5, v59, v4
	v_mul_f32_e32 v4, v59, v7
	v_add_f32_e32 v63, v63, v65
	s_delay_alu instid0(VALU_DEP_3) | instskip(NEXT) | instid1(VALU_DEP_3)
	v_dual_add_f32 v64, v64, v5 :: v_dual_mul_f32 v5, v58, v7
	v_fma_f32 v4, v58, v6, -v4
	s_delay_alu instid0(VALU_DEP_2) | instskip(NEXT) | instid1(VALU_DEP_1)
	v_fmac_f32_e32 v5, v59, v6
	v_dual_add_f32 v58, v67, v4 :: v_dual_add_f32 v41, v41, v5
	ds_load_2addr_b64 v[4:7], v53 offset0:96 offset1:112
	s_wait_dscnt 0x0
	v_mul_f32_e32 v65, v2, v5
	v_mul_f32_e32 v59, v3, v5
	s_delay_alu instid0(VALU_DEP_2) | instskip(NEXT) | instid1(VALU_DEP_2)
	v_fmac_f32_e32 v65, v3, v4
	v_fma_f32 v59, v2, v4, -v59
	s_delay_alu instid0(VALU_DEP_2) | instskip(NEXT) | instid1(VALU_DEP_1)
	v_dual_add_f32 v62, v62, v65 :: v_dual_mul_f32 v65, v3, v7
	v_fma_f32 v65, v2, v6, -v65
	v_mul_f32_e32 v2, v2, v7
	s_delay_alu instid0(VALU_DEP_1) | instskip(NEXT) | instid1(VALU_DEP_1)
	v_fmac_f32_e32 v2, v3, v6
	v_add_f32_e32 v66, v0, v2
	v_mul_f32_e32 v0, v61, v5
	s_delay_alu instid0(VALU_DEP_1) | instskip(NEXT) | instid1(VALU_DEP_1)
	v_fma_f32 v0, v60, v4, -v0
	v_dual_add_f32 v63, v63, v0 :: v_dual_mul_f32 v0, v61, v7
	s_delay_alu instid0(VALU_DEP_1) | instskip(NEXT) | instid1(VALU_DEP_1)
	v_fma_f32 v0, v60, v6, -v0
	v_add_f32_e32 v67, v58, v0
	v_add_f32_e32 v65, v1, v65
	v_mul_f32_e32 v1, v60, v5
	s_delay_alu instid0(VALU_DEP_1) | instskip(NEXT) | instid1(VALU_DEP_1)
	v_fmac_f32_e32 v1, v61, v4
	v_add_f32_e32 v64, v64, v1
	v_mul_f32_e32 v1, v60, v7
	s_delay_alu instid0(VALU_DEP_1) | instskip(NEXT) | instid1(VALU_DEP_1)
	v_fmac_f32_e32 v1, v61, v6
	v_add_f32_e32 v41, v41, v1
	ds_load_b128 v[0:3], v49 offset:96
	ds_load_2addr_b64 v[4:7], v53 offset0:128 offset1:144
	s_wait_dscnt 0x0
	v_dual_add_f32 v59, v68, v59 :: v_dual_mul_f32 v58, v1, v5
	v_mul_f32_e32 v60, v0, v5
	s_delay_alu instid0(VALU_DEP_2) | instskip(NEXT) | instid1(VALU_DEP_2)
	v_fma_f32 v58, v0, v4, -v58
	v_fmac_f32_e32 v60, v1, v4
	s_delay_alu instid0(VALU_DEP_2) | instskip(SKIP_1) | instid1(VALU_DEP_3)
	v_add_f32_e32 v68, v59, v58
	v_mul_f32_e32 v58, v1, v7
	v_add_f32_e32 v62, v62, v60
	s_delay_alu instid0(VALU_DEP_2) | instskip(SKIP_1) | instid1(VALU_DEP_1)
	v_fma_f32 v58, v0, v6, -v58
	v_mul_f32_e32 v0, v0, v7
	v_fmac_f32_e32 v0, v1, v6
	s_delay_alu instid0(VALU_DEP_3) | instskip(SKIP_4) | instid1(VALU_DEP_2)
	v_add_f32_e32 v1, v65, v58
	ds_load_b128 v[58:61], v49 offset:4192
	s_wait_dscnt 0x0
	v_dual_add_f32 v0, v66, v0 :: v_dual_mul_f32 v65, v59, v5
	v_mul_f32_e32 v5, v58, v5
	v_fma_f32 v65, v58, v4, -v65
	s_delay_alu instid0(VALU_DEP_2) | instskip(SKIP_1) | instid1(VALU_DEP_3)
	v_fmac_f32_e32 v5, v59, v4
	v_mul_f32_e32 v4, v59, v7
	v_add_f32_e32 v63, v63, v65
	s_delay_alu instid0(VALU_DEP_3) | instskip(NEXT) | instid1(VALU_DEP_3)
	v_dual_add_f32 v64, v64, v5 :: v_dual_mul_f32 v5, v58, v7
	v_fma_f32 v4, v58, v6, -v4
	s_delay_alu instid0(VALU_DEP_2) | instskip(NEXT) | instid1(VALU_DEP_1)
	v_fmac_f32_e32 v5, v59, v6
	v_dual_add_f32 v58, v67, v4 :: v_dual_add_f32 v41, v41, v5
	ds_load_2addr_b64 v[4:7], v53 offset0:160 offset1:176
	s_wait_dscnt 0x0
	v_mul_f32_e32 v65, v2, v5
	v_mul_f32_e32 v59, v3, v5
	s_delay_alu instid0(VALU_DEP_2) | instskip(NEXT) | instid1(VALU_DEP_2)
	v_fmac_f32_e32 v65, v3, v4
	v_fma_f32 v59, v2, v4, -v59
	s_delay_alu instid0(VALU_DEP_2) | instskip(NEXT) | instid1(VALU_DEP_1)
	v_dual_add_f32 v62, v62, v65 :: v_dual_mul_f32 v65, v3, v7
	v_fma_f32 v65, v2, v6, -v65
	v_mul_f32_e32 v2, v2, v7
	s_delay_alu instid0(VALU_DEP_1) | instskip(NEXT) | instid1(VALU_DEP_1)
	v_fmac_f32_e32 v2, v3, v6
	v_add_f32_e32 v66, v0, v2
	v_mul_f32_e32 v0, v61, v5
	s_delay_alu instid0(VALU_DEP_1) | instskip(NEXT) | instid1(VALU_DEP_1)
	v_fma_f32 v0, v60, v4, -v0
	v_dual_add_f32 v63, v63, v0 :: v_dual_mul_f32 v0, v61, v7
	s_delay_alu instid0(VALU_DEP_1) | instskip(NEXT) | instid1(VALU_DEP_1)
	v_fma_f32 v0, v60, v6, -v0
	v_add_f32_e32 v67, v58, v0
	v_add_f32_e32 v65, v1, v65
	v_mul_f32_e32 v1, v60, v5
	s_delay_alu instid0(VALU_DEP_1) | instskip(NEXT) | instid1(VALU_DEP_1)
	v_fmac_f32_e32 v1, v61, v4
	v_add_f32_e32 v64, v64, v1
	v_mul_f32_e32 v1, v60, v7
	s_delay_alu instid0(VALU_DEP_1) | instskip(NEXT) | instid1(VALU_DEP_1)
	v_fmac_f32_e32 v1, v61, v6
	v_add_f32_e32 v41, v41, v1
	ds_load_b128 v[0:3], v49 offset:112
	ds_load_2addr_b64 v[4:7], v53 offset0:192 offset1:208
	s_wait_dscnt 0x0
	v_dual_add_f32 v59, v68, v59 :: v_dual_mul_f32 v58, v1, v5
	v_mul_f32_e32 v60, v0, v5
	s_delay_alu instid0(VALU_DEP_2) | instskip(NEXT) | instid1(VALU_DEP_2)
	v_fma_f32 v58, v0, v4, -v58
	v_fmac_f32_e32 v60, v1, v4
	s_delay_alu instid0(VALU_DEP_2) | instskip(SKIP_1) | instid1(VALU_DEP_3)
	v_add_f32_e32 v68, v59, v58
	v_mul_f32_e32 v58, v1, v7
	v_add_f32_e32 v62, v62, v60
	s_delay_alu instid0(VALU_DEP_2) | instskip(SKIP_1) | instid1(VALU_DEP_1)
	v_fma_f32 v58, v0, v6, -v58
	v_mul_f32_e32 v0, v0, v7
	v_fmac_f32_e32 v0, v1, v6
	s_delay_alu instid0(VALU_DEP_3) | instskip(SKIP_4) | instid1(VALU_DEP_2)
	v_add_f32_e32 v1, v65, v58
	ds_load_b128 v[58:61], v49 offset:4208
	s_wait_dscnt 0x0
	v_dual_add_f32 v0, v66, v0 :: v_dual_mul_f32 v65, v59, v5
	v_mul_f32_e32 v5, v58, v5
	v_fma_f32 v65, v58, v4, -v65
	s_delay_alu instid0(VALU_DEP_2) | instskip(SKIP_1) | instid1(VALU_DEP_3)
	v_fmac_f32_e32 v5, v59, v4
	v_mul_f32_e32 v4, v59, v7
	v_add_f32_e32 v63, v63, v65
	s_delay_alu instid0(VALU_DEP_3) | instskip(NEXT) | instid1(VALU_DEP_3)
	v_dual_add_f32 v64, v64, v5 :: v_dual_mul_f32 v5, v58, v7
	v_fma_f32 v4, v58, v6, -v4
	s_delay_alu instid0(VALU_DEP_2) | instskip(NEXT) | instid1(VALU_DEP_1)
	v_fmac_f32_e32 v5, v59, v6
	v_dual_add_f32 v58, v67, v4 :: v_dual_add_f32 v41, v41, v5
	ds_load_2addr_b64 v[4:7], v53 offset0:224 offset1:240
	s_wait_dscnt 0x0
	v_mul_f32_e32 v65, v2, v5
	v_mul_f32_e32 v59, v3, v5
	s_delay_alu instid0(VALU_DEP_2) | instskip(NEXT) | instid1(VALU_DEP_2)
	v_fmac_f32_e32 v65, v3, v4
	v_fma_f32 v59, v2, v4, -v59
	s_delay_alu instid0(VALU_DEP_2) | instskip(NEXT) | instid1(VALU_DEP_1)
	v_dual_add_f32 v62, v62, v65 :: v_dual_mul_f32 v65, v3, v7
	v_fma_f32 v65, v2, v6, -v65
	s_delay_alu instid0(VALU_DEP_1) | instskip(NEXT) | instid1(VALU_DEP_1)
	v_dual_mul_f32 v2, v2, v7 :: v_dual_add_f32 v65, v1, v65
	v_dual_fmac_f32 v2, v3, v6 :: v_dual_mul_f32 v1, v60, v5
	s_delay_alu instid0(VALU_DEP_1) | instskip(SKIP_1) | instid1(VALU_DEP_3)
	v_add_f32_e32 v66, v0, v2
	v_mul_f32_e32 v0, v61, v5
	v_fmac_f32_e32 v1, v61, v4
	s_delay_alu instid0(VALU_DEP_2) | instskip(NEXT) | instid1(VALU_DEP_2)
	v_fma_f32 v0, v60, v4, -v0
	v_add_f32_e32 v64, v64, v1
	v_mul_f32_e32 v1, v60, v7
	s_delay_alu instid0(VALU_DEP_3) | instskip(NEXT) | instid1(VALU_DEP_2)
	v_dual_add_f32 v63, v63, v0 :: v_dual_mul_f32 v0, v61, v7
	v_fmac_f32_e32 v1, v61, v6
	s_delay_alu instid0(VALU_DEP_2) | instskip(NEXT) | instid1(VALU_DEP_2)
	v_fma_f32 v0, v60, v6, -v0
	v_add_f32_e32 v41, v41, v1
	s_delay_alu instid0(VALU_DEP_2)
	v_add_f32_e32 v67, v58, v0
	ds_load_b128 v[0:3], v49 offset:128
	ds_load_2addr_b64 v[4:7], v54 offset1:16
	s_wait_dscnt 0x0
	v_mul_f32_e32 v60, v0, v5
	v_mul_f32_e32 v58, v1, v5
	s_delay_alu instid0(VALU_DEP_2) | instskip(NEXT) | instid1(VALU_DEP_2)
	v_fmac_f32_e32 v60, v1, v4
	v_fma_f32 v58, v0, v4, -v58
	s_delay_alu instid0(VALU_DEP_2) | instskip(NEXT) | instid1(VALU_DEP_1)
	v_dual_add_f32 v62, v62, v60 :: v_dual_add_f32 v59, v68, v59
	v_add_f32_e32 v68, v59, v58
	v_mul_f32_e32 v58, v1, v7
	s_delay_alu instid0(VALU_DEP_1) | instskip(SKIP_1) | instid1(VALU_DEP_1)
	v_fma_f32 v58, v0, v6, -v58
	v_mul_f32_e32 v0, v0, v7
	v_fmac_f32_e32 v0, v1, v6
	s_delay_alu instid0(VALU_DEP_3) | instskip(SKIP_4) | instid1(VALU_DEP_2)
	v_add_f32_e32 v1, v65, v58
	ds_load_b128 v[58:61], v49 offset:4224
	s_wait_dscnt 0x0
	v_dual_add_f32 v0, v66, v0 :: v_dual_mul_f32 v65, v59, v5
	v_mul_f32_e32 v5, v58, v5
	v_fma_f32 v65, v58, v4, -v65
	s_delay_alu instid0(VALU_DEP_2) | instskip(SKIP_1) | instid1(VALU_DEP_3)
	v_fmac_f32_e32 v5, v59, v4
	v_mul_f32_e32 v4, v59, v7
	v_add_f32_e32 v63, v63, v65
	s_delay_alu instid0(VALU_DEP_3) | instskip(NEXT) | instid1(VALU_DEP_3)
	v_dual_add_f32 v64, v64, v5 :: v_dual_mul_f32 v5, v58, v7
	v_fma_f32 v4, v58, v6, -v4
	s_delay_alu instid0(VALU_DEP_2) | instskip(NEXT) | instid1(VALU_DEP_1)
	v_fmac_f32_e32 v5, v59, v6
	v_dual_add_f32 v58, v67, v4 :: v_dual_add_f32 v41, v41, v5
	ds_load_2addr_b64 v[4:7], v54 offset0:32 offset1:48
	s_wait_dscnt 0x0
	v_mul_f32_e32 v65, v2, v5
	v_mul_f32_e32 v59, v3, v5
	s_delay_alu instid0(VALU_DEP_2) | instskip(NEXT) | instid1(VALU_DEP_2)
	v_fmac_f32_e32 v65, v3, v4
	v_fma_f32 v59, v2, v4, -v59
	s_delay_alu instid0(VALU_DEP_2) | instskip(NEXT) | instid1(VALU_DEP_2)
	v_dual_add_f32 v62, v62, v65 :: v_dual_mul_f32 v65, v3, v7
	v_add_f32_e32 v59, v68, v59
	s_delay_alu instid0(VALU_DEP_2) | instskip(NEXT) | instid1(VALU_DEP_1)
	v_fma_f32 v65, v2, v6, -v65
	v_dual_mul_f32 v2, v2, v7 :: v_dual_add_f32 v65, v1, v65
	s_delay_alu instid0(VALU_DEP_1) | instskip(NEXT) | instid1(VALU_DEP_1)
	v_dual_fmac_f32 v2, v3, v6 :: v_dual_mul_f32 v1, v60, v5
	v_add_f32_e32 v66, v0, v2
	v_mul_f32_e32 v0, v61, v5
	s_delay_alu instid0(VALU_DEP_3) | instskip(NEXT) | instid1(VALU_DEP_2)
	v_fmac_f32_e32 v1, v61, v4
	v_fma_f32 v0, v60, v4, -v0
	s_delay_alu instid0(VALU_DEP_2) | instskip(SKIP_1) | instid1(VALU_DEP_3)
	v_add_f32_e32 v64, v64, v1
	v_mul_f32_e32 v1, v60, v7
	v_dual_add_f32 v63, v63, v0 :: v_dual_mul_f32 v0, v61, v7
	s_delay_alu instid0(VALU_DEP_2) | instskip(NEXT) | instid1(VALU_DEP_2)
	v_fmac_f32_e32 v1, v61, v6
	v_fma_f32 v0, v60, v6, -v0
	s_delay_alu instid0(VALU_DEP_2) | instskip(NEXT) | instid1(VALU_DEP_2)
	v_add_f32_e32 v41, v41, v1
	v_add_f32_e32 v67, v58, v0
	ds_load_b128 v[0:3], v49 offset:144
	ds_load_2addr_b64 v[4:7], v54 offset0:64 offset1:80
	s_wait_dscnt 0x0
	v_mul_f32_e32 v58, v1, v5
	v_mul_f32_e32 v60, v0, v5
	s_delay_alu instid0(VALU_DEP_2) | instskip(NEXT) | instid1(VALU_DEP_2)
	v_fma_f32 v58, v0, v4, -v58
	v_fmac_f32_e32 v60, v1, v4
	s_delay_alu instid0(VALU_DEP_2) | instskip(SKIP_1) | instid1(VALU_DEP_3)
	v_add_f32_e32 v68, v59, v58
	v_mul_f32_e32 v58, v1, v7
	v_add_f32_e32 v62, v62, v60
	s_delay_alu instid0(VALU_DEP_2) | instskip(SKIP_1) | instid1(VALU_DEP_1)
	v_fma_f32 v58, v0, v6, -v58
	v_mul_f32_e32 v0, v0, v7
	v_fmac_f32_e32 v0, v1, v6
	s_delay_alu instid0(VALU_DEP_3) | instskip(SKIP_4) | instid1(VALU_DEP_2)
	v_add_f32_e32 v1, v65, v58
	ds_load_b128 v[58:61], v49 offset:4240
	s_wait_dscnt 0x0
	v_dual_add_f32 v0, v66, v0 :: v_dual_mul_f32 v65, v59, v5
	v_mul_f32_e32 v5, v58, v5
	v_fma_f32 v65, v58, v4, -v65
	s_delay_alu instid0(VALU_DEP_2) | instskip(SKIP_1) | instid1(VALU_DEP_3)
	v_fmac_f32_e32 v5, v59, v4
	v_mul_f32_e32 v4, v59, v7
	v_add_f32_e32 v63, v63, v65
	s_delay_alu instid0(VALU_DEP_3) | instskip(NEXT) | instid1(VALU_DEP_3)
	v_dual_add_f32 v64, v64, v5 :: v_dual_mul_f32 v5, v58, v7
	v_fma_f32 v4, v58, v6, -v4
	s_delay_alu instid0(VALU_DEP_2) | instskip(NEXT) | instid1(VALU_DEP_1)
	v_fmac_f32_e32 v5, v59, v6
	v_dual_add_f32 v58, v67, v4 :: v_dual_add_f32 v41, v41, v5
	ds_load_2addr_b64 v[4:7], v54 offset0:96 offset1:112
	s_wait_dscnt 0x0
	v_mul_f32_e32 v65, v2, v5
	v_mul_f32_e32 v59, v3, v5
	s_delay_alu instid0(VALU_DEP_2) | instskip(NEXT) | instid1(VALU_DEP_2)
	v_fmac_f32_e32 v65, v3, v4
	v_fma_f32 v59, v2, v4, -v59
	s_delay_alu instid0(VALU_DEP_2) | instskip(NEXT) | instid1(VALU_DEP_2)
	v_dual_add_f32 v62, v62, v65 :: v_dual_mul_f32 v65, v3, v7
	v_add_f32_e32 v59, v68, v59
	s_delay_alu instid0(VALU_DEP_2) | instskip(NEXT) | instid1(VALU_DEP_1)
	v_fma_f32 v65, v2, v6, -v65
	v_dual_mul_f32 v2, v2, v7 :: v_dual_add_f32 v65, v1, v65
	s_delay_alu instid0(VALU_DEP_1) | instskip(NEXT) | instid1(VALU_DEP_1)
	v_dual_fmac_f32 v2, v3, v6 :: v_dual_mul_f32 v1, v60, v5
	v_add_f32_e32 v66, v0, v2
	v_mul_f32_e32 v0, v61, v5
	s_delay_alu instid0(VALU_DEP_3) | instskip(NEXT) | instid1(VALU_DEP_2)
	v_fmac_f32_e32 v1, v61, v4
	v_fma_f32 v0, v60, v4, -v0
	s_delay_alu instid0(VALU_DEP_2) | instskip(SKIP_1) | instid1(VALU_DEP_3)
	v_add_f32_e32 v64, v64, v1
	v_mul_f32_e32 v1, v60, v7
	v_dual_add_f32 v63, v63, v0 :: v_dual_mul_f32 v0, v61, v7
	s_delay_alu instid0(VALU_DEP_2) | instskip(NEXT) | instid1(VALU_DEP_2)
	v_fmac_f32_e32 v1, v61, v6
	v_fma_f32 v0, v60, v6, -v0
	s_delay_alu instid0(VALU_DEP_2) | instskip(NEXT) | instid1(VALU_DEP_2)
	v_add_f32_e32 v41, v41, v1
	v_add_f32_e32 v67, v58, v0
	ds_load_b128 v[0:3], v49 offset:160
	ds_load_2addr_b64 v[4:7], v54 offset0:128 offset1:144
	s_wait_dscnt 0x0
	v_mul_f32_e32 v58, v1, v5
	v_mul_f32_e32 v60, v0, v5
	s_delay_alu instid0(VALU_DEP_2) | instskip(NEXT) | instid1(VALU_DEP_2)
	v_fma_f32 v58, v0, v4, -v58
	v_fmac_f32_e32 v60, v1, v4
	s_delay_alu instid0(VALU_DEP_2) | instskip(SKIP_1) | instid1(VALU_DEP_3)
	v_add_f32_e32 v68, v59, v58
	v_mul_f32_e32 v58, v1, v7
	v_add_f32_e32 v62, v62, v60
	s_delay_alu instid0(VALU_DEP_2) | instskip(SKIP_1) | instid1(VALU_DEP_1)
	;; [unrolled: 63-line block ×3, first 2 shown]
	v_fma_f32 v58, v0, v6, -v58
	v_mul_f32_e32 v0, v0, v7
	v_fmac_f32_e32 v0, v1, v6
	s_delay_alu instid0(VALU_DEP_3) | instskip(SKIP_4) | instid1(VALU_DEP_2)
	v_add_f32_e32 v1, v65, v58
	ds_load_b128 v[58:61], v49 offset:4272
	s_wait_dscnt 0x0
	v_dual_add_f32 v0, v66, v0 :: v_dual_mul_f32 v65, v59, v5
	v_mul_f32_e32 v5, v58, v5
	v_fma_f32 v65, v58, v4, -v65
	s_delay_alu instid0(VALU_DEP_2) | instskip(SKIP_1) | instid1(VALU_DEP_3)
	v_fmac_f32_e32 v5, v59, v4
	v_mul_f32_e32 v4, v59, v7
	v_add_f32_e32 v63, v63, v65
	s_delay_alu instid0(VALU_DEP_3) | instskip(NEXT) | instid1(VALU_DEP_3)
	v_dual_add_f32 v64, v64, v5 :: v_dual_mul_f32 v5, v58, v7
	v_fma_f32 v4, v58, v6, -v4
	s_delay_alu instid0(VALU_DEP_2) | instskip(NEXT) | instid1(VALU_DEP_1)
	v_fmac_f32_e32 v5, v59, v6
	v_dual_add_f32 v58, v67, v4 :: v_dual_add_f32 v41, v41, v5
	ds_load_2addr_b64 v[4:7], v54 offset0:224 offset1:240
	s_wait_dscnt 0x0
	v_mul_f32_e32 v65, v2, v5
	v_mul_f32_e32 v59, v3, v5
	s_delay_alu instid0(VALU_DEP_2) | instskip(NEXT) | instid1(VALU_DEP_2)
	v_fmac_f32_e32 v65, v3, v4
	v_fma_f32 v59, v2, v4, -v59
	s_delay_alu instid0(VALU_DEP_2) | instskip(NEXT) | instid1(VALU_DEP_2)
	v_dual_add_f32 v62, v62, v65 :: v_dual_mul_f32 v65, v3, v7
	v_add_f32_e32 v59, v68, v59
	s_delay_alu instid0(VALU_DEP_2) | instskip(NEXT) | instid1(VALU_DEP_1)
	v_fma_f32 v65, v2, v6, -v65
	v_dual_mul_f32 v2, v2, v7 :: v_dual_add_f32 v65, v1, v65
	s_delay_alu instid0(VALU_DEP_1) | instskip(NEXT) | instid1(VALU_DEP_1)
	v_dual_fmac_f32 v2, v3, v6 :: v_dual_mul_f32 v1, v60, v5
	v_add_f32_e32 v66, v0, v2
	v_mul_f32_e32 v0, v61, v5
	s_delay_alu instid0(VALU_DEP_3) | instskip(NEXT) | instid1(VALU_DEP_2)
	v_fmac_f32_e32 v1, v61, v4
	v_fma_f32 v0, v60, v4, -v0
	s_delay_alu instid0(VALU_DEP_2) | instskip(SKIP_1) | instid1(VALU_DEP_3)
	v_add_f32_e32 v64, v64, v1
	v_mul_f32_e32 v1, v60, v7
	v_dual_add_f32 v63, v63, v0 :: v_dual_mul_f32 v0, v61, v7
	s_delay_alu instid0(VALU_DEP_2) | instskip(NEXT) | instid1(VALU_DEP_2)
	v_fmac_f32_e32 v1, v61, v6
	v_fma_f32 v0, v60, v6, -v0
	s_delay_alu instid0(VALU_DEP_2) | instskip(NEXT) | instid1(VALU_DEP_2)
	v_add_f32_e32 v41, v41, v1
	v_add_f32_e32 v67, v58, v0
	ds_load_b128 v[0:3], v49 offset:192
	ds_load_2addr_b64 v[4:7], v55 offset1:16
	s_wait_dscnt 0x0
	v_mul_f32_e32 v58, v1, v5
	v_mul_f32_e32 v60, v0, v5
	s_delay_alu instid0(VALU_DEP_2) | instskip(NEXT) | instid1(VALU_DEP_2)
	v_fma_f32 v58, v0, v4, -v58
	v_fmac_f32_e32 v60, v1, v4
	s_delay_alu instid0(VALU_DEP_2) | instskip(SKIP_1) | instid1(VALU_DEP_3)
	v_add_f32_e32 v68, v59, v58
	v_mul_f32_e32 v58, v1, v7
	v_add_f32_e32 v62, v62, v60
	s_delay_alu instid0(VALU_DEP_2) | instskip(SKIP_1) | instid1(VALU_DEP_1)
	v_fma_f32 v58, v0, v6, -v58
	v_mul_f32_e32 v0, v0, v7
	v_fmac_f32_e32 v0, v1, v6
	s_delay_alu instid0(VALU_DEP_3) | instskip(SKIP_4) | instid1(VALU_DEP_2)
	v_add_f32_e32 v1, v65, v58
	ds_load_b128 v[58:61], v49 offset:4288
	s_wait_dscnt 0x0
	v_dual_add_f32 v0, v66, v0 :: v_dual_mul_f32 v65, v59, v5
	v_mul_f32_e32 v5, v58, v5
	v_fma_f32 v65, v58, v4, -v65
	s_delay_alu instid0(VALU_DEP_2) | instskip(SKIP_1) | instid1(VALU_DEP_3)
	v_fmac_f32_e32 v5, v59, v4
	v_mul_f32_e32 v4, v59, v7
	v_add_f32_e32 v63, v63, v65
	s_delay_alu instid0(VALU_DEP_3) | instskip(NEXT) | instid1(VALU_DEP_3)
	v_dual_add_f32 v64, v64, v5 :: v_dual_mul_f32 v5, v58, v7
	v_fma_f32 v4, v58, v6, -v4
	s_delay_alu instid0(VALU_DEP_2) | instskip(NEXT) | instid1(VALU_DEP_1)
	v_fmac_f32_e32 v5, v59, v6
	v_dual_add_f32 v58, v67, v4 :: v_dual_add_f32 v41, v41, v5
	ds_load_2addr_b64 v[4:7], v55 offset0:32 offset1:48
	s_wait_dscnt 0x0
	v_mul_f32_e32 v65, v2, v5
	v_mul_f32_e32 v59, v3, v5
	s_delay_alu instid0(VALU_DEP_2) | instskip(NEXT) | instid1(VALU_DEP_2)
	v_fmac_f32_e32 v65, v3, v4
	v_fma_f32 v59, v2, v4, -v59
	s_delay_alu instid0(VALU_DEP_2) | instskip(NEXT) | instid1(VALU_DEP_2)
	v_dual_add_f32 v62, v62, v65 :: v_dual_mul_f32 v65, v3, v7
	v_add_f32_e32 v59, v68, v59
	s_delay_alu instid0(VALU_DEP_2) | instskip(NEXT) | instid1(VALU_DEP_1)
	v_fma_f32 v65, v2, v6, -v65
	v_dual_mul_f32 v2, v2, v7 :: v_dual_add_f32 v65, v1, v65
	s_delay_alu instid0(VALU_DEP_1) | instskip(NEXT) | instid1(VALU_DEP_1)
	v_dual_fmac_f32 v2, v3, v6 :: v_dual_mul_f32 v1, v60, v5
	v_add_f32_e32 v66, v0, v2
	v_mul_f32_e32 v0, v61, v5
	s_delay_alu instid0(VALU_DEP_3) | instskip(NEXT) | instid1(VALU_DEP_2)
	v_fmac_f32_e32 v1, v61, v4
	v_fma_f32 v0, v60, v4, -v0
	s_delay_alu instid0(VALU_DEP_2) | instskip(SKIP_1) | instid1(VALU_DEP_3)
	v_add_f32_e32 v64, v64, v1
	v_mul_f32_e32 v1, v60, v7
	v_dual_add_f32 v63, v63, v0 :: v_dual_mul_f32 v0, v61, v7
	s_delay_alu instid0(VALU_DEP_2) | instskip(NEXT) | instid1(VALU_DEP_2)
	v_fmac_f32_e32 v1, v61, v6
	v_fma_f32 v0, v60, v6, -v0
	s_delay_alu instid0(VALU_DEP_2) | instskip(NEXT) | instid1(VALU_DEP_2)
	v_add_f32_e32 v41, v41, v1
	v_add_f32_e32 v67, v58, v0
	ds_load_b128 v[0:3], v49 offset:208
	ds_load_2addr_b64 v[4:7], v55 offset0:64 offset1:80
	s_wait_dscnt 0x0
	v_mul_f32_e32 v58, v1, v5
	v_mul_f32_e32 v60, v0, v5
	s_delay_alu instid0(VALU_DEP_2) | instskip(NEXT) | instid1(VALU_DEP_2)
	v_fma_f32 v58, v0, v4, -v58
	v_fmac_f32_e32 v60, v1, v4
	s_delay_alu instid0(VALU_DEP_2) | instskip(SKIP_1) | instid1(VALU_DEP_3)
	v_add_f32_e32 v68, v59, v58
	v_mul_f32_e32 v58, v1, v7
	v_add_f32_e32 v62, v62, v60
	s_delay_alu instid0(VALU_DEP_2) | instskip(SKIP_1) | instid1(VALU_DEP_1)
	v_fma_f32 v58, v0, v6, -v58
	v_mul_f32_e32 v0, v0, v7
	v_fmac_f32_e32 v0, v1, v6
	s_delay_alu instid0(VALU_DEP_3) | instskip(SKIP_4) | instid1(VALU_DEP_2)
	v_add_f32_e32 v1, v65, v58
	ds_load_b128 v[58:61], v49 offset:4304
	s_wait_dscnt 0x0
	v_dual_add_f32 v0, v66, v0 :: v_dual_mul_f32 v65, v59, v5
	v_mul_f32_e32 v5, v58, v5
	v_fma_f32 v65, v58, v4, -v65
	s_delay_alu instid0(VALU_DEP_2) | instskip(SKIP_1) | instid1(VALU_DEP_3)
	v_fmac_f32_e32 v5, v59, v4
	v_mul_f32_e32 v4, v59, v7
	v_add_f32_e32 v63, v63, v65
	s_delay_alu instid0(VALU_DEP_3) | instskip(NEXT) | instid1(VALU_DEP_3)
	v_dual_add_f32 v64, v64, v5 :: v_dual_mul_f32 v5, v58, v7
	v_fma_f32 v4, v58, v6, -v4
	s_delay_alu instid0(VALU_DEP_2) | instskip(NEXT) | instid1(VALU_DEP_1)
	v_fmac_f32_e32 v5, v59, v6
	v_dual_add_f32 v58, v67, v4 :: v_dual_add_f32 v41, v41, v5
	ds_load_2addr_b64 v[4:7], v55 offset0:96 offset1:112
	s_wait_dscnt 0x0
	v_mul_f32_e32 v65, v2, v5
	v_mul_f32_e32 v59, v3, v5
	s_delay_alu instid0(VALU_DEP_2) | instskip(NEXT) | instid1(VALU_DEP_2)
	v_fmac_f32_e32 v65, v3, v4
	v_fma_f32 v59, v2, v4, -v59
	s_delay_alu instid0(VALU_DEP_2) | instskip(NEXT) | instid1(VALU_DEP_2)
	v_dual_add_f32 v62, v62, v65 :: v_dual_mul_f32 v65, v3, v7
	v_add_f32_e32 v59, v68, v59
	s_delay_alu instid0(VALU_DEP_2) | instskip(NEXT) | instid1(VALU_DEP_1)
	v_fma_f32 v65, v2, v6, -v65
	v_dual_mul_f32 v2, v2, v7 :: v_dual_add_f32 v65, v1, v65
	s_delay_alu instid0(VALU_DEP_1) | instskip(NEXT) | instid1(VALU_DEP_1)
	v_dual_fmac_f32 v2, v3, v6 :: v_dual_mul_f32 v1, v60, v5
	v_add_f32_e32 v66, v0, v2
	v_mul_f32_e32 v0, v61, v5
	s_delay_alu instid0(VALU_DEP_3) | instskip(NEXT) | instid1(VALU_DEP_2)
	v_fmac_f32_e32 v1, v61, v4
	v_fma_f32 v0, v60, v4, -v0
	s_delay_alu instid0(VALU_DEP_2) | instskip(SKIP_1) | instid1(VALU_DEP_3)
	v_add_f32_e32 v64, v64, v1
	v_mul_f32_e32 v1, v60, v7
	v_dual_add_f32 v63, v63, v0 :: v_dual_mul_f32 v0, v61, v7
	s_delay_alu instid0(VALU_DEP_2) | instskip(NEXT) | instid1(VALU_DEP_2)
	v_fmac_f32_e32 v1, v61, v6
	v_fma_f32 v0, v60, v6, -v0
	s_delay_alu instid0(VALU_DEP_2) | instskip(NEXT) | instid1(VALU_DEP_2)
	v_add_f32_e32 v41, v41, v1
	v_add_f32_e32 v67, v58, v0
	ds_load_b128 v[0:3], v49 offset:224
	ds_load_2addr_b64 v[4:7], v55 offset0:128 offset1:144
	s_wait_dscnt 0x0
	v_mul_f32_e32 v58, v1, v5
	v_mul_f32_e32 v60, v0, v5
	s_delay_alu instid0(VALU_DEP_2) | instskip(NEXT) | instid1(VALU_DEP_2)
	v_fma_f32 v58, v0, v4, -v58
	v_fmac_f32_e32 v60, v1, v4
	s_delay_alu instid0(VALU_DEP_2) | instskip(SKIP_1) | instid1(VALU_DEP_3)
	v_add_f32_e32 v68, v59, v58
	v_mul_f32_e32 v58, v1, v7
	v_add_f32_e32 v62, v62, v60
	s_delay_alu instid0(VALU_DEP_2) | instskip(SKIP_1) | instid1(VALU_DEP_1)
	v_fma_f32 v58, v0, v6, -v58
	v_mul_f32_e32 v0, v0, v7
	v_fmac_f32_e32 v0, v1, v6
	s_delay_alu instid0(VALU_DEP_3) | instskip(SKIP_4) | instid1(VALU_DEP_2)
	v_add_f32_e32 v1, v65, v58
	ds_load_b128 v[58:61], v49 offset:4320
	s_wait_dscnt 0x0
	v_dual_add_f32 v0, v66, v0 :: v_dual_mul_f32 v65, v59, v5
	v_mul_f32_e32 v5, v58, v5
	v_fma_f32 v65, v58, v4, -v65
	s_delay_alu instid0(VALU_DEP_2) | instskip(SKIP_1) | instid1(VALU_DEP_3)
	v_fmac_f32_e32 v5, v59, v4
	v_mul_f32_e32 v4, v59, v7
	v_add_f32_e32 v63, v63, v65
	s_delay_alu instid0(VALU_DEP_3) | instskip(NEXT) | instid1(VALU_DEP_3)
	v_dual_add_f32 v64, v64, v5 :: v_dual_mul_f32 v5, v58, v7
	v_fma_f32 v4, v58, v6, -v4
	s_delay_alu instid0(VALU_DEP_2) | instskip(NEXT) | instid1(VALU_DEP_1)
	v_fmac_f32_e32 v5, v59, v6
	v_dual_add_f32 v58, v67, v4 :: v_dual_add_f32 v41, v41, v5
	ds_load_2addr_b64 v[4:7], v55 offset0:160 offset1:176
	s_wait_dscnt 0x0
	v_mul_f32_e32 v65, v2, v5
	v_mul_f32_e32 v59, v3, v5
	s_delay_alu instid0(VALU_DEP_2) | instskip(NEXT) | instid1(VALU_DEP_2)
	v_fmac_f32_e32 v65, v3, v4
	v_fma_f32 v59, v2, v4, -v59
	s_delay_alu instid0(VALU_DEP_2) | instskip(NEXT) | instid1(VALU_DEP_2)
	v_dual_add_f32 v62, v62, v65 :: v_dual_mul_f32 v65, v3, v7
	v_add_f32_e32 v59, v68, v59
	s_delay_alu instid0(VALU_DEP_2) | instskip(NEXT) | instid1(VALU_DEP_1)
	v_fma_f32 v65, v2, v6, -v65
	v_dual_mul_f32 v2, v2, v7 :: v_dual_add_f32 v65, v1, v65
	s_delay_alu instid0(VALU_DEP_1) | instskip(NEXT) | instid1(VALU_DEP_1)
	v_dual_fmac_f32 v2, v3, v6 :: v_dual_mul_f32 v1, v60, v5
	v_add_f32_e32 v66, v0, v2
	v_mul_f32_e32 v0, v61, v5
	s_delay_alu instid0(VALU_DEP_3) | instskip(NEXT) | instid1(VALU_DEP_2)
	v_fmac_f32_e32 v1, v61, v4
	v_fma_f32 v0, v60, v4, -v0
	s_delay_alu instid0(VALU_DEP_2) | instskip(SKIP_1) | instid1(VALU_DEP_3)
	v_add_f32_e32 v68, v64, v1
	v_mul_f32_e32 v1, v60, v7
	v_dual_add_f32 v67, v63, v0 :: v_dual_mul_f32 v0, v61, v7
	s_delay_alu instid0(VALU_DEP_2) | instskip(NEXT) | instid1(VALU_DEP_2)
	v_fmac_f32_e32 v1, v61, v6
	v_fma_f32 v0, v60, v6, -v0
	s_delay_alu instid0(VALU_DEP_1)
	v_dual_add_f32 v41, v41, v1 :: v_dual_add_f32 v58, v58, v0
	ds_load_b128 v[0:3], v49 offset:240
	ds_load_2addr_b64 v[4:7], v55 offset0:192 offset1:208
	s_wait_dscnt 0x0
	v_mul_f32_e32 v60, v1, v5
	v_mul_f32_e32 v61, v0, v5
	s_delay_alu instid0(VALU_DEP_2) | instskip(NEXT) | instid1(VALU_DEP_2)
	v_fma_f32 v60, v0, v4, -v60
	v_fmac_f32_e32 v61, v1, v4
	s_delay_alu instid0(VALU_DEP_1) | instskip(SKIP_1) | instid1(VALU_DEP_1)
	v_dual_add_f32 v59, v59, v60 :: v_dual_add_f32 v60, v62, v61
	v_mul_f32_e32 v61, v1, v7
	v_fma_f32 v61, v0, v6, -v61
	v_mul_f32_e32 v0, v0, v7
	s_delay_alu instid0(VALU_DEP_1) | instskip(NEXT) | instid1(VALU_DEP_1)
	v_fmac_f32_e32 v0, v1, v6
	v_dual_add_f32 v1, v65, v61 :: v_dual_add_f32 v0, v66, v0
	ds_load_b128 v[63:66], v49 offset:4336
	s_wait_dscnt 0x0
	v_mul_f32_e32 v61, v64, v5
	v_mul_f32_e32 v5, v63, v5
	s_delay_alu instid0(VALU_DEP_2) | instskip(NEXT) | instid1(VALU_DEP_2)
	v_fma_f32 v61, v63, v4, -v61
	v_fmac_f32_e32 v5, v64, v4
	s_delay_alu instid0(VALU_DEP_2) | instskip(NEXT) | instid1(VALU_DEP_2)
	v_dual_mul_f32 v4, v64, v7 :: v_dual_add_f32 v67, v67, v61
	v_dual_add_f32 v68, v68, v5 :: v_dual_mul_f32 v5, v63, v7
	s_delay_alu instid0(VALU_DEP_2) | instskip(NEXT) | instid1(VALU_DEP_1)
	v_fma_f32 v4, v63, v6, -v4
	v_dual_fmac_f32 v5, v64, v6 :: v_dual_add_f32 v58, v58, v4
	s_delay_alu instid0(VALU_DEP_1)
	v_add_f32_e32 v41, v41, v5
	ds_load_2addr_b64 v[4:7], v55 offset0:224 offset1:240
	s_wait_loadcnt_dscnt 0x0
	s_barrier_signal -1
	s_barrier_wait -1
	global_inv scope:SCOPE_SE
	v_mul_f32_e32 v61, v3, v5
	v_mul_f32_e32 v62, v2, v5
	s_delay_alu instid0(VALU_DEP_2) | instskip(NEXT) | instid1(VALU_DEP_2)
	v_fma_f32 v61, v2, v4, -v61
	v_fmac_f32_e32 v62, v3, v4
	s_delay_alu instid0(VALU_DEP_2) | instskip(NEXT) | instid1(VALU_DEP_2)
	v_add_f32_e32 v63, v59, v61
	v_dual_mul_f32 v59, v3, v7 :: v_dual_add_f32 v64, v60, v62
	s_delay_alu instid0(VALU_DEP_1) | instskip(SKIP_1) | instid1(VALU_DEP_1)
	v_fma_f32 v59, v2, v6, -v59
	v_mul_f32_e32 v2, v2, v7
	v_dual_add_f32 v61, v1, v59 :: v_dual_fmac_f32 v2, v3, v6
	s_delay_alu instid0(VALU_DEP_1) | instskip(SKIP_1) | instid1(VALU_DEP_2)
	v_dual_mul_f32 v1, v65, v5 :: v_dual_add_f32 v62, v0, v2
	v_mul_f32_e32 v0, v66, v5
	v_fmac_f32_e32 v1, v66, v4
	s_delay_alu instid0(VALU_DEP_2) | instskip(NEXT) | instid1(VALU_DEP_2)
	v_fma_f32 v0, v65, v4, -v0
	v_add_f32_e32 v59, v68, v1
	s_delay_alu instid0(VALU_DEP_2) | instskip(SKIP_1) | instid1(VALU_DEP_2)
	v_dual_mul_f32 v1, v65, v7 :: v_dual_add_f32 v60, v67, v0
	v_mul_f32_e32 v0, v66, v7
	v_fmac_f32_e32 v1, v66, v6
	s_delay_alu instid0(VALU_DEP_2) | instskip(NEXT) | instid1(VALU_DEP_1)
	v_fma_f32 v0, v65, v6, -v0
	v_dual_add_f32 v41, v41, v1 :: v_dual_add_f32 v58, v58, v0
	s_cbranch_scc1 .LBB83_58
.LBB83_10:                              ;   Parent Loop BB83_4 Depth=1
                                        ;     Parent Loop BB83_7 Depth=2
                                        ; =>    This Inner Loop Header: Depth=3
	s_wait_alu 0xfffe
	v_add_co_u32 v2, s5, v46, s42
	s_wait_alu 0xf1ff
	v_add_co_ci_u32_e64 v3, null, 0, s43, s5
	v_cmp_eq_u64_e64 s7, s[42:43], v[16:17]
	s_delay_alu instid0(VALU_DEP_2)
	v_cmp_le_i64_e64 s6, s[40:41], v[2:3]
	v_cmp_gt_i64_e64 s5, v[2:3], v[10:11]
	s_and_b32 s54, s49, s7
	v_add_co_u32 v0, s7, v34, s28
	s_wait_alu 0xf1ff
	v_add_co_ci_u32_e64 v1, null, s29, v35, s7
	s_or_b32 s8, s6, s5
	s_wait_alu 0xfffe
	s_or_b32 s7, s8, s54
	s_wait_alu 0xfffe
	s_nor_b32 s7, s0, s7
	s_wait_alu 0xfffe
	s_and_saveexec_b32 s8, s7
	s_wait_alu 0xfffe
	s_xor_b32 s7, exec_lo, s8
	s_cbranch_execz .LBB83_12
; %bb.11:                               ;   in Loop: Header=BB83_10 Depth=3
	global_load_b64 v[4:5], v[0:1], off
	s_wait_loadcnt 0x0
	v_xor_b32_e32 v5, 0x80000000, v5
	ds_store_b64 v50, v[4:5]
.LBB83_12:                              ;   in Loop: Header=BB83_10 Depth=3
	s_wait_alu 0xfffe
	s_or_saveexec_b32 s7, s7
	s_xor_b32 s53, s54, -1
	s_wait_alu 0xfffe
	s_xor_b32 exec_lo, exec_lo, s7
	s_cbranch_execz .LBB83_18
; %bb.13:                               ;   in Loop: Header=BB83_10 Depth=3
	s_and_saveexec_b32 s8, s53
	s_wait_alu 0xfffe
	s_xor_b32 s8, exec_lo, s8
; %bb.14:                               ;   in Loop: Header=BB83_10 Depth=3
	v_dual_mov_b32 v4, v9 :: v_dual_mov_b32 v5, v9
	ds_store_b64 v50, v[4:5]
; %bb.15:                               ;   in Loop: Header=BB83_10 Depth=3
	s_wait_alu 0xfffe
	s_and_not1_saveexec_b32 s8, s8
; %bb.16:                               ;   in Loop: Header=BB83_10 Depth=3
	ds_store_b64 v50, v[8:9]
; %bb.17:                               ;   in Loop: Header=BB83_10 Depth=3
	s_wait_alu 0xfffe
	s_or_b32 exec_lo, exec_lo, s8
.LBB83_18:                              ;   in Loop: Header=BB83_10 Depth=3
	s_delay_alu instid0(SALU_CYCLE_1)
	s_or_b32 exec_lo, exec_lo, s7
	v_cmp_eq_u64_e64 s7, s[42:43], v[18:19]
	v_cmp_lt_i64_e64 s8, v[14:15], v[2:3]
	s_and_b32 s7, s49, s7
	s_or_b32 s6, s6, s8
	s_wait_alu 0xfffe
	s_or_b32 s6, s6, s7
	s_wait_alu 0xfffe
	s_nor_b32 s6, s3, s6
	s_wait_alu 0xfffe
	s_and_saveexec_b32 s8, s6
	s_wait_alu 0xfffe
	s_xor_b32 s8, exec_lo, s8
	s_cbranch_execz .LBB83_20
; %bb.19:                               ;   in Loop: Header=BB83_10 Depth=3
	v_add_co_u32 v4, s6, v32, s28
	s_wait_alu 0xf1ff
	v_add_co_ci_u32_e64 v5, null, s29, v33, s6
	global_load_b64 v[4:5], v[4:5], off
	s_wait_loadcnt 0x0
	v_xor_b32_e32 v5, 0x80000000, v5
	ds_store_b64 v50, v[4:5] offset:128
.LBB83_20:                              ;   in Loop: Header=BB83_10 Depth=3
	s_wait_alu 0xfffe
	s_and_not1_saveexec_b32 s6, s8
	s_cbranch_execz .LBB83_26
; %bb.21:                               ;   in Loop: Header=BB83_10 Depth=3
	s_xor_b32 s7, s7, -1
	s_wait_alu 0xfffe
	s_and_saveexec_b32 s8, s7
	s_wait_alu 0xfffe
	s_xor_b32 s7, exec_lo, s8
; %bb.22:                               ;   in Loop: Header=BB83_10 Depth=3
	v_dual_mov_b32 v4, v9 :: v_dual_mov_b32 v5, v9
	ds_store_b64 v50, v[4:5] offset:128
; %bb.23:                               ;   in Loop: Header=BB83_10 Depth=3
	s_wait_alu 0xfffe
	s_and_not1_saveexec_b32 s7, s7
; %bb.24:                               ;   in Loop: Header=BB83_10 Depth=3
	ds_store_b64 v50, v[8:9] offset:128
; %bb.25:                               ;   in Loop: Header=BB83_10 Depth=3
	s_wait_alu 0xfffe
	s_or_b32 exec_lo, exec_lo, s7
.LBB83_26:                              ;   in Loop: Header=BB83_10 Depth=3
	s_wait_alu 0xfffe
	s_or_b32 exec_lo, exec_lo, s6
	v_add_co_u32 v2, s6, v2, 16
	s_wait_alu 0xf1ff
	v_add_co_ci_u32_e64 v3, null, 0, v3, s6
	v_cmp_eq_u64_e64 s7, s[42:43], v[20:21]
	s_delay_alu instid0(VALU_DEP_2)
	v_cmp_le_i64_e64 s6, s[40:41], v[2:3]
	v_cmp_gt_i64_e64 s8, v[2:3], v[10:11]
	s_and_b32 s55, s49, s7
	s_or_b32 s7, s6, s8
	s_wait_alu 0xfffe
	s_or_b32 s7, s7, s55
	s_wait_alu 0xfffe
	s_nor_b32 s7, s0, s7
	s_wait_alu 0xfffe
	s_and_saveexec_b32 s8, s7
	s_wait_alu 0xfffe
	s_xor_b32 s7, exec_lo, s8
	s_cbranch_execz .LBB83_28
; %bb.27:                               ;   in Loop: Header=BB83_10 Depth=3
	global_load_b64 v[0:1], v[0:1], off offset:128
	s_wait_loadcnt 0x0
	v_xor_b32_e32 v1, 0x80000000, v1
	ds_store_b64 v50, v[0:1] offset:4096
.LBB83_28:                              ;   in Loop: Header=BB83_10 Depth=3
	s_wait_alu 0xfffe
	s_and_not1_saveexec_b32 s7, s7
	s_cbranch_execz .LBB83_34
; %bb.29:                               ;   in Loop: Header=BB83_10 Depth=3
	s_xor_b32 s8, s55, -1
	s_wait_alu 0xfffe
	s_and_saveexec_b32 s55, s8
	s_delay_alu instid0(SALU_CYCLE_1)
	s_xor_b32 s8, exec_lo, s55
; %bb.30:                               ;   in Loop: Header=BB83_10 Depth=3
	v_dual_mov_b32 v0, v9 :: v_dual_mov_b32 v1, v9
	ds_store_b64 v50, v[0:1] offset:4096
; %bb.31:                               ;   in Loop: Header=BB83_10 Depth=3
	s_wait_alu 0xfffe
	s_and_not1_saveexec_b32 s8, s8
; %bb.32:                               ;   in Loop: Header=BB83_10 Depth=3
	ds_store_b64 v50, v[8:9] offset:4096
; %bb.33:                               ;   in Loop: Header=BB83_10 Depth=3
	s_wait_alu 0xfffe
	s_or_b32 exec_lo, exec_lo, s8
.LBB83_34:                              ;   in Loop: Header=BB83_10 Depth=3
	s_wait_alu 0xfffe
	s_or_b32 exec_lo, exec_lo, s7
	s_or_b32 s5, s6, s5
	s_wait_alu 0xfffe
	s_or_b32 s5, s5, s54
	s_wait_alu 0xfffe
	s_nor_b32 s5, s3, s5
	s_wait_alu 0xfffe
	s_and_saveexec_b32 s6, s5
	s_wait_alu 0xfffe
	s_xor_b32 s6, exec_lo, s6
	s_cbranch_execz .LBB83_36
; %bb.35:                               ;   in Loop: Header=BB83_10 Depth=3
	v_add_co_u32 v0, s5, v32, s28
	s_wait_alu 0xf1ff
	v_add_co_ci_u32_e64 v1, null, s29, v33, s5
	global_load_b64 v[0:1], v[0:1], off offset:128
	s_wait_loadcnt 0x0
	v_xor_b32_e32 v1, 0x80000000, v1
	ds_store_b64 v50, v[0:1] offset:4224
.LBB83_36:                              ;   in Loop: Header=BB83_10 Depth=3
	s_wait_alu 0xfffe
	s_and_not1_saveexec_b32 s5, s6
	s_cbranch_execz .LBB83_42
; %bb.37:                               ;   in Loop: Header=BB83_10 Depth=3
	s_and_saveexec_b32 s6, s53
	s_wait_alu 0xfffe
	s_xor_b32 s6, exec_lo, s6
; %bb.38:                               ;   in Loop: Header=BB83_10 Depth=3
	v_dual_mov_b32 v0, v9 :: v_dual_mov_b32 v1, v9
	ds_store_b64 v50, v[0:1] offset:4224
; %bb.39:                               ;   in Loop: Header=BB83_10 Depth=3
	s_wait_alu 0xfffe
	s_and_not1_saveexec_b32 s6, s6
; %bb.40:                               ;   in Loop: Header=BB83_10 Depth=3
	ds_store_b64 v50, v[8:9] offset:4224
; %bb.41:                               ;   in Loop: Header=BB83_10 Depth=3
	s_wait_alu 0xfffe
	s_or_b32 exec_lo, exec_lo, s6
.LBB83_42:                              ;   in Loop: Header=BB83_10 Depth=3
	s_wait_alu 0xfffe
	s_or_b32 exec_lo, exec_lo, s5
	v_add_co_u32 v0, s5, v47, s42
	s_wait_alu 0xf1ff
	v_add_co_ci_u32_e64 v1, null, 0, s43, s5
	s_delay_alu instid0(VALU_DEP_1)
	v_cmp_gt_i64_e64 s5, s[40:41], v[0:1]
	s_and_b32 s6, vcc_lo, s5
	s_wait_alu 0xfffe
	s_xor_b32 s6, s6, -1
	s_wait_alu 0xfffe
	s_and_saveexec_b32 s7, s6
	s_wait_alu 0xfffe
	s_xor_b32 s6, exec_lo, s7
; %bb.43:                               ;   in Loop: Header=BB83_10 Depth=3
	v_dual_mov_b32 v2, v9 :: v_dual_mov_b32 v3, v9
	ds_store_b64 v51, v[2:3]
; %bb.44:                               ;   in Loop: Header=BB83_10 Depth=3
	s_wait_alu 0xfffe
	s_or_saveexec_b32 s7, s6
	v_add_co_u32 v2, s6, v42, s28
	s_wait_alu 0xf1ff
	v_add_co_ci_u32_e64 v3, null, s29, v43, s6
	s_wait_alu 0xfffe
	s_xor_b32 exec_lo, exec_lo, s7
	s_cbranch_execz .LBB83_46
; %bb.45:                               ;   in Loop: Header=BB83_10 Depth=3
	global_load_b64 v[4:5], v[2:3], off offset:-128
	s_wait_loadcnt 0x0
	ds_store_b64 v51, v[4:5]
.LBB83_46:                              ;   in Loop: Header=BB83_10 Depth=3
	s_or_b32 exec_lo, exec_lo, s7
	v_cmp_gt_i64_e64 s6, s[22:23], v[0:1]
	s_and_b32 s7, vcc_lo, s6
	s_wait_alu 0xfffe
	s_xor_b32 s7, s7, -1
	s_wait_alu 0xfffe
	s_and_saveexec_b32 s8, s7
	s_wait_alu 0xfffe
	s_xor_b32 s7, exec_lo, s8
; %bb.47:                               ;   in Loop: Header=BB83_10 Depth=3
	v_dual_mov_b32 v0, v9 :: v_dual_mov_b32 v1, v9
                                        ; implicit-def: $vgpr2_vgpr3
	ds_store_b64 v51, v[0:1] offset:128
; %bb.48:                               ;   in Loop: Header=BB83_10 Depth=3
	s_wait_alu 0xfffe
	s_and_not1_saveexec_b32 s7, s7
	s_cbranch_execz .LBB83_50
; %bb.49:                               ;   in Loop: Header=BB83_10 Depth=3
	global_load_b64 v[0:1], v[2:3], off
	s_wait_loadcnt 0x0
	ds_store_b64 v51, v[0:1] offset:128
.LBB83_50:                              ;   in Loop: Header=BB83_10 Depth=3
	s_wait_alu 0xfffe
	s_or_b32 exec_lo, exec_lo, s7
	s_and_b32 s5, s4, s5
	s_wait_alu 0xfffe
	s_xor_b32 s5, s5, -1
	s_wait_alu 0xfffe
	s_and_saveexec_b32 s7, s5
	s_wait_alu 0xfffe
	s_xor_b32 s5, exec_lo, s7
; %bb.51:                               ;   in Loop: Header=BB83_10 Depth=3
	v_dual_mov_b32 v0, v9 :: v_dual_mov_b32 v1, v9
	ds_store_b64 v51, v[0:1] offset:4096
; %bb.52:                               ;   in Loop: Header=BB83_10 Depth=3
	s_wait_alu 0xfffe
	s_or_saveexec_b32 s7, s5
	v_add_co_u32 v0, s5, v44, s28
	s_wait_alu 0xf1ff
	v_add_co_ci_u32_e64 v1, null, s29, v45, s5
	s_wait_alu 0xfffe
	s_xor_b32 exec_lo, exec_lo, s7
	s_cbranch_execz .LBB83_54
; %bb.53:                               ;   in Loop: Header=BB83_10 Depth=3
	global_load_b64 v[2:3], v[0:1], off
	s_wait_loadcnt 0x0
	ds_store_b64 v51, v[2:3] offset:4096
.LBB83_54:                              ;   in Loop: Header=BB83_10 Depth=3
	s_or_b32 exec_lo, exec_lo, s7
	s_and_b32 s5, s4, s6
	s_wait_alu 0xfffe
	s_xor_b32 s5, s5, -1
	s_wait_alu 0xfffe
	s_and_saveexec_b32 s6, s5
	s_wait_alu 0xfffe
	s_xor_b32 s5, exec_lo, s6
; %bb.55:                               ;   in Loop: Header=BB83_10 Depth=3
	v_dual_mov_b32 v0, v9 :: v_dual_mov_b32 v1, v9
	ds_store_b64 v51, v[0:1] offset:4224
                                        ; implicit-def: $vgpr0_vgpr1
; %bb.56:                               ;   in Loop: Header=BB83_10 Depth=3
	s_wait_alu 0xfffe
	s_and_not1_saveexec_b32 s5, s5
	s_cbranch_execz .LBB83_9
; %bb.57:                               ;   in Loop: Header=BB83_10 Depth=3
	global_load_b64 v[0:1], v[0:1], off offset:128
	s_wait_loadcnt 0x0
	ds_store_b64 v51, v[0:1] offset:4224
	s_branch .LBB83_9
.LBB83_58:                              ;   in Loop: Header=BB83_7 Depth=2
	v_mul_lo_u32 v2, s25, v56
	v_mul_lo_u32 v3, s24, v57
	v_mad_co_u64_u32 v[0:1], null, s24, v56, 0
	v_cmp_gt_i32_e32 vcc_lo, s30, v56
	s_delay_alu instid0(VALU_DEP_2) | instskip(NEXT) | instid1(VALU_DEP_1)
	v_add3_u32 v1, v1, v3, v2
	v_lshlrev_b64_e32 v[0:1], 3, v[0:1]
	s_delay_alu instid0(VALU_DEP_1) | instskip(SKIP_1) | instid1(VALU_DEP_2)
	v_add_co_u32 v0, s4, s18, v0
	s_wait_alu 0xf1ff
	v_add_co_ci_u32_e64 v1, null, s19, v1, s4
	s_and_b32 s4, s1, vcc_lo
	s_wait_alu 0xfffe
	s_and_saveexec_b32 s5, s4
	s_cbranch_execz .LBB83_60
; %bb.59:                               ;   in Loop: Header=BB83_7 Depth=2
	v_add_co_u32 v2, s4, v0, v12
	s_wait_alu 0xf1ff
	v_add_co_ci_u32_e64 v3, null, v1, v13, s4
	global_load_b64 v[4:5], v[2:3], off
	v_mul_f32_e32 v7, s36, v64
	s_delay_alu instid0(VALU_DEP_1) | instskip(NEXT) | instid1(VALU_DEP_1)
	v_dual_mul_f32 v6, s37, v64 :: v_dual_fmac_f32 v7, s37, v63
	v_fma_f32 v6, v63, s36, -v6
	s_wait_loadcnt 0x0
	s_delay_alu instid0(VALU_DEP_1)
	v_dual_add_f32 v4, v4, v6 :: v_dual_add_f32 v5, v7, v5
	global_store_b64 v[2:3], v[4:5], off
.LBB83_60:                              ;   in Loop: Header=BB83_7 Depth=2
	s_wait_alu 0xfffe
	s_or_b32 exec_lo, exec_lo, s5
	s_and_b32 s5, s2, vcc_lo
	s_wait_alu 0xfffe
	s_and_saveexec_b32 s4, s5
	s_cbranch_execz .LBB83_62
; %bb.61:                               ;   in Loop: Header=BB83_7 Depth=2
	v_add_co_u32 v0, vcc_lo, v0, v30
	s_wait_alu 0xfffd
	v_add_co_ci_u32_e64 v1, null, v1, v31, vcc_lo
	global_load_b64 v[2:3], v[0:1], off
	v_mul_f32_e32 v5, s36, v62
	s_delay_alu instid0(VALU_DEP_1) | instskip(NEXT) | instid1(VALU_DEP_1)
	v_dual_mul_f32 v4, s37, v62 :: v_dual_fmac_f32 v5, s37, v61
	v_fma_f32 v4, v61, s36, -v4
	s_wait_loadcnt 0x0
	s_delay_alu instid0(VALU_DEP_1)
	v_dual_add_f32 v2, v2, v4 :: v_dual_add_f32 v3, v5, v3
	global_store_b64 v[0:1], v[2:3], off
.LBB83_62:                              ;   in Loop: Header=BB83_7 Depth=2
	s_wait_alu 0xfffe
	s_or_b32 exec_lo, exec_lo, s4
	v_add_nc_u32_e32 v2, 16, v56
	s_delay_alu instid0(VALU_DEP_1) | instskip(SKIP_3) | instid1(VALU_DEP_4)
	v_ashrrev_i32_e32 v3, 31, v2
	v_mul_lo_u32 v4, s25, v2
	v_mad_co_u64_u32 v[0:1], null, s24, v2, 0
	v_cmp_gt_i32_e32 vcc_lo, s30, v2
	v_mul_lo_u32 v3, s24, v3
	s_delay_alu instid0(VALU_DEP_1) | instskip(NEXT) | instid1(VALU_DEP_1)
	v_add3_u32 v1, v1, v3, v4
	v_lshlrev_b64_e32 v[0:1], 3, v[0:1]
	s_delay_alu instid0(VALU_DEP_1) | instskip(SKIP_1) | instid1(VALU_DEP_2)
	v_add_co_u32 v0, s4, s18, v0
	s_wait_alu 0xf1ff
	v_add_co_ci_u32_e64 v1, null, s19, v1, s4
	s_and_b32 s4, s1, vcc_lo
	s_wait_alu 0xfffe
	s_and_saveexec_b32 s5, s4
	s_cbranch_execz .LBB83_64
; %bb.63:                               ;   in Loop: Header=BB83_7 Depth=2
	v_add_co_u32 v2, s4, v0, v12
	s_wait_alu 0xf1ff
	v_add_co_ci_u32_e64 v3, null, v1, v13, s4
	global_load_b64 v[4:5], v[2:3], off
	v_mul_f32_e32 v7, s36, v59
	s_delay_alu instid0(VALU_DEP_1) | instskip(NEXT) | instid1(VALU_DEP_1)
	v_dual_mul_f32 v6, s37, v59 :: v_dual_fmac_f32 v7, s37, v60
	v_fma_f32 v6, v60, s36, -v6
	s_wait_loadcnt 0x0
	s_delay_alu instid0(VALU_DEP_1)
	v_dual_add_f32 v4, v4, v6 :: v_dual_add_f32 v5, v7, v5
	global_store_b64 v[2:3], v[4:5], off
.LBB83_64:                              ;   in Loop: Header=BB83_7 Depth=2
	s_wait_alu 0xfffe
	s_or_b32 exec_lo, exec_lo, s5
	s_and_b32 s5, s2, vcc_lo
	s_wait_alu 0xfffe
	s_and_saveexec_b32 s4, s5
	s_cbranch_execz .LBB83_6
; %bb.65:                               ;   in Loop: Header=BB83_7 Depth=2
	v_add_co_u32 v0, vcc_lo, v0, v30
	s_wait_alu 0xfffd
	v_add_co_ci_u32_e64 v1, null, v1, v31, vcc_lo
	global_load_b64 v[2:3], v[0:1], off
	v_mul_f32_e32 v5, s36, v41
	s_delay_alu instid0(VALU_DEP_1) | instskip(NEXT) | instid1(VALU_DEP_1)
	v_dual_mul_f32 v4, s37, v41 :: v_dual_fmac_f32 v5, s37, v58
	v_fma_f32 v4, v58, s36, -v4
	s_wait_loadcnt 0x0
	s_delay_alu instid0(VALU_DEP_1)
	v_dual_add_f32 v2, v2, v4 :: v_dual_add_f32 v3, v5, v3
	global_store_b64 v[0:1], v[2:3], off
	s_branch .LBB83_6
.LBB83_66:
	s_endpgm
	.section	.rodata,"a",@progbits
	.p2align	6, 0x0
	.amdhsa_kernel _ZL30rocblas_trmm_outofplace_kernelI19rocblas_complex_numIfELi32ELi2ELb1ELb1ELb1ELb1ES1_KS1_S1_Ev17rocblas_diagonal_iiT6_lPT7_lllS6_lllPT8_llli
		.amdhsa_group_segment_fixed_size 16384
		.amdhsa_private_segment_fixed_size 0
		.amdhsa_kernarg_size 392
		.amdhsa_user_sgpr_count 2
		.amdhsa_user_sgpr_dispatch_ptr 0
		.amdhsa_user_sgpr_queue_ptr 0
		.amdhsa_user_sgpr_kernarg_segment_ptr 1
		.amdhsa_user_sgpr_dispatch_id 0
		.amdhsa_user_sgpr_private_segment_size 0
		.amdhsa_wavefront_size32 1
		.amdhsa_uses_dynamic_stack 0
		.amdhsa_enable_private_segment 0
		.amdhsa_system_sgpr_workgroup_id_x 1
		.amdhsa_system_sgpr_workgroup_id_y 1
		.amdhsa_system_sgpr_workgroup_id_z 1
		.amdhsa_system_sgpr_workgroup_info 0
		.amdhsa_system_vgpr_workitem_id 1
		.amdhsa_next_free_vgpr 80
		.amdhsa_next_free_sgpr 56
		.amdhsa_reserve_vcc 1
		.amdhsa_float_round_mode_32 0
		.amdhsa_float_round_mode_16_64 0
		.amdhsa_float_denorm_mode_32 3
		.amdhsa_float_denorm_mode_16_64 3
		.amdhsa_fp16_overflow 0
		.amdhsa_workgroup_processor_mode 1
		.amdhsa_memory_ordered 1
		.amdhsa_forward_progress 1
		.amdhsa_inst_pref_size 65
		.amdhsa_round_robin_scheduling 0
		.amdhsa_exception_fp_ieee_invalid_op 0
		.amdhsa_exception_fp_denorm_src 0
		.amdhsa_exception_fp_ieee_div_zero 0
		.amdhsa_exception_fp_ieee_overflow 0
		.amdhsa_exception_fp_ieee_underflow 0
		.amdhsa_exception_fp_ieee_inexact 0
		.amdhsa_exception_int_div_zero 0
	.end_amdhsa_kernel
	.section	.text._ZL30rocblas_trmm_outofplace_kernelI19rocblas_complex_numIfELi32ELi2ELb1ELb1ELb1ELb1ES1_KS1_S1_Ev17rocblas_diagonal_iiT6_lPT7_lllS6_lllPT8_llli,"axG",@progbits,_ZL30rocblas_trmm_outofplace_kernelI19rocblas_complex_numIfELi32ELi2ELb1ELb1ELb1ELb1ES1_KS1_S1_Ev17rocblas_diagonal_iiT6_lPT7_lllS6_lllPT8_llli,comdat
.Lfunc_end83:
	.size	_ZL30rocblas_trmm_outofplace_kernelI19rocblas_complex_numIfELi32ELi2ELb1ELb1ELb1ELb1ES1_KS1_S1_Ev17rocblas_diagonal_iiT6_lPT7_lllS6_lllPT8_llli, .Lfunc_end83-_ZL30rocblas_trmm_outofplace_kernelI19rocblas_complex_numIfELi32ELi2ELb1ELb1ELb1ELb1ES1_KS1_S1_Ev17rocblas_diagonal_iiT6_lPT7_lllS6_lllPT8_llli
                                        ; -- End function
	.set _ZL30rocblas_trmm_outofplace_kernelI19rocblas_complex_numIfELi32ELi2ELb1ELb1ELb1ELb1ES1_KS1_S1_Ev17rocblas_diagonal_iiT6_lPT7_lllS6_lllPT8_llli.num_vgpr, 80
	.set _ZL30rocblas_trmm_outofplace_kernelI19rocblas_complex_numIfELi32ELi2ELb1ELb1ELb1ELb1ES1_KS1_S1_Ev17rocblas_diagonal_iiT6_lPT7_lllS6_lllPT8_llli.num_agpr, 0
	.set _ZL30rocblas_trmm_outofplace_kernelI19rocblas_complex_numIfELi32ELi2ELb1ELb1ELb1ELb1ES1_KS1_S1_Ev17rocblas_diagonal_iiT6_lPT7_lllS6_lllPT8_llli.numbered_sgpr, 56
	.set _ZL30rocblas_trmm_outofplace_kernelI19rocblas_complex_numIfELi32ELi2ELb1ELb1ELb1ELb1ES1_KS1_S1_Ev17rocblas_diagonal_iiT6_lPT7_lllS6_lllPT8_llli.num_named_barrier, 0
	.set _ZL30rocblas_trmm_outofplace_kernelI19rocblas_complex_numIfELi32ELi2ELb1ELb1ELb1ELb1ES1_KS1_S1_Ev17rocblas_diagonal_iiT6_lPT7_lllS6_lllPT8_llli.private_seg_size, 0
	.set _ZL30rocblas_trmm_outofplace_kernelI19rocblas_complex_numIfELi32ELi2ELb1ELb1ELb1ELb1ES1_KS1_S1_Ev17rocblas_diagonal_iiT6_lPT7_lllS6_lllPT8_llli.uses_vcc, 1
	.set _ZL30rocblas_trmm_outofplace_kernelI19rocblas_complex_numIfELi32ELi2ELb1ELb1ELb1ELb1ES1_KS1_S1_Ev17rocblas_diagonal_iiT6_lPT7_lllS6_lllPT8_llli.uses_flat_scratch, 0
	.set _ZL30rocblas_trmm_outofplace_kernelI19rocblas_complex_numIfELi32ELi2ELb1ELb1ELb1ELb1ES1_KS1_S1_Ev17rocblas_diagonal_iiT6_lPT7_lllS6_lllPT8_llli.has_dyn_sized_stack, 0
	.set _ZL30rocblas_trmm_outofplace_kernelI19rocblas_complex_numIfELi32ELi2ELb1ELb1ELb1ELb1ES1_KS1_S1_Ev17rocblas_diagonal_iiT6_lPT7_lllS6_lllPT8_llli.has_recursion, 0
	.set _ZL30rocblas_trmm_outofplace_kernelI19rocblas_complex_numIfELi32ELi2ELb1ELb1ELb1ELb1ES1_KS1_S1_Ev17rocblas_diagonal_iiT6_lPT7_lllS6_lllPT8_llli.has_indirect_call, 0
	.section	.AMDGPU.csdata,"",@progbits
; Kernel info:
; codeLenInByte = 8212
; TotalNumSgprs: 58
; NumVgprs: 80
; ScratchSize: 0
; MemoryBound: 0
; FloatMode: 240
; IeeeMode: 1
; LDSByteSize: 16384 bytes/workgroup (compile time only)
; SGPRBlocks: 0
; VGPRBlocks: 9
; NumSGPRsForWavesPerEU: 58
; NumVGPRsForWavesPerEU: 80
; Occupancy: 16
; WaveLimiterHint : 0
; COMPUTE_PGM_RSRC2:SCRATCH_EN: 0
; COMPUTE_PGM_RSRC2:USER_SGPR: 2
; COMPUTE_PGM_RSRC2:TRAP_HANDLER: 0
; COMPUTE_PGM_RSRC2:TGID_X_EN: 1
; COMPUTE_PGM_RSRC2:TGID_Y_EN: 1
; COMPUTE_PGM_RSRC2:TGID_Z_EN: 1
; COMPUTE_PGM_RSRC2:TIDIG_COMP_CNT: 1
	.section	.text._ZL30rocblas_trmm_outofplace_kernelI19rocblas_complex_numIfELi32ELi2ELb0ELb0ELb0ELb0EPKS1_S2_S1_Ev17rocblas_diagonal_iiT6_lPT7_lllS7_lllPT8_llli,"axG",@progbits,_ZL30rocblas_trmm_outofplace_kernelI19rocblas_complex_numIfELi32ELi2ELb0ELb0ELb0ELb0EPKS1_S2_S1_Ev17rocblas_diagonal_iiT6_lPT7_lllS7_lllPT8_llli,comdat
	.globl	_ZL30rocblas_trmm_outofplace_kernelI19rocblas_complex_numIfELi32ELi2ELb0ELb0ELb0ELb0EPKS1_S2_S1_Ev17rocblas_diagonal_iiT6_lPT7_lllS7_lllPT8_llli ; -- Begin function _ZL30rocblas_trmm_outofplace_kernelI19rocblas_complex_numIfELi32ELi2ELb0ELb0ELb0ELb0EPKS1_S2_S1_Ev17rocblas_diagonal_iiT6_lPT7_lllS7_lllPT8_llli
	.p2align	8
	.type	_ZL30rocblas_trmm_outofplace_kernelI19rocblas_complex_numIfELi32ELi2ELb0ELb0ELb0ELb0EPKS1_S2_S1_Ev17rocblas_diagonal_iiT6_lPT7_lllS7_lllPT8_llli,@function
_ZL30rocblas_trmm_outofplace_kernelI19rocblas_complex_numIfELi32ELi2ELb0ELb0ELb0ELb0EPKS1_S2_S1_Ev17rocblas_diagonal_iiT6_lPT7_lllS7_lllPT8_llli: ; @_ZL30rocblas_trmm_outofplace_kernelI19rocblas_complex_numIfELi32ELi2ELb0ELb0ELb0ELb0EPKS1_S2_S1_Ev17rocblas_diagonal_iiT6_lPT7_lllS7_lllPT8_llli
; %bb.0:
	s_load_b32 s11, s[0:1], 0x80
	s_lshr_b32 s34, ttmp7, 16
	s_wait_kmcnt 0x0
	s_cmp_ge_u32 s34, s11
	s_cbranch_scc1 .LBB84_68
; %bb.1:
	s_clause 0x3
	s_load_b96 s[8:10], s[0:1], 0x0
	s_load_b256 s[36:43], s[0:1], 0x50
	s_load_b512 s[12:27], s[0:1], 0x10
	s_load_b128 s[28:31], s[0:1], 0x70
	s_add_nc_u64 s[44:45], s[0:1], 0x88
	v_dual_mov_b32 v11, 0 :: v_dual_and_b32 v6, 0x3ff, v0
	v_bfe_u32 v42, v0, 10, 10
	s_and_b32 s33, ttmp7, 0xffff
	v_mov_b32_e32 v10, 1.0
	s_delay_alu instid0(VALU_DEP_3) | instskip(SKIP_3) | instid1(VALU_DEP_3)
	v_lshl_add_u32 v0, ttmp9, 5, v6
	v_lshlrev_b32_e32 v2, 3, v6
	v_lshlrev_b32_e32 v43, 8, v42
	s_mov_b32 s35, 0
	v_ashrrev_i32_e32 v1, 31, v0
	s_delay_alu instid0(VALU_DEP_3) | instskip(NEXT) | instid1(VALU_DEP_3)
	v_or_b32_e32 v44, 0x2000, v2
	v_add_nc_u32_e32 v45, v43, v2
	v_add_nc_u32_e32 v4, 16, v0
	s_wait_kmcnt 0x0
	s_add_co_i32 s0, s10, -1
	s_lshl_b64 s[2:3], s[42:43], 3
	s_wait_alu 0xfffe
	s_ashr_i32 s1, s0, 31
	s_add_nc_u64 s[40:41], s[40:41], s[2:3]
	s_wait_alu 0xfffe
	s_lshr_b32 s1, s1, 27
	v_sub_co_u32 v2, vcc_lo, s9, v0
	s_wait_alu 0xfffe
	s_add_co_i32 s0, s0, s1
	v_add_nc_u32_e32 v46, v44, v43
	s_wait_alu 0xfffe
	s_ashr_i32 s54, s0, 5
	v_ashrrev_i32_e32 v5, 31, v4
	s_cmp_le_i32 s33, s54
	v_cmp_gt_i32_e64 s0, s9, v0
	s_cselect_b32 s55, -1, 0
	s_cmp_eq_u32 s8, 0x84
	v_cmp_gt_i32_e64 s1, s9, v4
	s_cselect_b32 s56, -1, 0
	s_lshl_b32 s4, s33, 5
	s_ashr_i32 s2, s9, 31
	v_add_nc_u32_e32 v47, s4, v6
	v_lshlrev_b64_e32 v[6:7], 3, v[0:1]
	v_sub_co_ci_u32_e64 v3, null, s2, v1, vcc_lo
	v_add_nc_u32_e32 v48, s4, v42
	s_lshl_b64 s[4:5], s[26:27], 3
	v_add_nc_u32_e32 v49, 0x800, v44
	s_wait_alu 0xfffe
	s_add_nc_u64 s[4:5], s[24:25], s[4:5]
	v_cmp_gt_i64_e64 s2, 1, v[2:3]
	s_wait_alu 0xfffe
	v_add_co_u32 v8, vcc_lo, s4, v6
	v_cmp_gt_i64_e64 s3, 17, v[2:3]
	s_wait_alu 0xfffd
	v_add_co_ci_u32_e64 v9, null, s5, v7, vcc_lo
	v_add_nc_u32_e32 v50, 0x1000, v44
	v_add_nc_u32_e32 v51, 0x1800, v44
	s_mov_b32 s42, s10
	s_ashr_i32 s43, s10, 31
	s_lshl_b64 s[4:5], s[18:19], 3
	s_lshl_b64 s[46:47], s[36:37], 8
	s_add_nc_u64 s[48:49], s[42:43], -16
	s_lshl_b64 s[26:27], s[36:37], 3
	s_lshl_b64 s[18:19], s[38:39], 3
	s_wait_alu 0xfffe
	s_add_nc_u64 s[16:17], s[16:17], s[4:5]
	s_lshl_b64 s[22:23], s[22:23], 3
	s_lshl_b64 s[24:25], s[20:21], 3
	s_branch .LBB84_4
.LBB84_2:                               ;   in Loop: Header=BB84_4 Depth=1
	s_add_co_i32 s34, s34, 0x10000
	s_wait_alu 0xfffe
	s_cmp_ge_u32 s34, s11
	s_cselect_b32 s4, -1, 0
.LBB84_3:                               ;   in Loop: Header=BB84_4 Depth=1
	s_wait_alu 0xfffe
	s_and_b32 vcc_lo, exec_lo, s4
	s_wait_alu 0xfffe
	s_cbranch_vccnz .LBB84_68
.LBB84_4:                               ; =>This Loop Header: Depth=1
                                        ;     Child Loop BB84_8 Depth 2
                                        ;       Child Loop BB84_11 Depth 3
	s_mul_u64 s[4:5], s[14:15], s[34:35]
	s_wait_alu 0xfffe
	s_lshl_b64 s[4:5], s[4:5], 3
	s_wait_alu 0xfffe
	s_add_nc_u64 s[4:5], s[12:13], s[4:5]
	global_load_b64 v[12:13], v11, s[4:5]
	s_mov_b32 s4, -1
	s_wait_loadcnt 0x0
	v_or_b32_e32 v0, v12, v13
	s_delay_alu instid0(VALU_DEP_1) | instskip(NEXT) | instid1(VALU_DEP_1)
	v_and_b32_e32 v0, 0x7fffffff, v0
	v_cmp_eq_u32_e32 vcc_lo, 0, v0
	s_cbranch_vccnz .LBB84_3
; %bb.5:                                ;   in Loop: Header=BB84_4 Depth=1
	s_and_not1_b32 vcc_lo, exec_lo, s55
	s_wait_alu 0xfffe
	s_cbranch_vccnz .LBB84_2
; %bb.6:                                ;   in Loop: Header=BB84_4 Depth=1
	v_mad_co_u64_u32 v[14:15], null, s18, s34, v[8:9]
	s_load_b32 s57, s[44:45], 0x4
	s_mul_u64 s[4:5], s[30:31], s[34:35]
	v_mov_b32_e32 v18, v47
	s_mul_u64 s[6:7], s[22:23], s[34:35]
	s_wait_alu 0xfffe
	s_lshl_b64 s[4:5], s[4:5], 3
	s_add_nc_u64 s[50:51], s[16:17], s[6:7]
	v_mov_b32_e32 v0, v15
	s_wait_alu 0xfffe
	s_add_nc_u64 s[38:39], s[40:41], s[4:5]
	s_mov_b32 s59, s33
	s_delay_alu instid0(VALU_DEP_1) | instskip(NEXT) | instid1(VALU_DEP_1)
	v_mad_co_u64_u32 v[0:1], null, s19, s34, v[0:1]
	v_dual_mov_b32 v16, v48 :: v_dual_mov_b32 v15, v0
	s_wait_kmcnt 0x0
	s_lshl_b32 s58, s57, 5
	s_branch .LBB84_8
.LBB84_7:                               ;   in Loop: Header=BB84_8 Depth=2
	s_wait_alu 0xfffe
	s_or_b32 exec_lo, exec_lo, s4
	v_add_nc_u32_e32 v18, s58, v18
	v_add_nc_u32_e32 v16, s58, v16
	s_add_co_i32 s59, s57, s59
	s_wait_alu 0xfffe
	s_cmp_gt_i32 s59, s54
	s_cbranch_scc1 .LBB84_2
.LBB84_8:                               ;   Parent Loop BB84_4 Depth=1
                                        ; =>  This Loop Header: Depth=2
                                        ;       Child Loop BB84_11 Depth 3
	s_wait_alu 0xfffe
	s_lshl_b32 s4, s59, 5
	v_ashrrev_i32_e32 v19, 31, v18
	s_wait_alu 0xfffe
	v_add_nc_u32_e32 v20, s4, v42
	v_ashrrev_i32_e32 v17, 31, v16
	s_sub_co_i32 s60, s10, s4
	s_delay_alu instid0(SALU_CYCLE_1) | instskip(NEXT) | instid1(VALU_DEP_2)
	s_cmp_lt_i32 s60, 1
	v_ashrrev_i32_e32 v21, 31, v20
	s_cbranch_scc1 .LBB84_59
; %bb.9:                                ;   in Loop: Header=BB84_8 Depth=2
	v_lshlrev_b64_e32 v[0:1], 3, v[16:17]
	v_mad_co_u64_u32 v[22:23], null, s26, v16, 0x80
	v_mul_lo_u32 v2, s26, v17
	v_mul_lo_u32 v3, s27, v16
	v_mad_co_u64_u32 v[30:31], null, s24, v16, s[50:51]
	v_add_co_u32 v0, vcc_lo, 0x80, v0
	s_wait_alu 0xfffd
	v_add_co_ci_u32_e64 v1, null, 0, v1, vcc_lo
	v_sub_co_u32 v24, vcc_lo, v16, v18
	v_add3_u32 v23, v3, v23, v2
	s_delay_alu instid0(VALU_DEP_3)
	v_mul_lo_u32 v2, s20, v1
	v_mul_lo_u32 v1, s36, v1
	;; [unrolled: 1-line block ×3, first 2 shown]
	v_mad_co_u64_u32 v[28:29], null, s36, v0, 0x80
	v_mul_lo_u32 v3, s21, v0
	v_mad_co_u64_u32 v[26:27], null, s20, v0, s[50:51]
	v_mul_lo_u32 v0, s24, v17
	v_mul_lo_u32 v37, s25, v16
	s_wait_alu 0xfffd
	v_sub_co_ci_u32_e64 v25, null, v17, v19, vcc_lo
	v_add_co_u32 v34, vcc_lo, v20, 16
	s_wait_alu 0xfffd
	v_add_co_ci_u32_e64 v35, null, 0, v21, vcc_lo
	v_add3_u32 v29, v36, v29, v1
	v_add_co_u32 v36, s5, v24, 16
	v_add3_u32 v31, v37, v31, v0
	s_wait_alu 0xf1ff
	v_add_co_ci_u32_e64 v37, null, 0, v25, s5
	v_add_co_u32 v38, s5, v24, -16
	v_lshlrev_b64_e32 v[32:33], 3, v[18:19]
	v_cmp_le_i64_e64 s4, s[42:43], v[34:35]
	v_dual_mov_b32 v52, 0 :: v_dual_mov_b32 v41, v15
	v_add3_u32 v27, v3, v27, v2
	s_wait_alu 0xf1ff
	v_add_co_ci_u32_e64 v39, null, -1, v25, s5
	v_dual_mov_b32 v40, v14 :: v_dual_mov_b32 v53, 0
	v_dual_mov_b32 v55, 0 :: v_dual_mov_b32 v54, 0
	v_dual_mov_b32 v57, 0 :: v_dual_mov_b32 v56, 0
	v_dual_mov_b32 v59, 0 :: v_dual_mov_b32 v58, 0
	s_mov_b64 s[52:53], 0
	v_cmp_le_i32_e32 vcc_lo, s10, v20
	s_branch .LBB84_11
.LBB84_10:                              ;   in Loop: Header=BB84_11 Depth=3
	s_wait_alu 0xfffe
	s_or_b32 exec_lo, exec_lo, s5
	s_wait_dscnt 0x0
	s_barrier_signal -1
	s_barrier_wait -1
	global_inv scope:SCOPE_SE
	ds_load_b128 v[60:63], v43
	ds_load_2addr_b64 v[64:67], v44 offset1:16
	ds_load_b128 v[68:71], v43 offset:4096
	ds_load_b128 v[72:75], v43 offset:16
	;; [unrolled: 1-line block ×4, first 2 shown]
	ds_load_2addr_b64 v[80:83], v44 offset0:32 offset1:48
	ds_load_b128 v[84:87], v43 offset:4112
	v_add_co_u32 v40, s5, v40, s46
	s_wait_alu 0xf1ff
	v_add_co_ci_u32_e64 v41, null, s47, v41, s5
	v_add_co_u32 v26, s5, 0x100, v26
	s_wait_alu 0xf1ff
	v_add_co_ci_u32_e64 v27, null, 0, v27, s5
	;; [unrolled: 3-line block ×3, first 2 shown]
	s_add_nc_u64 s[52:53], s[52:53], 32
	s_wait_dscnt 0x6
	v_dual_mul_f32 v88, v61, v65 :: v_dual_mul_f32 v91, v60, v67
	v_dual_mul_f32 v89, v60, v65 :: v_dual_mul_f32 v90, v61, v67
	s_wait_dscnt 0x5
	v_mul_f32_e32 v92, v69, v65
	s_delay_alu instid0(VALU_DEP_3)
	v_fma_f32 v88, v60, v64, -v88
	v_mul_f32_e32 v65, v68, v65
	v_fmac_f32_e32 v89, v61, v64
	v_fma_f32 v60, v60, v66, -v90
	v_mul_f32_e32 v93, v69, v67
	v_mul_f32_e32 v67, v68, v67
	v_fmac_f32_e32 v91, v61, v66
	v_fma_f32 v61, v68, v64, -v92
	v_add_f32_e32 v58, v58, v88
	s_delay_alu instid0(VALU_DEP_4)
	v_dual_add_f32 v60, v56, v60 :: v_dual_fmac_f32 v67, v69, v66
	v_fmac_f32_e32 v65, v69, v64
	v_fma_f32 v64, v68, v66, -v93
	s_wait_dscnt 0x1
	v_mul_f32_e32 v68, v63, v81
	v_mul_f32_e32 v66, v62, v81
	v_add_f32_e32 v59, v59, v89
	v_add_f32_e32 v57, v57, v91
	;; [unrolled: 1-line block ×3, first 2 shown]
	v_fma_f32 v68, v62, v80, -v68
	v_dual_add_f32 v52, v52, v67 :: v_dual_add_f32 v65, v55, v65
	v_dual_fmac_f32 v66, v63, v80 :: v_dual_add_f32 v61, v54, v61
	ds_load_2addr_b64 v[53:56], v44 offset0:64 offset1:80
	v_mul_f32_e32 v69, v63, v83
	v_mul_f32_e32 v67, v62, v83
	v_add_f32_e32 v68, v58, v68
	v_dual_add_f32 v66, v59, v66 :: v_dual_mul_f32 v59, v70, v81
	s_delay_alu instid0(VALU_DEP_4)
	v_fma_f32 v58, v62, v82, -v69
	v_mul_f32_e32 v62, v71, v81
	v_fmac_f32_e32 v67, v63, v82
	s_wait_alu 0xfffe
	s_cmp_ge_i32 s52, s60
	v_add_f32_e32 v63, v60, v58
	v_fma_f32 v58, v70, v80, -v62
	v_mul_f32_e32 v60, v71, v83
	v_add_f32_e32 v62, v57, v67
	v_mul_f32_e32 v67, v70, v83
	s_delay_alu instid0(VALU_DEP_3) | instskip(SKIP_2) | instid1(VALU_DEP_2)
	v_fma_f32 v57, v70, v82, -v60
	s_wait_dscnt 0x0
	v_mul_f32_e32 v69, v72, v54
	v_add_f32_e32 v64, v64, v57
	s_delay_alu instid0(VALU_DEP_2) | instskip(SKIP_2) | instid1(VALU_DEP_3)
	v_fmac_f32_e32 v69, v73, v53
	v_add_f32_e32 v61, v61, v58
	v_mul_f32_e32 v58, v73, v54
	v_dual_add_f32 v66, v66, v69 :: v_dual_mul_f32 v69, v85, v54
	s_delay_alu instid0(VALU_DEP_2) | instskip(SKIP_2) | instid1(VALU_DEP_2)
	v_fma_f32 v70, v72, v53, -v58
	v_dual_fmac_f32 v59, v71, v80 :: v_dual_mul_f32 v54, v84, v54
	v_fmac_f32_e32 v67, v71, v82
	v_dual_add_f32 v68, v68, v70 :: v_dual_add_f32 v65, v65, v59
	ds_load_2addr_b64 v[57:60], v44 offset0:96 offset1:112
	v_mul_f32_e32 v71, v73, v56
	v_dual_add_f32 v67, v52, v67 :: v_dual_fmac_f32 v54, v85, v53
	v_mul_f32_e32 v52, v72, v56
	s_delay_alu instid0(VALU_DEP_3) | instskip(NEXT) | instid1(VALU_DEP_1)
	v_fma_f32 v70, v72, v55, -v71
	v_dual_fmac_f32 v52, v73, v55 :: v_dual_add_f32 v63, v63, v70
	v_mul_f32_e32 v70, v85, v56
	v_mul_f32_e32 v56, v84, v56
	s_delay_alu instid0(VALU_DEP_3) | instskip(NEXT) | instid1(VALU_DEP_3)
	v_add_f32_e32 v62, v62, v52
	v_fma_f32 v52, v84, v55, -v70
	s_delay_alu instid0(VALU_DEP_3) | instskip(NEXT) | instid1(VALU_DEP_2)
	v_fmac_f32_e32 v56, v85, v55
	v_add_f32_e32 v70, v64, v52
	v_fma_f32 v69, v84, v53, -v69
	s_wait_dscnt 0x0
	v_mul_f32_e32 v64, v74, v58
	v_add_f32_e32 v65, v65, v54
	ds_load_2addr_b64 v[52:55], v44 offset0:128 offset1:144
	v_add_f32_e32 v67, v67, v56
	v_dual_add_f32 v69, v61, v69 :: v_dual_mul_f32 v56, v74, v60
	v_fmac_f32_e32 v64, v75, v57
	v_mul_f32_e32 v61, v75, v58
	s_delay_alu instid0(VALU_DEP_3) | instskip(NEXT) | instid1(VALU_DEP_3)
	v_fmac_f32_e32 v56, v75, v59
	v_add_f32_e32 v66, v66, v64
	s_delay_alu instid0(VALU_DEP_3) | instskip(NEXT) | instid1(VALU_DEP_1)
	v_fma_f32 v61, v74, v57, -v61
	v_dual_mul_f32 v71, v75, v60 :: v_dual_add_f32 v68, v68, v61
	s_delay_alu instid0(VALU_DEP_1)
	v_fma_f32 v71, v74, v59, -v71
	v_mul_f32_e32 v61, v87, v58
	v_mul_f32_e32 v58, v86, v58
	v_add_f32_e32 v73, v62, v56
	v_mul_f32_e32 v56, v87, v60
	v_mul_f32_e32 v60, v86, v60
	v_fma_f32 v72, v86, v57, -v61
	v_fmac_f32_e32 v58, v87, v57
	v_add_f32_e32 v71, v63, v71
	ds_load_b128 v[61:64], v43 offset:4128
	s_wait_dscnt 0x1
	v_mul_f32_e32 v57, v77, v53
	v_fma_f32 v56, v86, v59, -v56
	v_add_f32_e32 v69, v69, v72
	v_dual_add_f32 v72, v65, v58 :: v_dual_mul_f32 v65, v76, v53
	v_fmac_f32_e32 v60, v87, v59
	s_delay_alu instid0(VALU_DEP_4)
	v_dual_add_f32 v70, v70, v56 :: v_dual_mul_f32 v75, v77, v55
	v_fma_f32 v74, v76, v52, -v57
	ds_load_2addr_b64 v[56:59], v44 offset0:160 offset1:176
	v_fmac_f32_e32 v65, v77, v52
	v_fma_f32 v75, v76, v54, -v75
	v_add_f32_e32 v74, v68, v74
	s_delay_alu instid0(VALU_DEP_3)
	v_dual_add_f32 v60, v67, v60 :: v_dual_add_f32 v81, v66, v65
	ds_load_b128 v[65:68], v43 offset:4144
	v_mul_f32_e32 v80, v76, v55
	s_wait_dscnt 0x2
	v_dual_add_f32 v71, v71, v75 :: v_dual_mul_f32 v76, v62, v53
	v_mul_f32_e32 v53, v61, v53
	s_delay_alu instid0(VALU_DEP_3) | instskip(SKIP_1) | instid1(VALU_DEP_4)
	v_dual_mul_f32 v75, v62, v55 :: v_dual_fmac_f32 v80, v77, v54
	v_mul_f32_e32 v77, v61, v55
	v_fma_f32 v76, v61, v52, -v76
	s_delay_alu instid0(VALU_DEP_3) | instskip(NEXT) | instid1(VALU_DEP_3)
	v_add_f32_e32 v73, v73, v80
	v_fmac_f32_e32 v77, v62, v54
	v_fmac_f32_e32 v53, v62, v52
	v_fma_f32 v52, v61, v54, -v75
	s_wait_dscnt 0x1
	v_mul_f32_e32 v55, v79, v57
	v_dual_add_f32 v61, v69, v76 :: v_dual_mul_f32 v76, v64, v57
	v_add_f32_e32 v60, v60, v77
	v_add_f32_e32 v62, v70, v52
	v_mul_f32_e32 v70, v78, v57
	v_add_f32_e32 v69, v72, v53
	v_fma_f32 v72, v78, v56, -v55
	ds_load_2addr_b64 v[52:55], v44 offset0:192 offset1:208
	v_mul_f32_e32 v57, v63, v57
	v_fmac_f32_e32 v70, v79, v56
	v_dual_mul_f32 v75, v79, v59 :: v_dual_add_f32 v72, v74, v72
	s_delay_alu instid0(VALU_DEP_3) | instskip(NEXT) | instid1(VALU_DEP_3)
	v_dual_mul_f32 v74, v78, v59 :: v_dual_fmac_f32 v57, v64, v56
	v_add_f32_e32 v70, v81, v70
	s_delay_alu instid0(VALU_DEP_3) | instskip(NEXT) | instid1(VALU_DEP_3)
	v_fma_f32 v75, v78, v58, -v75
	v_fmac_f32_e32 v74, v79, v58
	s_delay_alu instid0(VALU_DEP_1) | instskip(NEXT) | instid1(VALU_DEP_3)
	v_dual_add_f32 v73, v73, v74 :: v_dual_mul_f32 v74, v63, v59
	v_add_f32_e32 v71, v71, v75
	v_fma_f32 v75, v63, v56, -v76
	v_mul_f32_e32 v56, v64, v59
	s_wait_dscnt 0x0
	v_mul_f32_e32 v76, v0, v55
	v_fmac_f32_e32 v74, v64, v58
	v_dual_mul_f32 v64, v0, v53 :: v_dual_add_f32 v61, v61, v75
	v_fma_f32 v63, v63, v58, -v56
	v_add_f32_e32 v69, v69, v57
	ds_load_2addr_b64 v[56:59], v44 offset0:224 offset1:240
	v_mul_f32_e32 v75, v1, v53
	v_fmac_f32_e32 v64, v1, v52
	v_add_f32_e32 v62, v62, v63
	v_add_f32_e32 v74, v60, v74
	v_fmac_f32_e32 v76, v1, v54
	v_fma_f32 v63, v0, v52, -v75
	v_mul_f32_e32 v75, v1, v55
	v_mul_f32_e32 v1, v66, v53
	v_dual_mul_f32 v53, v65, v53 :: v_dual_mul_f32 v60, v66, v55
	s_delay_alu instid0(VALU_DEP_4) | instskip(NEXT) | instid1(VALU_DEP_4)
	v_add_f32_e32 v72, v72, v63
	v_fma_f32 v0, v0, v54, -v75
	v_add_f32_e32 v64, v70, v64
	v_fma_f32 v1, v65, v52, -v1
	v_fmac_f32_e32 v53, v66, v52
	s_delay_alu instid0(VALU_DEP_4)
	v_dual_add_f32 v0, v71, v0 :: v_dual_mul_f32 v71, v65, v55
	s_wait_dscnt 0x0
	v_dual_add_f32 v70, v73, v76 :: v_dual_mul_f32 v55, v3, v57
	v_fma_f32 v52, v65, v54, -v60
	v_add_f32_e32 v65, v61, v1
	v_fmac_f32_e32 v71, v66, v54
	v_dual_mul_f32 v66, v2, v57 :: v_dual_mul_f32 v75, v3, v59
	v_add_f32_e32 v69, v69, v53
	v_fma_f32 v1, v2, v56, -v55
	v_add_f32_e32 v73, v62, v52
	ds_load_b128 v[52:55], v43 offset:64
	ds_load_2addr_b64 v[60:63], v49 offset1:16
	v_dual_add_f32 v71, v74, v71 :: v_dual_fmac_f32 v66, v3, v56
	v_mul_f32_e32 v74, v2, v59
	v_add_f32_e32 v72, v72, v1
	v_fma_f32 v1, v2, v58, -v75
	v_mul_f32_e32 v2, v68, v57
	v_add_f32_e32 v75, v64, v66
	v_dual_mul_f32 v57, v67, v57 :: v_dual_mul_f32 v66, v68, v59
	v_fmac_f32_e32 v74, v3, v58
	s_delay_alu instid0(VALU_DEP_4)
	v_fma_f32 v64, v67, v56, -v2
	v_add_f32_e32 v76, v0, v1
	ds_load_b128 v[0:3], v43 offset:4160
	v_dual_fmac_f32 v57, v68, v56 :: v_dual_add_f32 v74, v70, v74
	v_fma_f32 v56, v67, v58, -v66
	v_dual_mul_f32 v70, v67, v59 :: v_dual_add_f32 v77, v65, v64
	s_wait_dscnt 0x1
	s_delay_alu instid0(VALU_DEP_3)
	v_dual_add_f32 v78, v69, v57 :: v_dual_mul_f32 v81, v52, v63
	v_mul_f32_e32 v59, v53, v61
	v_mul_f32_e32 v69, v52, v61
	v_dual_fmac_f32 v70, v68, v58 :: v_dual_add_f32 v73, v73, v56
	ds_load_b128 v[64:67], v43 offset:80
	v_fma_f32 v68, v52, v60, -v59
	ds_load_2addr_b64 v[56:59], v49 offset0:32 offset1:48
	v_mul_f32_e32 v79, v53, v63
	v_dual_fmac_f32 v69, v53, v60 :: v_dual_add_f32 v80, v71, v70
	v_dual_add_f32 v72, v72, v68 :: v_dual_fmac_f32 v81, v53, v62
	s_delay_alu instid0(VALU_DEP_3)
	v_fma_f32 v52, v52, v62, -v79
	s_wait_dscnt 0x2
	v_mul_f32_e32 v79, v1, v61
	v_add_f32_e32 v75, v75, v69
	ds_load_b128 v[68:71], v43 offset:4176
	v_add_f32_e32 v52, v76, v52
	v_fma_f32 v76, v0, v60, -v79
	v_mul_f32_e32 v53, v0, v61
	s_delay_alu instid0(VALU_DEP_2) | instskip(NEXT) | instid1(VALU_DEP_2)
	v_dual_mul_f32 v79, v0, v63 :: v_dual_add_f32 v76, v77, v76
	v_fmac_f32_e32 v53, v1, v60
	s_wait_dscnt 0x1
	s_delay_alu instid0(VALU_DEP_2) | instskip(SKIP_1) | instid1(VALU_DEP_2)
	v_dual_fmac_f32 v79, v1, v62 :: v_dual_mul_f32 v60, v55, v57
	v_dual_mul_f32 v61, v1, v63 :: v_dual_add_f32 v74, v74, v81
	v_fma_f32 v1, v54, v56, -v60
	s_delay_alu instid0(VALU_DEP_2) | instskip(SKIP_4) | instid1(VALU_DEP_3)
	v_fma_f32 v0, v0, v62, -v61
	ds_load_2addr_b64 v[60:63], v49 offset0:64 offset1:80
	v_dual_mul_f32 v77, v55, v59 :: v_dual_add_f32 v72, v72, v1
	v_dual_add_f32 v73, v73, v0 :: v_dual_mul_f32 v0, v54, v57
	v_mul_f32_e32 v1, v54, v59
	v_fma_f32 v54, v54, v58, -v77
	v_mul_f32_e32 v77, v3, v57
	s_delay_alu instid0(VALU_DEP_4) | instskip(SKIP_1) | instid1(VALU_DEP_4)
	v_dual_mul_f32 v57, v2, v57 :: v_dual_fmac_f32 v0, v55, v56
	v_dual_add_f32 v53, v78, v53 :: v_dual_add_f32 v78, v80, v79
	v_add_f32_e32 v52, v52, v54
	v_mul_f32_e32 v54, v3, v59
	s_delay_alu instid0(VALU_DEP_4) | instskip(SKIP_2) | instid1(VALU_DEP_4)
	v_add_f32_e32 v75, v75, v0
	v_fma_f32 v0, v2, v56, -v77
	v_dual_fmac_f32 v57, v3, v56 :: v_dual_mul_f32 v56, v2, v59
	v_fma_f32 v54, v2, v58, -v54
	s_delay_alu instid0(VALU_DEP_2) | instskip(NEXT) | instid1(VALU_DEP_2)
	v_dual_add_f32 v59, v76, v0 :: v_dual_fmac_f32 v56, v3, v58
	v_add_f32_e32 v54, v73, v54
	s_wait_dscnt 0x0
	v_dual_fmac_f32 v1, v55, v58 :: v_dual_mul_f32 v58, v64, v61
	s_delay_alu instid0(VALU_DEP_3) | instskip(NEXT) | instid1(VALU_DEP_2)
	v_add_f32_e32 v76, v78, v56
	v_dual_fmac_f32 v58, v65, v60 :: v_dual_add_f32 v55, v74, v1
	v_mul_f32_e32 v74, v64, v63
	ds_load_2addr_b64 v[0:3], v49 offset0:96 offset1:112
	v_fmac_f32_e32 v74, v65, v62
	v_add_f32_e32 v53, v53, v57
	v_mul_f32_e32 v57, v65, v61
	s_delay_alu instid0(VALU_DEP_1) | instskip(NEXT) | instid1(VALU_DEP_1)
	v_fma_f32 v57, v64, v60, -v57
	v_dual_mul_f32 v73, v65, v63 :: v_dual_add_f32 v72, v72, v57
	s_delay_alu instid0(VALU_DEP_1) | instskip(SKIP_3) | instid1(VALU_DEP_3)
	v_fma_f32 v56, v64, v62, -v73
	v_dual_add_f32 v64, v75, v58 :: v_dual_mul_f32 v57, v69, v61
	v_dual_mul_f32 v58, v68, v61 :: v_dual_add_f32 v65, v55, v74
	s_wait_dscnt 0x0
	v_dual_add_f32 v61, v52, v56 :: v_dual_mul_f32 v56, v67, v1
	v_mul_f32_e32 v52, v69, v63
	v_fma_f32 v55, v68, v60, -v57
	v_fmac_f32_e32 v58, v69, v60
	v_dual_mul_f32 v60, v68, v63 :: v_dual_mul_f32 v63, v66, v1
	s_delay_alu instid0(VALU_DEP_4) | instskip(NEXT) | instid1(VALU_DEP_3)
	v_fma_f32 v52, v68, v62, -v52
	v_dual_add_f32 v68, v59, v55 :: v_dual_add_f32 v73, v53, v58
	v_mul_f32_e32 v74, v67, v3
	s_delay_alu instid0(VALU_DEP_3)
	v_dual_fmac_f32 v60, v69, v62 :: v_dual_add_f32 v69, v54, v52
	v_fma_f32 v62, v66, v0, -v56
	ds_load_b128 v[52:55], v43 offset:96
	ds_load_2addr_b64 v[56:59], v49 offset0:128 offset1:144
	v_fmac_f32_e32 v63, v67, v0
	v_dual_add_f32 v75, v76, v60 :: v_dual_mul_f32 v60, v66, v3
	v_add_f32_e32 v72, v72, v62
	v_fma_f32 v62, v66, v2, -v74
	s_delay_alu instid0(VALU_DEP_4) | instskip(NEXT) | instid1(VALU_DEP_4)
	v_add_f32_e32 v74, v64, v63
	v_fmac_f32_e32 v60, v67, v2
	v_mul_f32_e32 v66, v71, v1
	s_delay_alu instid0(VALU_DEP_4) | instskip(NEXT) | instid1(VALU_DEP_3)
	v_dual_mul_f32 v1, v70, v1 :: v_dual_add_f32 v76, v61, v62
	v_add_f32_e32 v77, v65, v60
	s_delay_alu instid0(VALU_DEP_3) | instskip(NEXT) | instid1(VALU_DEP_3)
	v_fma_f32 v64, v70, v0, -v66
	v_fmac_f32_e32 v1, v71, v0
	v_mul_f32_e32 v66, v71, v3
	ds_load_b128 v[60:63], v43 offset:4192
	v_dual_add_f32 v78, v68, v64 :: v_dual_add_f32 v73, v73, v1
	v_fma_f32 v0, v70, v2, -v66
	s_wait_dscnt 0x1
	v_dual_mul_f32 v68, v70, v3 :: v_dual_mul_f32 v3, v53, v57
	ds_load_b128 v[64:67], v43 offset:112
	v_dual_mul_f32 v80, v52, v59 :: v_dual_add_f32 v79, v69, v0
	v_fmac_f32_e32 v68, v71, v2
	v_fma_f32 v69, v52, v56, -v3
	ds_load_2addr_b64 v[0:3], v49 offset0:160 offset1:176
	v_mul_f32_e32 v71, v53, v59
	v_fmac_f32_e32 v80, v53, v58
	v_add_f32_e32 v72, v72, v69
	s_wait_dscnt 0x2
	v_mul_f32_e32 v81, v61, v57
	v_dual_mul_f32 v70, v52, v57 :: v_dual_add_f32 v75, v75, v68
	v_fma_f32 v52, v52, v58, -v71
	s_delay_alu instid0(VALU_DEP_2) | instskip(SKIP_1) | instid1(VALU_DEP_2)
	v_dual_fmac_f32 v70, v53, v56 :: v_dual_mul_f32 v53, v60, v57
	v_mul_f32_e32 v57, v61, v59
	v_fmac_f32_e32 v53, v61, v56
	s_delay_alu instid0(VALU_DEP_4) | instskip(SKIP_1) | instid1(VALU_DEP_4)
	v_add_f32_e32 v52, v76, v52
	v_fma_f32 v76, v60, v56, -v81
	v_fma_f32 v56, v60, v58, -v57
	s_wait_dscnt 0x0
	v_dual_mul_f32 v57, v55, v1 :: v_dual_add_f32 v74, v74, v70
	v_dual_add_f32 v77, v77, v80 :: v_dual_mul_f32 v80, v60, v59
	v_dual_add_f32 v53, v73, v53 :: v_dual_add_f32 v60, v78, v76
	s_delay_alu instid0(VALU_DEP_3) | instskip(NEXT) | instid1(VALU_DEP_3)
	v_fma_f32 v76, v54, v0, -v57
	v_dual_mul_f32 v73, v54, v1 :: v_dual_fmac_f32 v80, v61, v58
	v_add_f32_e32 v61, v79, v56
	ds_load_2addr_b64 v[56:59], v49 offset0:192 offset1:208
	v_mul_f32_e32 v78, v55, v3
	v_add_f32_e32 v72, v72, v76
	v_dual_add_f32 v75, v75, v80 :: v_dual_mul_f32 v76, v54, v3
	ds_load_b128 v[68:71], v43 offset:4208
	v_fma_f32 v54, v54, v2, -v78
	v_fmac_f32_e32 v73, v55, v0
	v_fmac_f32_e32 v76, v55, v2
	v_mul_f32_e32 v78, v63, v1
	s_delay_alu instid0(VALU_DEP_4) | instskip(NEXT) | instid1(VALU_DEP_4)
	v_dual_mul_f32 v1, v62, v1 :: v_dual_add_f32 v52, v52, v54
	v_add_f32_e32 v73, v74, v73
	s_delay_alu instid0(VALU_DEP_4) | instskip(NEXT) | instid1(VALU_DEP_3)
	v_dual_mul_f32 v74, v62, v3 :: v_dual_add_f32 v55, v77, v76
	v_fmac_f32_e32 v1, v63, v0
	v_fma_f32 v54, v62, v0, -v78
	v_mul_f32_e32 v0, v63, v3
	s_wait_dscnt 0x1
	v_dual_fmac_f32 v74, v63, v2 :: v_dual_mul_f32 v63, v64, v57
	v_dual_add_f32 v53, v53, v1 :: v_dual_mul_f32 v76, v64, v59
	s_delay_alu instid0(VALU_DEP_2)
	v_dual_fmac_f32 v63, v65, v56 :: v_dual_add_f32 v54, v60, v54
	v_fma_f32 v60, v62, v2, -v0
	ds_load_2addr_b64 v[0:3], v49 offset0:224 offset1:240
	v_fmac_f32_e32 v76, v65, v58
	v_mul_f32_e32 v62, v65, v57
	v_add_f32_e32 v63, v73, v63
	v_add_f32_e32 v60, v61, v60
	s_delay_alu instid0(VALU_DEP_3) | instskip(NEXT) | instid1(VALU_DEP_1)
	v_fma_f32 v61, v64, v56, -v62
	v_dual_mul_f32 v62, v65, v59 :: v_dual_add_f32 v61, v72, v61
	v_add_f32_e32 v74, v75, v74
	s_delay_alu instid0(VALU_DEP_2) | instskip(SKIP_1) | instid1(VALU_DEP_1)
	v_fma_f32 v62, v64, v58, -v62
	s_wait_dscnt 0x0
	v_dual_add_f32 v62, v52, v62 :: v_dual_mul_f32 v73, v66, v1
	v_mul_f32_e32 v64, v69, v57
	v_mul_f32_e32 v57, v68, v57
	v_mul_f32_e32 v75, v67, v3
	v_add_f32_e32 v65, v55, v76
	v_dual_fmac_f32 v73, v67, v0 :: v_dual_mul_f32 v52, v69, v59
	v_fma_f32 v55, v68, v56, -v64
	v_dual_fmac_f32 v57, v69, v56 :: v_dual_mul_f32 v64, v68, v59
	v_mul_f32_e32 v56, v67, v1
	s_delay_alu instid0(VALU_DEP_4) | instskip(SKIP_1) | instid1(VALU_DEP_4)
	v_add_f32_e32 v73, v63, v73
	v_fma_f32 v52, v68, v58, -v52
	v_add_f32_e32 v72, v53, v57
	s_delay_alu instid0(VALU_DEP_2) | instskip(SKIP_1) | instid1(VALU_DEP_1)
	v_dual_fmac_f32 v64, v69, v58 :: v_dual_add_f32 v69, v60, v52
	v_fma_f32 v60, v66, v0, -v56
	v_dual_add_f32 v76, v61, v60 :: v_dual_mul_f32 v61, v71, v1
	v_mul_f32_e32 v1, v70, v1
	v_fma_f32 v60, v66, v2, -v75
	s_delay_alu instid0(VALU_DEP_2) | instskip(SKIP_3) | instid1(VALU_DEP_2)
	v_fmac_f32_e32 v1, v71, v0
	v_add_f32_e32 v74, v74, v64
	v_mul_f32_e32 v64, v66, v3
	v_fma_f32 v66, v70, v0, -v61
	v_dual_add_f32 v75, v62, v60 :: v_dual_fmac_f32 v64, v67, v2
	v_add_f32_e32 v68, v54, v55
	ds_load_b128 v[52:55], v43 offset:128
	ds_load_2addr_b64 v[56:59], v50 offset1:16
	v_mul_f32_e32 v67, v71, v3
	ds_load_b128 v[60:63], v43 offset:4224
	v_dual_add_f32 v77, v65, v64 :: v_dual_add_f32 v78, v68, v66
	v_mul_f32_e32 v68, v70, v3
	v_fma_f32 v0, v70, v2, -v67
	ds_load_b128 v[64:67], v43 offset:144
	v_dual_add_f32 v72, v72, v1 :: v_dual_add_f32 v79, v69, v0
	s_wait_dscnt 0x2
	v_dual_mul_f32 v80, v52, v59 :: v_dual_mul_f32 v3, v53, v57
	s_wait_dscnt 0x1
	v_mul_f32_e32 v81, v61, v57
	s_delay_alu instid0(VALU_DEP_2) | instskip(SKIP_2) | instid1(VALU_DEP_3)
	v_fmac_f32_e32 v80, v53, v58
	v_mul_f32_e32 v70, v52, v57
	v_fma_f32 v69, v52, v56, -v3
	v_add_f32_e32 v77, v77, v80
	s_delay_alu instid0(VALU_DEP_3) | instskip(NEXT) | instid1(VALU_DEP_1)
	v_fmac_f32_e32 v70, v53, v56
	v_add_f32_e32 v73, v73, v70
	v_fmac_f32_e32 v68, v71, v2
	ds_load_2addr_b64 v[0:3], v50 offset0:32 offset1:48
	v_mul_f32_e32 v71, v53, v59
	v_mul_f32_e32 v53, v60, v57
	;; [unrolled: 1-line block ×4, first 2 shown]
	s_delay_alu instid0(VALU_DEP_4) | instskip(NEXT) | instid1(VALU_DEP_4)
	v_fma_f32 v52, v52, v58, -v71
	v_fmac_f32_e32 v53, v61, v56
	v_add_f32_e32 v74, v74, v68
	s_delay_alu instid0(VALU_DEP_4) | instskip(NEXT) | instid1(VALU_DEP_4)
	v_fmac_f32_e32 v80, v61, v58
	v_add_f32_e32 v52, v75, v52
	v_fma_f32 v75, v60, v56, -v81
	v_fma_f32 v56, v60, v58, -v57
	v_add_f32_e32 v76, v76, v69
	v_add_f32_e32 v53, v72, v53
	ds_load_b128 v[68:71], v43 offset:4240
	v_dual_add_f32 v60, v78, v75 :: v_dual_add_f32 v61, v79, v56
	s_wait_dscnt 0x1
	v_mul_f32_e32 v57, v55, v1
	v_mul_f32_e32 v72, v54, v1
	;; [unrolled: 1-line block ×3, first 2 shown]
	s_delay_alu instid0(VALU_DEP_3) | instskip(SKIP_4) | instid1(VALU_DEP_3)
	v_fma_f32 v75, v54, v0, -v57
	ds_load_2addr_b64 v[56:59], v50 offset0:64 offset1:80
	v_dual_fmac_f32 v72, v55, v0 :: v_dual_add_f32 v75, v76, v75
	v_mul_f32_e32 v76, v54, v3
	v_fma_f32 v54, v54, v2, -v78
	v_add_f32_e32 v72, v73, v72
	v_mul_f32_e32 v78, v63, v1
	v_mul_f32_e32 v1, v62, v1
	s_delay_alu instid0(VALU_DEP_4) | instskip(NEXT) | instid1(VALU_DEP_3)
	v_dual_mul_f32 v73, v62, v3 :: v_dual_add_f32 v52, v52, v54
	v_fma_f32 v54, v62, v0, -v78
	s_delay_alu instid0(VALU_DEP_3) | instskip(SKIP_1) | instid1(VALU_DEP_4)
	v_fmac_f32_e32 v1, v63, v0
	v_mul_f32_e32 v0, v63, v3
	v_fmac_f32_e32 v73, v63, v2
	s_delay_alu instid0(VALU_DEP_3) | instskip(SKIP_2) | instid1(VALU_DEP_1)
	v_add_f32_e32 v53, v53, v1
	s_wait_dscnt 0x0
	v_mul_f32_e32 v63, v64, v57
	v_dual_fmac_f32 v63, v65, v56 :: v_dual_fmac_f32 v76, v55, v2
	s_delay_alu instid0(VALU_DEP_1) | instskip(SKIP_4) | instid1(VALU_DEP_2)
	v_dual_add_f32 v55, v77, v76 :: v_dual_add_f32 v54, v60, v54
	v_fma_f32 v60, v62, v2, -v0
	ds_load_2addr_b64 v[0:3], v50 offset0:96 offset1:112
	v_mul_f32_e32 v62, v65, v57
	v_add_f32_e32 v60, v61, v60
	v_fma_f32 v61, v64, v56, -v62
	v_add_f32_e32 v74, v74, v80
	s_delay_alu instid0(VALU_DEP_2) | instskip(NEXT) | instid1(VALU_DEP_2)
	v_dual_mul_f32 v62, v65, v59 :: v_dual_add_f32 v61, v75, v61
	v_dual_add_f32 v73, v74, v73 :: v_dual_mul_f32 v76, v64, v59
	s_delay_alu instid0(VALU_DEP_2) | instskip(SKIP_2) | instid1(VALU_DEP_4)
	v_fma_f32 v62, v64, v58, -v62
	v_mul_f32_e32 v64, v69, v57
	v_mul_f32_e32 v57, v68, v57
	v_dual_add_f32 v63, v72, v63 :: v_dual_fmac_f32 v76, v65, v58
	s_wait_dscnt 0x0
	s_delay_alu instid0(VALU_DEP_2) | instskip(SKIP_1) | instid1(VALU_DEP_3)
	v_dual_mul_f32 v74, v66, v1 :: v_dual_fmac_f32 v57, v69, v56
	v_mul_f32_e32 v75, v67, v3
	v_add_f32_e32 v65, v55, v76
	v_fma_f32 v55, v68, v56, -v64
	v_mul_f32_e32 v64, v68, v59
	v_fmac_f32_e32 v74, v67, v0
	s_delay_alu instid0(VALU_DEP_2) | instskip(NEXT) | instid1(VALU_DEP_1)
	v_fmac_f32_e32 v64, v69, v58
	v_dual_add_f32 v73, v73, v64 :: v_dual_mul_f32 v64, v66, v3
	s_delay_alu instid0(VALU_DEP_1) | instskip(SKIP_2) | instid1(VALU_DEP_3)
	v_fmac_f32_e32 v64, v67, v2
	v_add_f32_e32 v62, v52, v62
	v_mul_f32_e32 v52, v69, v59
	v_add_f32_e32 v77, v65, v64
	s_delay_alu instid0(VALU_DEP_2) | instskip(NEXT) | instid1(VALU_DEP_1)
	v_fma_f32 v52, v68, v58, -v52
	v_dual_add_f32 v68, v54, v55 :: v_dual_add_f32 v69, v60, v52
	v_mul_f32_e32 v56, v67, v1
	v_mul_f32_e32 v67, v71, v3
	s_delay_alu instid0(VALU_DEP_2) | instskip(NEXT) | instid1(VALU_DEP_1)
	v_fma_f32 v60, v66, v0, -v56
	v_dual_add_f32 v76, v61, v60 :: v_dual_mul_f32 v61, v71, v1
	v_mul_f32_e32 v1, v70, v1
	v_fma_f32 v60, v66, v2, -v75
	s_delay_alu instid0(VALU_DEP_3) | instskip(NEXT) | instid1(VALU_DEP_3)
	v_fma_f32 v66, v70, v0, -v61
	v_fmac_f32_e32 v1, v71, v0
	v_fma_f32 v0, v70, v2, -v67
	s_delay_alu instid0(VALU_DEP_3) | instskip(NEXT) | instid1(VALU_DEP_2)
	v_dual_add_f32 v75, v62, v60 :: v_dual_add_f32 v78, v68, v66
	v_add_f32_e32 v79, v69, v0
	v_add_f32_e32 v72, v53, v57
	ds_load_b128 v[52:55], v43 offset:160
	ds_load_2addr_b64 v[56:59], v50 offset0:128 offset1:144
	ds_load_b128 v[64:67], v43 offset:176
	s_wait_dscnt 0x1
	v_mul_f32_e32 v80, v52, v59
	s_delay_alu instid0(VALU_DEP_1) | instskip(SKIP_4) | instid1(VALU_DEP_2)
	v_fmac_f32_e32 v80, v53, v58
	v_add_f32_e32 v74, v63, v74
	ds_load_b128 v[60:63], v43 offset:4256
	v_dual_mul_f32 v68, v70, v3 :: v_dual_mul_f32 v3, v53, v57
	v_dual_mul_f32 v70, v52, v57 :: v_dual_add_f32 v77, v77, v80
	v_dual_fmac_f32 v68, v71, v2 :: v_dual_mul_f32 v71, v53, v59
	s_delay_alu instid0(VALU_DEP_3) | instskip(NEXT) | instid1(VALU_DEP_3)
	v_fma_f32 v69, v52, v56, -v3
	v_fmac_f32_e32 v70, v53, v56
	s_delay_alu instid0(VALU_DEP_3) | instskip(NEXT) | instid1(VALU_DEP_4)
	v_add_f32_e32 v73, v73, v68
	v_fma_f32 v52, v52, v58, -v71
	s_wait_dscnt 0x0
	s_delay_alu instid0(VALU_DEP_1) | instskip(SKIP_3) | instid1(VALU_DEP_4)
	v_dual_add_f32 v52, v75, v52 :: v_dual_mul_f32 v81, v61, v57
	v_mul_f32_e32 v53, v60, v57
	v_mul_f32_e32 v57, v61, v59
	;; [unrolled: 1-line block ×3, first 2 shown]
	v_fma_f32 v75, v60, v56, -v81
	s_delay_alu instid0(VALU_DEP_4) | instskip(NEXT) | instid1(VALU_DEP_4)
	v_fmac_f32_e32 v53, v61, v56
	v_fma_f32 v56, v60, v58, -v57
	s_delay_alu instid0(VALU_DEP_1)
	v_dual_fmac_f32 v80, v61, v58 :: v_dual_add_f32 v61, v79, v56
	v_add_f32_e32 v72, v72, v1
	ds_load_2addr_b64 v[0:3], v50 offset0:160 offset1:176
	v_dual_add_f32 v73, v73, v80 :: v_dual_add_f32 v60, v78, v75
	v_add_f32_e32 v53, v72, v53
	v_add_f32_e32 v76, v76, v69
	s_wait_dscnt 0x0
	v_mul_f32_e32 v57, v55, v1
	v_mul_f32_e32 v78, v55, v3
	s_delay_alu instid0(VALU_DEP_2)
	v_fma_f32 v75, v54, v0, -v57
	ds_load_2addr_b64 v[56:59], v50 offset0:192 offset1:208
	v_dual_mul_f32 v72, v54, v1 :: v_dual_add_f32 v75, v76, v75
	v_mul_f32_e32 v76, v54, v3
	v_fma_f32 v54, v54, v2, -v78
	v_mul_f32_e32 v78, v63, v1
	v_mul_f32_e32 v1, v62, v1
	v_add_f32_e32 v74, v74, v70
	ds_load_b128 v[68:71], v43 offset:4272
	v_fmac_f32_e32 v72, v55, v0
	v_add_f32_e32 v52, v52, v54
	v_fma_f32 v54, v62, v0, -v78
	v_fmac_f32_e32 v1, v63, v0
	v_mul_f32_e32 v0, v63, v3
	v_add_f32_e32 v72, v74, v72
	v_fmac_f32_e32 v76, v55, v2
	v_mul_f32_e32 v74, v62, v3
	v_add_f32_e32 v54, v60, v54
	v_fma_f32 v60, v62, v2, -v0
	s_wait_dscnt 0x1
	v_mul_f32_e32 v62, v65, v57
	v_add_f32_e32 v55, v77, v76
	v_dual_add_f32 v53, v53, v1 :: v_dual_fmac_f32 v74, v63, v2
	ds_load_2addr_b64 v[0:3], v50 offset0:224 offset1:240
	v_add_f32_e32 v60, v61, v60
	v_fma_f32 v61, v64, v56, -v62
	v_mul_f32_e32 v62, v65, v59
	v_mul_f32_e32 v76, v64, v59
	;; [unrolled: 1-line block ×3, first 2 shown]
	v_add_f32_e32 v73, v73, v74
	v_add_f32_e32 v61, v75, v61
	v_fma_f32 v62, v64, v58, -v62
	v_fmac_f32_e32 v76, v65, v58
	s_wait_dscnt 0x1
	v_mul_f32_e32 v64, v69, v57
	v_fmac_f32_e32 v63, v65, v56
	v_mul_f32_e32 v57, v68, v57
	v_add_f32_e32 v65, v55, v76
	s_delay_alu instid0(VALU_DEP_4) | instskip(NEXT) | instid1(VALU_DEP_3)
	v_fma_f32 v55, v68, v56, -v64
	v_dual_mul_f32 v64, v68, v59 :: v_dual_fmac_f32 v57, v69, v56
	s_wait_dscnt 0x0
	v_mul_f32_e32 v74, v66, v1
	s_delay_alu instid0(VALU_DEP_2) | instskip(SKIP_2) | instid1(VALU_DEP_4)
	v_fmac_f32_e32 v64, v69, v58
	v_mul_f32_e32 v56, v67, v1
	v_mul_f32_e32 v75, v67, v3
	v_dual_add_f32 v63, v72, v63 :: v_dual_fmac_f32 v74, v67, v0
	s_delay_alu instid0(VALU_DEP_4) | instskip(SKIP_1) | instid1(VALU_DEP_3)
	v_dual_add_f32 v73, v73, v64 :: v_dual_mul_f32 v64, v66, v3
	v_add_f32_e32 v72, v53, v57
	v_add_f32_e32 v74, v63, v74
	s_delay_alu instid0(VALU_DEP_3) | instskip(SKIP_2) | instid1(VALU_DEP_3)
	v_fmac_f32_e32 v64, v67, v2
	v_dual_mul_f32 v67, v71, v3 :: v_dual_add_f32 v62, v52, v62
	v_mul_f32_e32 v52, v69, v59
	v_add_f32_e32 v77, v65, v64
	s_delay_alu instid0(VALU_DEP_2) | instskip(NEXT) | instid1(VALU_DEP_1)
	v_fma_f32 v52, v68, v58, -v52
	v_add_f32_e32 v69, v60, v52
	v_fma_f32 v60, v66, v0, -v56
	s_delay_alu instid0(VALU_DEP_1) | instskip(SKIP_2) | instid1(VALU_DEP_3)
	v_dual_add_f32 v76, v61, v60 :: v_dual_mul_f32 v61, v71, v1
	v_mul_f32_e32 v1, v70, v1
	v_fma_f32 v60, v66, v2, -v75
	v_fma_f32 v66, v70, v0, -v61
	s_delay_alu instid0(VALU_DEP_3) | instskip(SKIP_1) | instid1(VALU_DEP_4)
	v_fmac_f32_e32 v1, v71, v0
	v_fma_f32 v0, v70, v2, -v67
	v_add_f32_e32 v75, v62, v60
	s_delay_alu instid0(VALU_DEP_2)
	v_dual_add_f32 v79, v69, v0 :: v_dual_add_f32 v68, v54, v55
	ds_load_b128 v[52:55], v43 offset:192
	ds_load_2addr_b64 v[56:59], v51 offset1:16
	ds_load_b128 v[60:63], v43 offset:4288
	v_add_f32_e32 v78, v68, v66
	v_mul_f32_e32 v68, v70, v3
	ds_load_b128 v[64:67], v43 offset:208
	v_fmac_f32_e32 v68, v71, v2
	s_delay_alu instid0(VALU_DEP_1)
	v_add_f32_e32 v73, v73, v68
	s_wait_dscnt 0x2
	v_mul_f32_e32 v3, v53, v57
	v_dual_mul_f32 v70, v52, v57 :: v_dual_mul_f32 v71, v53, v59
	s_wait_dscnt 0x1
	v_dual_mul_f32 v80, v52, v59 :: v_dual_mul_f32 v81, v61, v57
	s_delay_alu instid0(VALU_DEP_3) | instskip(NEXT) | instid1(VALU_DEP_3)
	v_fma_f32 v69, v52, v56, -v3
	v_fmac_f32_e32 v70, v53, v56
	v_fma_f32 v52, v52, v58, -v71
	s_delay_alu instid0(VALU_DEP_3) | instskip(NEXT) | instid1(VALU_DEP_3)
	v_add_f32_e32 v76, v76, v69
	v_add_f32_e32 v74, v74, v70
	ds_load_b128 v[68:71], v43 offset:4304
	v_add_f32_e32 v72, v72, v1
	ds_load_2addr_b64 v[0:3], v51 offset0:32 offset1:48
	v_dual_fmac_f32 v80, v53, v58 :: v_dual_mul_f32 v53, v60, v57
	v_dual_mul_f32 v57, v61, v59 :: v_dual_add_f32 v52, v75, v52
	v_fma_f32 v75, v60, v56, -v81
	s_delay_alu instid0(VALU_DEP_3) | instskip(NEXT) | instid1(VALU_DEP_4)
	v_add_f32_e32 v77, v77, v80
	v_dual_fmac_f32 v53, v61, v56 :: v_dual_mul_f32 v80, v60, v59
	s_delay_alu instid0(VALU_DEP_4) | instskip(NEXT) | instid1(VALU_DEP_2)
	v_fma_f32 v56, v60, v58, -v57
	v_dual_add_f32 v60, v78, v75 :: v_dual_add_f32 v53, v72, v53
	s_delay_alu instid0(VALU_DEP_2) | instskip(NEXT) | instid1(VALU_DEP_1)
	v_dual_fmac_f32 v80, v61, v58 :: v_dual_add_f32 v61, v79, v56
	v_add_f32_e32 v73, v73, v80
	s_wait_dscnt 0x0
	v_mul_f32_e32 v57, v55, v1
	v_mul_f32_e32 v72, v54, v1
	;; [unrolled: 1-line block ×3, first 2 shown]
	s_delay_alu instid0(VALU_DEP_3)
	v_fma_f32 v75, v54, v0, -v57
	ds_load_2addr_b64 v[56:59], v51 offset0:64 offset1:80
	v_dual_fmac_f32 v72, v55, v0 :: v_dual_add_f32 v75, v76, v75
	v_mul_f32_e32 v76, v54, v3
	v_fma_f32 v54, v54, v2, -v78
	v_mul_f32_e32 v78, v63, v1
	v_mul_f32_e32 v1, v62, v1
	v_add_f32_e32 v72, v74, v72
	v_mul_f32_e32 v74, v62, v3
	v_add_f32_e32 v52, v52, v54
	v_fma_f32 v54, v62, v0, -v78
	v_fmac_f32_e32 v1, v63, v0
	v_mul_f32_e32 v0, v63, v3
	v_fmac_f32_e32 v76, v55, v2
	v_fmac_f32_e32 v74, v63, v2
	s_delay_alu instid0(VALU_DEP_4) | instskip(NEXT) | instid1(VALU_DEP_4)
	v_dual_add_f32 v54, v60, v54 :: v_dual_add_f32 v53, v53, v1
	v_fma_f32 v60, v62, v2, -v0
	s_wait_dscnt 0x0
	v_mul_f32_e32 v62, v65, v57
	ds_load_2addr_b64 v[0:3], v51 offset0:96 offset1:112
	v_dual_add_f32 v55, v77, v76 :: v_dual_mul_f32 v76, v64, v59
	v_add_f32_e32 v60, v61, v60
	v_fma_f32 v61, v64, v56, -v62
	v_dual_mul_f32 v62, v65, v59 :: v_dual_mul_f32 v63, v64, v57
	s_delay_alu instid0(VALU_DEP_4) | instskip(SKIP_1) | instid1(VALU_DEP_4)
	v_fmac_f32_e32 v76, v65, v58
	v_add_f32_e32 v73, v73, v74
	v_add_f32_e32 v61, v75, v61
	s_delay_alu instid0(VALU_DEP_4) | instskip(SKIP_3) | instid1(VALU_DEP_4)
	v_fma_f32 v62, v64, v58, -v62
	v_mul_f32_e32 v64, v69, v57
	v_mul_f32_e32 v57, v68, v57
	v_fmac_f32_e32 v63, v65, v56
	v_dual_add_f32 v65, v55, v76 :: v_dual_add_f32 v62, v52, v62
	v_mul_f32_e32 v52, v69, v59
	v_fma_f32 v55, v68, v56, -v64
	v_dual_fmac_f32 v57, v69, v56 :: v_dual_mul_f32 v64, v68, v59
	s_wait_dscnt 0x0
	v_mul_f32_e32 v56, v67, v1
	v_fma_f32 v52, v68, v58, -v52
	v_add_f32_e32 v63, v72, v63
	v_add_f32_e32 v68, v54, v55
	;; [unrolled: 1-line block ×3, first 2 shown]
	s_delay_alu instid0(VALU_DEP_4)
	v_dual_fmac_f32 v64, v69, v58 :: v_dual_add_f32 v69, v60, v52
	v_fma_f32 v60, v66, v0, -v56
	ds_load_b128 v[52:55], v43 offset:224
	ds_load_2addr_b64 v[56:59], v51 offset0:128 offset1:144
	v_mul_f32_e32 v75, v67, v3
	v_dual_add_f32 v73, v73, v64 :: v_dual_mul_f32 v64, v66, v3
	v_mul_f32_e32 v74, v66, v1
	s_delay_alu instid0(VALU_DEP_3) | instskip(SKIP_1) | instid1(VALU_DEP_4)
	v_fma_f32 v66, v66, v2, -v75
	v_dual_add_f32 v75, v61, v60 :: v_dual_mul_f32 v60, v71, v1
	v_fmac_f32_e32 v64, v67, v2
	s_delay_alu instid0(VALU_DEP_4) | instskip(NEXT) | instid1(VALU_DEP_4)
	v_fmac_f32_e32 v74, v67, v0
	v_add_f32_e32 v76, v62, v66
	v_mul_f32_e32 v1, v70, v1
	v_fma_f32 v66, v70, v0, -v60
	v_dual_add_f32 v77, v65, v64 :: v_dual_mul_f32 v64, v71, v3
	v_add_f32_e32 v74, v63, v74
	ds_load_b128 v[60:63], v43 offset:4320
	v_dual_fmac_f32 v1, v71, v0 :: v_dual_add_f32 v78, v68, v66
	v_mul_f32_e32 v68, v70, v3
	v_fma_f32 v0, v70, v2, -v64
	s_wait_dscnt 0x1
	v_mul_f32_e32 v3, v53, v57
	v_mul_f32_e32 v70, v53, v59
	;; [unrolled: 1-line block ×3, first 2 shown]
	v_dual_fmac_f32 v68, v71, v2 :: v_dual_add_f32 v79, v69, v0
	s_delay_alu instid0(VALU_DEP_4) | instskip(SKIP_2) | instid1(VALU_DEP_4)
	v_fma_f32 v69, v52, v56, -v3
	v_mul_f32_e32 v81, v52, v59
	v_fma_f32 v52, v52, v58, -v70
	v_add_f32_e32 v73, v73, v68
	ds_load_b128 v[64:67], v43 offset:240
	v_add_f32_e32 v75, v75, v69
	ds_load_b128 v[68:71], v43 offset:4336
	v_add_f32_e32 v72, v72, v1
	ds_load_2addr_b64 v[0:3], v51 offset0:160 offset1:176
	v_fmac_f32_e32 v80, v53, v56
	s_wait_dscnt 0x3
	v_mul_f32_e32 v82, v61, v57
	v_fmac_f32_e32 v81, v53, v58
	v_mul_f32_e32 v53, v60, v57
	v_add_f32_e32 v52, v76, v52
	v_mul_f32_e32 v76, v61, v59
	v_fma_f32 v57, v60, v56, -v82
	v_add_f32_e32 v74, v74, v80
	v_dual_fmac_f32 v53, v61, v56 :: v_dual_mul_f32 v80, v60, v59
	s_delay_alu instid0(VALU_DEP_4) | instskip(NEXT) | instid1(VALU_DEP_4)
	v_fma_f32 v56, v60, v58, -v76
	v_add_f32_e32 v78, v78, v57
	v_add_f32_e32 v77, v77, v81
	s_delay_alu instid0(VALU_DEP_4) | instskip(NEXT) | instid1(VALU_DEP_4)
	v_dual_add_f32 v53, v72, v53 :: v_dual_fmac_f32 v80, v61, v58
	v_add_f32_e32 v61, v79, v56
	s_wait_dscnt 0x0
	v_mul_f32_e32 v57, v55, v1
	v_mul_f32_e32 v60, v54, v1
	v_dual_mul_f32 v76, v55, v3 :: v_dual_add_f32 v73, v73, v80
	s_delay_alu instid0(VALU_DEP_3) | instskip(SKIP_4) | instid1(VALU_DEP_3)
	v_fma_f32 v72, v54, v0, -v57
	ds_load_2addr_b64 v[56:59], v51 offset0:192 offset1:208
	v_fmac_f32_e32 v60, v55, v0
	v_dual_add_f32 v72, v75, v72 :: v_dual_mul_f32 v75, v54, v3
	v_fma_f32 v54, v54, v2, -v76
	v_add_f32_e32 v60, v74, v60
	v_mul_f32_e32 v74, v63, v1
	v_mul_f32_e32 v1, v62, v1
	v_fmac_f32_e32 v75, v55, v2
	v_add_f32_e32 v52, v52, v54
	v_mul_f32_e32 v54, v63, v3
	v_fma_f32 v55, v62, v0, -v74
	s_delay_alu instid0(VALU_DEP_4) | instskip(SKIP_1) | instid1(VALU_DEP_4)
	v_dual_fmac_f32 v1, v63, v0 :: v_dual_add_f32 v74, v77, v75
	v_mul_f32_e32 v75, v62, v3
	v_fma_f32 v0, v62, v2, -v54
	s_delay_alu instid0(VALU_DEP_3)
	v_dual_add_f32 v54, v78, v55 :: v_dual_add_f32 v53, v53, v1
	s_wait_dscnt 0x0
	v_mul_f32_e32 v55, v65, v57
	v_fmac_f32_e32 v75, v63, v2
	v_add_f32_e32 v61, v61, v0
	ds_load_2addr_b64 v[0:3], v51 offset0:224 offset1:240
	v_mul_f32_e32 v62, v64, v57
	v_fma_f32 v55, v64, v56, -v55
	v_add_f32_e32 v63, v73, v75
	v_mul_f32_e32 v73, v65, v59
	s_delay_alu instid0(VALU_DEP_4) | instskip(NEXT) | instid1(VALU_DEP_4)
	v_dual_mul_f32 v75, v64, v59 :: v_dual_fmac_f32 v62, v65, v56
	v_dual_add_f32 v55, v72, v55 :: v_dual_mul_f32 v72, v69, v57
	s_delay_alu instid0(VALU_DEP_3) | instskip(SKIP_1) | instid1(VALU_DEP_4)
	v_fma_f32 v64, v64, v58, -v73
	v_mul_f32_e32 v57, v68, v57
	v_add_f32_e32 v60, v60, v62
	v_fmac_f32_e32 v75, v65, v58
	v_fma_f32 v62, v68, v56, -v72
	v_add_f32_e32 v52, v52, v64
	v_mul_f32_e32 v64, v69, v59
	v_dual_fmac_f32 v57, v69, v56 :: v_dual_mul_f32 v56, v68, v59
	s_delay_alu instid0(VALU_DEP_4) | instskip(SKIP_1) | instid1(VALU_DEP_4)
	v_add_f32_e32 v54, v54, v62
	v_add_f32_e32 v65, v74, v75
	v_fma_f32 v59, v68, v58, -v64
	s_wait_dscnt 0x0
	v_mul_f32_e32 v62, v67, v1
	v_mul_f32_e32 v64, v66, v1
	v_add_f32_e32 v53, v53, v57
	v_fmac_f32_e32 v56, v69, v58
	v_add_f32_e32 v61, v61, v59
	v_fma_f32 v57, v66, v0, -v62
	v_fmac_f32_e32 v64, v67, v0
	v_mul_f32_e32 v62, v67, v3
	v_dual_mul_f32 v68, v66, v3 :: v_dual_add_f32 v63, v63, v56
	s_delay_alu instid0(VALU_DEP_3) | instskip(NEXT) | instid1(VALU_DEP_3)
	v_dual_add_f32 v58, v55, v57 :: v_dual_add_f32 v59, v60, v64
	v_fma_f32 v55, v66, v2, -v62
	v_mul_f32_e32 v57, v71, v1
	v_dual_mul_f32 v1, v70, v1 :: v_dual_mul_f32 v60, v71, v3
	v_dual_mul_f32 v3, v70, v3 :: v_dual_fmac_f32 v68, v67, v2
	s_delay_alu instid0(VALU_DEP_4) | instskip(NEXT) | instid1(VALU_DEP_4)
	v_add_f32_e32 v56, v52, v55
	v_fma_f32 v52, v70, v0, -v57
	s_delay_alu instid0(VALU_DEP_4) | instskip(SKIP_3) | instid1(VALU_DEP_4)
	v_fmac_f32_e32 v1, v71, v0
	v_fma_f32 v0, v70, v2, -v60
	v_fmac_f32_e32 v3, v71, v2
	v_add_f32_e32 v57, v65, v68
	v_dual_add_f32 v54, v54, v52 :: v_dual_add_f32 v55, v53, v1
	s_delay_alu instid0(VALU_DEP_3)
	v_dual_add_f32 v53, v61, v0 :: v_dual_add_f32 v52, v63, v3
	s_wait_loadcnt 0x0
	s_barrier_signal -1
	s_barrier_wait -1
	global_inv scope:SCOPE_SE
	s_cbranch_scc1 .LBB84_60
.LBB84_11:                              ;   Parent Loop BB84_4 Depth=1
                                        ;     Parent Loop BB84_8 Depth=2
                                        ; =>    This Inner Loop Header: Depth=3
	s_wait_alu 0xfffe
	v_add_co_u32 v0, s5, v18, s52
	s_wait_alu 0xf1ff
	v_add_co_ci_u32_e64 v1, null, s53, v19, s5
	v_cmp_eq_u64_e64 s7, s[52:53], v[24:25]
	v_add_co_u32 v2, s8, v30, v32
	s_delay_alu instid0(VALU_DEP_3)
	v_cmp_lt_i64_e64 s5, v[0:1], v[20:21]
	v_cmp_le_i64_e64 s6, s[42:43], v[0:1]
	s_wait_alu 0xf1ff
	v_add_co_ci_u32_e64 v3, null, v31, v33, s8
	s_and_b32 s62, s56, s7
	s_or_b32 s8, vcc_lo, s5
	s_wait_alu 0xfffe
	s_or_b32 s7, s6, s8
	s_wait_alu 0xfffe
	s_nor_b32 s7, s7, s62
	s_wait_alu 0xfffe
	s_and_saveexec_b32 s8, s7
	s_wait_alu 0xfffe
	s_xor_b32 s7, exec_lo, s8
	s_cbranch_execz .LBB84_13
; %bb.12:                               ;   in Loop: Header=BB84_11 Depth=3
	global_load_b64 v[60:61], v[2:3], off
	s_wait_loadcnt 0x0
	ds_store_b64 v45, v[60:61]
.LBB84_13:                              ;   in Loop: Header=BB84_11 Depth=3
	s_wait_alu 0xfffe
	s_or_saveexec_b32 s7, s7
	s_xor_b32 s61, s62, -1
	s_wait_alu 0xfffe
	s_xor_b32 exec_lo, exec_lo, s7
	s_cbranch_execz .LBB84_19
; %bb.14:                               ;   in Loop: Header=BB84_11 Depth=3
	s_and_saveexec_b32 s8, s61
	s_wait_alu 0xfffe
	s_xor_b32 s8, exec_lo, s8
; %bb.15:                               ;   in Loop: Header=BB84_11 Depth=3
	v_dual_mov_b32 v60, v11 :: v_dual_mov_b32 v61, v11
	ds_store_b64 v45, v[60:61]
; %bb.16:                               ;   in Loop: Header=BB84_11 Depth=3
	s_wait_alu 0xfffe
	s_and_not1_saveexec_b32 s8, s8
; %bb.17:                               ;   in Loop: Header=BB84_11 Depth=3
	ds_store_b64 v45, v[10:11]
; %bb.18:                               ;   in Loop: Header=BB84_11 Depth=3
	s_wait_alu 0xfffe
	s_or_b32 exec_lo, exec_lo, s8
.LBB84_19:                              ;   in Loop: Header=BB84_11 Depth=3
	s_delay_alu instid0(SALU_CYCLE_1) | instskip(SKIP_4) | instid1(VALU_DEP_2)
	s_or_b32 exec_lo, exec_lo, s7
	v_add_co_u32 v60, s7, v0, 16
	s_wait_alu 0xf1ff
	v_add_co_ci_u32_e64 v61, null, 0, v1, s7
	v_cmp_eq_u64_e64 s9, s[52:53], v[38:39]
	v_cmp_lt_i64_e64 s8, v[60:61], v[20:21]
	v_cmp_le_i64_e64 s7, s[42:43], v[60:61]
	s_and_b32 s9, s56, s9
	s_or_b32 s8, vcc_lo, s8
	s_wait_alu 0xfffe
	s_or_b32 s8, s7, s8
	s_wait_alu 0xfffe
	s_nor_b32 s8, s8, s9
	s_wait_alu 0xfffe
	s_and_saveexec_b32 s63, s8
	s_delay_alu instid0(SALU_CYCLE_1)
	s_xor_b32 s8, exec_lo, s63
	s_cbranch_execz .LBB84_21
; %bb.20:                               ;   in Loop: Header=BB84_11 Depth=3
	global_load_b64 v[2:3], v[2:3], off offset:128
	s_wait_loadcnt 0x0
	ds_store_b64 v45, v[2:3] offset:128
.LBB84_21:                              ;   in Loop: Header=BB84_11 Depth=3
	s_wait_alu 0xfffe
	s_and_not1_saveexec_b32 s8, s8
	s_cbranch_execz .LBB84_27
; %bb.22:                               ;   in Loop: Header=BB84_11 Depth=3
	s_xor_b32 s9, s9, -1
	s_wait_alu 0xfffe
	s_and_saveexec_b32 s63, s9
	s_delay_alu instid0(SALU_CYCLE_1)
	s_xor_b32 s9, exec_lo, s63
; %bb.23:                               ;   in Loop: Header=BB84_11 Depth=3
	v_dual_mov_b32 v2, v11 :: v_dual_mov_b32 v3, v11
	ds_store_b64 v45, v[2:3] offset:128
; %bb.24:                               ;   in Loop: Header=BB84_11 Depth=3
	s_wait_alu 0xfffe
	s_and_not1_saveexec_b32 s9, s9
; %bb.25:                               ;   in Loop: Header=BB84_11 Depth=3
	ds_store_b64 v45, v[10:11] offset:128
; %bb.26:                               ;   in Loop: Header=BB84_11 Depth=3
	s_wait_alu 0xfffe
	s_or_b32 exec_lo, exec_lo, s9
.LBB84_27:                              ;   in Loop: Header=BB84_11 Depth=3
	s_wait_alu 0xfffe
	s_or_b32 exec_lo, exec_lo, s8
	v_cmp_eq_u64_e64 s8, s[52:53], v[36:37]
	v_cmp_lt_i64_e64 s9, v[0:1], v[34:35]
	s_and_b32 s63, s56, s8
	v_add_co_u32 v0, s8, v26, v32
	s_or_b32 s9, s4, s9
	v_add_co_ci_u32_e64 v1, null, v27, v33, s8
	s_wait_alu 0xfffe
	s_or_b32 s8, s9, s63
	s_wait_alu 0xfffe
	s_nor_b32 s6, s6, s8
	s_wait_alu 0xfffe
	s_and_saveexec_b32 s8, s6
	s_wait_alu 0xfffe
	s_xor_b32 s6, exec_lo, s8
	s_cbranch_execz .LBB84_29
; %bb.28:                               ;   in Loop: Header=BB84_11 Depth=3
	global_load_b64 v[2:3], v[0:1], off
	s_wait_loadcnt 0x0
	ds_store_b64 v45, v[2:3] offset:4096
.LBB84_29:                              ;   in Loop: Header=BB84_11 Depth=3
	s_wait_alu 0xfffe
	s_and_not1_saveexec_b32 s6, s6
	s_cbranch_execz .LBB84_35
; %bb.30:                               ;   in Loop: Header=BB84_11 Depth=3
	s_xor_b32 s8, s63, -1
	s_wait_alu 0xfffe
	s_and_saveexec_b32 s9, s8
	s_wait_alu 0xfffe
	s_xor_b32 s8, exec_lo, s9
; %bb.31:                               ;   in Loop: Header=BB84_11 Depth=3
	v_dual_mov_b32 v2, v11 :: v_dual_mov_b32 v3, v11
	ds_store_b64 v45, v[2:3] offset:4096
; %bb.32:                               ;   in Loop: Header=BB84_11 Depth=3
	s_wait_alu 0xfffe
	s_and_not1_saveexec_b32 s8, s8
; %bb.33:                               ;   in Loop: Header=BB84_11 Depth=3
	ds_store_b64 v45, v[10:11] offset:4096
; %bb.34:                               ;   in Loop: Header=BB84_11 Depth=3
	s_wait_alu 0xfffe
	s_or_b32 exec_lo, exec_lo, s8
.LBB84_35:                              ;   in Loop: Header=BB84_11 Depth=3
	s_wait_alu 0xfffe
	s_or_b32 exec_lo, exec_lo, s6
	s_or_b32 s5, s4, s5
	s_wait_alu 0xfffe
	s_or_b32 s5, s7, s5
	s_wait_alu 0xfffe
	s_nor_b32 s5, s5, s62
	s_wait_alu 0xfffe
	s_and_saveexec_b32 s6, s5
	s_wait_alu 0xfffe
	s_xor_b32 s5, exec_lo, s6
	s_cbranch_execz .LBB84_37
; %bb.36:                               ;   in Loop: Header=BB84_11 Depth=3
	global_load_b64 v[0:1], v[0:1], off offset:128
	s_wait_loadcnt 0x0
	ds_store_b64 v45, v[0:1] offset:4224
.LBB84_37:                              ;   in Loop: Header=BB84_11 Depth=3
	s_wait_alu 0xfffe
	s_and_not1_saveexec_b32 s5, s5
	s_cbranch_execz .LBB84_43
; %bb.38:                               ;   in Loop: Header=BB84_11 Depth=3
	s_and_saveexec_b32 s6, s61
	s_wait_alu 0xfffe
	s_xor_b32 s6, exec_lo, s6
; %bb.39:                               ;   in Loop: Header=BB84_11 Depth=3
	v_dual_mov_b32 v0, v11 :: v_dual_mov_b32 v1, v11
	ds_store_b64 v45, v[0:1] offset:4224
; %bb.40:                               ;   in Loop: Header=BB84_11 Depth=3
	s_wait_alu 0xfffe
	s_and_not1_saveexec_b32 s6, s6
; %bb.41:                               ;   in Loop: Header=BB84_11 Depth=3
	ds_store_b64 v45, v[10:11] offset:4224
; %bb.42:                               ;   in Loop: Header=BB84_11 Depth=3
	s_wait_alu 0xfffe
	s_or_b32 exec_lo, exec_lo, s6
.LBB84_43:                              ;   in Loop: Header=BB84_11 Depth=3
	s_wait_alu 0xfffe
	s_or_b32 exec_lo, exec_lo, s5
	v_add_co_u32 v0, s5, v16, s52
	s_wait_alu 0xf1ff
	v_add_co_ci_u32_e64 v1, null, s53, v17, s5
	v_add_co_u32 v2, s6, v40, v22
	s_wait_alu 0xf1ff
	v_add_co_ci_u32_e64 v3, null, v41, v23, s6
	s_delay_alu instid0(VALU_DEP_3)
	v_cmp_le_i64_e64 s5, s[42:43], v[0:1]
	s_nor_b32 s6, s5, s2
	s_wait_alu 0xfffe
	s_and_saveexec_b32 s7, s6
	s_wait_alu 0xfffe
	s_xor_b32 s6, exec_lo, s7
	s_cbranch_execz .LBB84_45
; %bb.44:                               ;   in Loop: Header=BB84_11 Depth=3
	global_load_b64 v[60:61], v[2:3], off offset:-128
	s_wait_loadcnt 0x0
	ds_store_b64 v46, v[60:61]
.LBB84_45:                              ;   in Loop: Header=BB84_11 Depth=3
	s_wait_alu 0xfffe
	s_and_not1_saveexec_b32 s6, s6
; %bb.46:                               ;   in Loop: Header=BB84_11 Depth=3
	v_dual_mov_b32 v60, v11 :: v_dual_mov_b32 v61, v11
	ds_store_b64 v46, v[60:61]
; %bb.47:                               ;   in Loop: Header=BB84_11 Depth=3
	s_wait_alu 0xfffe
	s_or_b32 exec_lo, exec_lo, s6
	s_nor_b32 s5, s5, s3
	s_wait_alu 0xfffe
	s_and_saveexec_b32 s6, s5
	s_wait_alu 0xfffe
	s_xor_b32 s5, exec_lo, s6
	s_cbranch_execz .LBB84_49
; %bb.48:                               ;   in Loop: Header=BB84_11 Depth=3
	global_load_b64 v[2:3], v[2:3], off
	s_wait_loadcnt 0x0
	ds_store_b64 v46, v[2:3] offset:128
.LBB84_49:                              ;   in Loop: Header=BB84_11 Depth=3
	s_wait_alu 0xfffe
	s_and_not1_saveexec_b32 s5, s5
; %bb.50:                               ;   in Loop: Header=BB84_11 Depth=3
	v_dual_mov_b32 v2, v11 :: v_dual_mov_b32 v3, v11
	ds_store_b64 v46, v[2:3] offset:128
; %bb.51:                               ;   in Loop: Header=BB84_11 Depth=3
	s_wait_alu 0xfffe
	s_or_b32 exec_lo, exec_lo, s5
	v_cmp_le_i64_e64 s5, s[48:49], v[0:1]
	v_add_co_u32 v0, s6, v40, v28
	s_wait_alu 0xf1ff
	v_add_co_ci_u32_e64 v1, null, v41, v29, s6
	s_nor_b32 s6, s5, s2
	s_wait_alu 0xfffe
	s_and_saveexec_b32 s7, s6
	s_wait_alu 0xfffe
	s_xor_b32 s6, exec_lo, s7
	s_cbranch_execz .LBB84_53
; %bb.52:                               ;   in Loop: Header=BB84_11 Depth=3
	global_load_b64 v[2:3], v[0:1], off offset:-128
	s_wait_loadcnt 0x0
	ds_store_b64 v46, v[2:3] offset:4096
.LBB84_53:                              ;   in Loop: Header=BB84_11 Depth=3
	s_wait_alu 0xfffe
	s_and_not1_saveexec_b32 s6, s6
; %bb.54:                               ;   in Loop: Header=BB84_11 Depth=3
	v_dual_mov_b32 v2, v11 :: v_dual_mov_b32 v3, v11
	ds_store_b64 v46, v[2:3] offset:4096
; %bb.55:                               ;   in Loop: Header=BB84_11 Depth=3
	s_wait_alu 0xfffe
	s_or_b32 exec_lo, exec_lo, s6
	s_nor_b32 s5, s5, s3
	s_wait_alu 0xfffe
	s_and_saveexec_b32 s6, s5
	s_wait_alu 0xfffe
	s_xor_b32 s5, exec_lo, s6
	s_cbranch_execz .LBB84_57
; %bb.56:                               ;   in Loop: Header=BB84_11 Depth=3
	global_load_b64 v[0:1], v[0:1], off
	s_wait_loadcnt 0x0
	ds_store_b64 v46, v[0:1] offset:4224
.LBB84_57:                              ;   in Loop: Header=BB84_11 Depth=3
	s_wait_alu 0xfffe
	s_and_not1_saveexec_b32 s5, s5
	s_cbranch_execz .LBB84_10
; %bb.58:                               ;   in Loop: Header=BB84_11 Depth=3
	v_dual_mov_b32 v0, v11 :: v_dual_mov_b32 v1, v11
	ds_store_b64 v46, v[0:1] offset:4224
	s_branch .LBB84_10
.LBB84_59:                              ;   in Loop: Header=BB84_8 Depth=2
	v_dual_mov_b32 v58, 0 :: v_dual_mov_b32 v59, 0
	v_dual_mov_b32 v56, 0 :: v_dual_mov_b32 v57, 0
	;; [unrolled: 1-line block ×4, first 2 shown]
.LBB84_60:                              ;   in Loop: Header=BB84_8 Depth=2
	v_mul_lo_u32 v2, s29, v20
	v_mul_lo_u32 v3, s28, v21
	v_mad_co_u64_u32 v[0:1], null, s28, v20, 0
	v_cmp_gt_i32_e32 vcc_lo, s10, v20
	s_delay_alu instid0(VALU_DEP_2) | instskip(NEXT) | instid1(VALU_DEP_1)
	v_add3_u32 v1, v1, v3, v2
	v_lshlrev_b64_e32 v[0:1], 3, v[0:1]
	s_delay_alu instid0(VALU_DEP_1) | instskip(SKIP_1) | instid1(VALU_DEP_2)
	v_add_co_u32 v0, s4, s38, v0
	s_wait_alu 0xf1ff
	v_add_co_ci_u32_e64 v1, null, s39, v1, s4
	s_and_b32 s4, s0, vcc_lo
	s_wait_alu 0xfffe
	s_and_saveexec_b32 s5, s4
	s_cbranch_execz .LBB84_62
; %bb.61:                               ;   in Loop: Header=BB84_8 Depth=2
	v_add_co_u32 v2, s4, v0, v6
	s_wait_alu 0xf1ff
	v_add_co_ci_u32_e64 v3, null, v1, v7, s4
	v_mul_f32_e32 v17, v59, v13
	v_mul_f32_e32 v19, v59, v12
	global_load_b64 v[21:22], v[2:3], off
	v_fma_f32 v17, v58, v12, -v17
	v_fmac_f32_e32 v19, v58, v13
	s_wait_loadcnt 0x0
	s_delay_alu instid0(VALU_DEP_1)
	v_dual_add_f32 v21, v21, v17 :: v_dual_add_f32 v22, v19, v22
	global_store_b64 v[2:3], v[21:22], off
.LBB84_62:                              ;   in Loop: Header=BB84_8 Depth=2
	s_wait_alu 0xfffe
	s_or_b32 exec_lo, exec_lo, s5
	s_and_b32 s5, s1, vcc_lo
	s_wait_alu 0xfffe
	s_and_saveexec_b32 s4, s5
	s_cbranch_execz .LBB84_64
; %bb.63:                               ;   in Loop: Header=BB84_8 Depth=2
	v_lshlrev_b64_e32 v[2:3], 3, v[4:5]
	v_mul_f32_e32 v17, v57, v13
	s_delay_alu instid0(VALU_DEP_1) | instskip(NEXT) | instid1(VALU_DEP_3)
	v_fma_f32 v17, v56, v12, -v17
	v_add_co_u32 v0, vcc_lo, v0, v2
	s_wait_alu 0xfffd
	s_delay_alu instid0(VALU_DEP_4) | instskip(SKIP_3) | instid1(VALU_DEP_1)
	v_add_co_ci_u32_e64 v1, null, v1, v3, vcc_lo
	global_load_b64 v[2:3], v[0:1], off
	s_wait_loadcnt 0x0
	v_dual_mul_f32 v19, v57, v12 :: v_dual_add_f32 v2, v2, v17
	v_fmac_f32_e32 v19, v56, v13
	s_delay_alu instid0(VALU_DEP_1)
	v_add_f32_e32 v3, v19, v3
	global_store_b64 v[0:1], v[2:3], off
.LBB84_64:                              ;   in Loop: Header=BB84_8 Depth=2
	s_wait_alu 0xfffe
	s_or_b32 exec_lo, exec_lo, s4
	v_add_nc_u32_e32 v2, 16, v20
	s_delay_alu instid0(VALU_DEP_1) | instskip(SKIP_3) | instid1(VALU_DEP_4)
	v_ashrrev_i32_e32 v3, 31, v2
	v_mul_lo_u32 v17, s29, v2
	v_mad_co_u64_u32 v[0:1], null, s28, v2, 0
	v_cmp_gt_i32_e32 vcc_lo, s10, v2
	v_mul_lo_u32 v3, s28, v3
	s_delay_alu instid0(VALU_DEP_1) | instskip(NEXT) | instid1(VALU_DEP_1)
	v_add3_u32 v1, v1, v3, v17
	v_lshlrev_b64_e32 v[0:1], 3, v[0:1]
	s_delay_alu instid0(VALU_DEP_1) | instskip(SKIP_1) | instid1(VALU_DEP_2)
	v_add_co_u32 v0, s4, s38, v0
	s_wait_alu 0xf1ff
	v_add_co_ci_u32_e64 v1, null, s39, v1, s4
	s_and_b32 s4, s0, vcc_lo
	s_wait_alu 0xfffe
	s_and_saveexec_b32 s5, s4
	s_cbranch_execz .LBB84_66
; %bb.65:                               ;   in Loop: Header=BB84_8 Depth=2
	v_add_co_u32 v2, s4, v0, v6
	s_wait_alu 0xf1ff
	v_add_co_ci_u32_e64 v3, null, v1, v7, s4
	v_mul_f32_e32 v21, v55, v12
	global_load_b64 v[19:20], v[2:3], off
	v_fmac_f32_e32 v21, v54, v13
	s_wait_loadcnt 0x0
	s_delay_alu instid0(VALU_DEP_1) | instskip(NEXT) | instid1(VALU_DEP_1)
	v_dual_mul_f32 v17, v55, v13 :: v_dual_add_f32 v20, v21, v20
	v_fma_f32 v17, v54, v12, -v17
	s_delay_alu instid0(VALU_DEP_1)
	v_add_f32_e32 v19, v19, v17
	global_store_b64 v[2:3], v[19:20], off
.LBB84_66:                              ;   in Loop: Header=BB84_8 Depth=2
	s_wait_alu 0xfffe
	s_or_b32 exec_lo, exec_lo, s5
	s_and_b32 s5, s1, vcc_lo
	s_wait_alu 0xfffe
	s_and_saveexec_b32 s4, s5
	s_cbranch_execz .LBB84_7
; %bb.67:                               ;   in Loop: Header=BB84_8 Depth=2
	v_lshlrev_b64_e32 v[2:3], 3, v[4:5]
	v_mul_f32_e32 v17, v52, v13
	s_delay_alu instid0(VALU_DEP_1) | instskip(NEXT) | instid1(VALU_DEP_3)
	v_fma_f32 v17, v53, v12, -v17
	v_add_co_u32 v0, vcc_lo, v0, v2
	s_wait_alu 0xfffd
	s_delay_alu instid0(VALU_DEP_4) | instskip(SKIP_3) | instid1(VALU_DEP_1)
	v_add_co_ci_u32_e64 v1, null, v1, v3, vcc_lo
	global_load_b64 v[2:3], v[0:1], off
	s_wait_loadcnt 0x0
	v_dual_mul_f32 v19, v52, v12 :: v_dual_add_f32 v2, v2, v17
	v_fmac_f32_e32 v19, v53, v13
	s_delay_alu instid0(VALU_DEP_1)
	v_add_f32_e32 v3, v19, v3
	global_store_b64 v[0:1], v[2:3], off
	s_branch .LBB84_7
.LBB84_68:
	s_endpgm
	.section	.rodata,"a",@progbits
	.p2align	6, 0x0
	.amdhsa_kernel _ZL30rocblas_trmm_outofplace_kernelI19rocblas_complex_numIfELi32ELi2ELb0ELb0ELb0ELb0EPKS1_S2_S1_Ev17rocblas_diagonal_iiT6_lPT7_lllS7_lllPT8_llli
		.amdhsa_group_segment_fixed_size 16384
		.amdhsa_private_segment_fixed_size 0
		.amdhsa_kernarg_size 392
		.amdhsa_user_sgpr_count 2
		.amdhsa_user_sgpr_dispatch_ptr 0
		.amdhsa_user_sgpr_queue_ptr 0
		.amdhsa_user_sgpr_kernarg_segment_ptr 1
		.amdhsa_user_sgpr_dispatch_id 0
		.amdhsa_user_sgpr_private_segment_size 0
		.amdhsa_wavefront_size32 1
		.amdhsa_uses_dynamic_stack 0
		.amdhsa_enable_private_segment 0
		.amdhsa_system_sgpr_workgroup_id_x 1
		.amdhsa_system_sgpr_workgroup_id_y 1
		.amdhsa_system_sgpr_workgroup_id_z 1
		.amdhsa_system_sgpr_workgroup_info 0
		.amdhsa_system_vgpr_workitem_id 1
		.amdhsa_next_free_vgpr 94
		.amdhsa_next_free_sgpr 64
		.amdhsa_reserve_vcc 1
		.amdhsa_float_round_mode_32 0
		.amdhsa_float_round_mode_16_64 0
		.amdhsa_float_denorm_mode_32 3
		.amdhsa_float_denorm_mode_16_64 3
		.amdhsa_fp16_overflow 0
		.amdhsa_workgroup_processor_mode 1
		.amdhsa_memory_ordered 1
		.amdhsa_forward_progress 1
		.amdhsa_inst_pref_size 60
		.amdhsa_round_robin_scheduling 0
		.amdhsa_exception_fp_ieee_invalid_op 0
		.amdhsa_exception_fp_denorm_src 0
		.amdhsa_exception_fp_ieee_div_zero 0
		.amdhsa_exception_fp_ieee_overflow 0
		.amdhsa_exception_fp_ieee_underflow 0
		.amdhsa_exception_fp_ieee_inexact 0
		.amdhsa_exception_int_div_zero 0
	.end_amdhsa_kernel
	.section	.text._ZL30rocblas_trmm_outofplace_kernelI19rocblas_complex_numIfELi32ELi2ELb0ELb0ELb0ELb0EPKS1_S2_S1_Ev17rocblas_diagonal_iiT6_lPT7_lllS7_lllPT8_llli,"axG",@progbits,_ZL30rocblas_trmm_outofplace_kernelI19rocblas_complex_numIfELi32ELi2ELb0ELb0ELb0ELb0EPKS1_S2_S1_Ev17rocblas_diagonal_iiT6_lPT7_lllS7_lllPT8_llli,comdat
.Lfunc_end84:
	.size	_ZL30rocblas_trmm_outofplace_kernelI19rocblas_complex_numIfELi32ELi2ELb0ELb0ELb0ELb0EPKS1_S2_S1_Ev17rocblas_diagonal_iiT6_lPT7_lllS7_lllPT8_llli, .Lfunc_end84-_ZL30rocblas_trmm_outofplace_kernelI19rocblas_complex_numIfELi32ELi2ELb0ELb0ELb0ELb0EPKS1_S2_S1_Ev17rocblas_diagonal_iiT6_lPT7_lllS7_lllPT8_llli
                                        ; -- End function
	.set _ZL30rocblas_trmm_outofplace_kernelI19rocblas_complex_numIfELi32ELi2ELb0ELb0ELb0ELb0EPKS1_S2_S1_Ev17rocblas_diagonal_iiT6_lPT7_lllS7_lllPT8_llli.num_vgpr, 94
	.set _ZL30rocblas_trmm_outofplace_kernelI19rocblas_complex_numIfELi32ELi2ELb0ELb0ELb0ELb0EPKS1_S2_S1_Ev17rocblas_diagonal_iiT6_lPT7_lllS7_lllPT8_llli.num_agpr, 0
	.set _ZL30rocblas_trmm_outofplace_kernelI19rocblas_complex_numIfELi32ELi2ELb0ELb0ELb0ELb0EPKS1_S2_S1_Ev17rocblas_diagonal_iiT6_lPT7_lllS7_lllPT8_llli.numbered_sgpr, 64
	.set _ZL30rocblas_trmm_outofplace_kernelI19rocblas_complex_numIfELi32ELi2ELb0ELb0ELb0ELb0EPKS1_S2_S1_Ev17rocblas_diagonal_iiT6_lPT7_lllS7_lllPT8_llli.num_named_barrier, 0
	.set _ZL30rocblas_trmm_outofplace_kernelI19rocblas_complex_numIfELi32ELi2ELb0ELb0ELb0ELb0EPKS1_S2_S1_Ev17rocblas_diagonal_iiT6_lPT7_lllS7_lllPT8_llli.private_seg_size, 0
	.set _ZL30rocblas_trmm_outofplace_kernelI19rocblas_complex_numIfELi32ELi2ELb0ELb0ELb0ELb0EPKS1_S2_S1_Ev17rocblas_diagonal_iiT6_lPT7_lllS7_lllPT8_llli.uses_vcc, 1
	.set _ZL30rocblas_trmm_outofplace_kernelI19rocblas_complex_numIfELi32ELi2ELb0ELb0ELb0ELb0EPKS1_S2_S1_Ev17rocblas_diagonal_iiT6_lPT7_lllS7_lllPT8_llli.uses_flat_scratch, 0
	.set _ZL30rocblas_trmm_outofplace_kernelI19rocblas_complex_numIfELi32ELi2ELb0ELb0ELb0ELb0EPKS1_S2_S1_Ev17rocblas_diagonal_iiT6_lPT7_lllS7_lllPT8_llli.has_dyn_sized_stack, 0
	.set _ZL30rocblas_trmm_outofplace_kernelI19rocblas_complex_numIfELi32ELi2ELb0ELb0ELb0ELb0EPKS1_S2_S1_Ev17rocblas_diagonal_iiT6_lPT7_lllS7_lllPT8_llli.has_recursion, 0
	.set _ZL30rocblas_trmm_outofplace_kernelI19rocblas_complex_numIfELi32ELi2ELb0ELb0ELb0ELb0EPKS1_S2_S1_Ev17rocblas_diagonal_iiT6_lPT7_lllS7_lllPT8_llli.has_indirect_call, 0
	.section	.AMDGPU.csdata,"",@progbits
; Kernel info:
; codeLenInByte = 7576
; TotalNumSgprs: 66
; NumVgprs: 94
; ScratchSize: 0
; MemoryBound: 1
; FloatMode: 240
; IeeeMode: 1
; LDSByteSize: 16384 bytes/workgroup (compile time only)
; SGPRBlocks: 0
; VGPRBlocks: 11
; NumSGPRsForWavesPerEU: 66
; NumVGPRsForWavesPerEU: 94
; Occupancy: 16
; WaveLimiterHint : 0
; COMPUTE_PGM_RSRC2:SCRATCH_EN: 0
; COMPUTE_PGM_RSRC2:USER_SGPR: 2
; COMPUTE_PGM_RSRC2:TRAP_HANDLER: 0
; COMPUTE_PGM_RSRC2:TGID_X_EN: 1
; COMPUTE_PGM_RSRC2:TGID_Y_EN: 1
; COMPUTE_PGM_RSRC2:TGID_Z_EN: 1
; COMPUTE_PGM_RSRC2:TIDIG_COMP_CNT: 1
	.section	.text._ZL30rocblas_trmm_outofplace_kernelI19rocblas_complex_numIfELi32ELi2ELb0ELb0ELb0ELb0ES1_KS1_S1_Ev17rocblas_diagonal_iiT6_lPT7_lllS6_lllPT8_llli,"axG",@progbits,_ZL30rocblas_trmm_outofplace_kernelI19rocblas_complex_numIfELi32ELi2ELb0ELb0ELb0ELb0ES1_KS1_S1_Ev17rocblas_diagonal_iiT6_lPT7_lllS6_lllPT8_llli,comdat
	.globl	_ZL30rocblas_trmm_outofplace_kernelI19rocblas_complex_numIfELi32ELi2ELb0ELb0ELb0ELb0ES1_KS1_S1_Ev17rocblas_diagonal_iiT6_lPT7_lllS6_lllPT8_llli ; -- Begin function _ZL30rocblas_trmm_outofplace_kernelI19rocblas_complex_numIfELi32ELi2ELb0ELb0ELb0ELb0ES1_KS1_S1_Ev17rocblas_diagonal_iiT6_lPT7_lllS6_lllPT8_llli
	.p2align	8
	.type	_ZL30rocblas_trmm_outofplace_kernelI19rocblas_complex_numIfELi32ELi2ELb0ELb0ELb0ELb0ES1_KS1_S1_Ev17rocblas_diagonal_iiT6_lPT7_lllS6_lllPT8_llli,@function
_ZL30rocblas_trmm_outofplace_kernelI19rocblas_complex_numIfELi32ELi2ELb0ELb0ELb0ELb0ES1_KS1_S1_Ev17rocblas_diagonal_iiT6_lPT7_lllS6_lllPT8_llli: ; @_ZL30rocblas_trmm_outofplace_kernelI19rocblas_complex_numIfELi32ELi2ELb0ELb0ELb0ELb0ES1_KS1_S1_Ev17rocblas_diagonal_iiT6_lPT7_lllS6_lllPT8_llli
; %bb.0:
	s_load_b32 s33, s[0:1], 0x80
	s_lshr_b32 s34, ttmp7, 16
	s_wait_kmcnt 0x0
	s_cmp_ge_u32 s34, s33
	s_cbranch_scc1 .LBB85_67
; %bb.1:
	s_load_b64 s[40:41], s[0:1], 0xc
	s_mov_b32 s35, 0
	s_wait_kmcnt 0x0
	s_or_b32 s2, s40, s41
	s_delay_alu instid0(SALU_CYCLE_1) | instskip(NEXT) | instid1(SALU_CYCLE_1)
	s_bitset0_b32 s2, 31
	s_cmp_eq_u32 s2, 0
	s_cbranch_scc1 .LBB85_67
; %bb.2:
	s_clause 0x1
	s_load_b96 s[36:38], s[0:1], 0x0
	s_load_b512 s[8:23], s[0:1], 0x20
	s_add_nc_u64 s[42:43], s[0:1], 0x88
	s_load_b256 s[24:31], s[0:1], 0x60
	v_dual_mov_b32 v11, 0 :: v_dual_and_b32 v6, 0x3ff, v0
	v_bfe_u32 v40, v0, 10, 10
	s_and_b32 s39, ttmp7, 0xffff
	v_mov_b32_e32 v10, 1.0
	s_delay_alu instid0(VALU_DEP_3) | instskip(SKIP_2) | instid1(VALU_DEP_3)
	v_lshl_add_u32 v0, ttmp9, 5, v6
	v_lshlrev_b32_e32 v2, 3, v6
	v_lshlrev_b32_e32 v41, 8, v40
	v_ashrrev_i32_e32 v1, 31, v0
	s_delay_alu instid0(VALU_DEP_3) | instskip(NEXT) | instid1(VALU_DEP_3)
	v_or_b32_e32 v42, 0x2000, v2
	v_add_nc_u32_e32 v43, v41, v2
	v_add_nc_u32_e32 v4, 16, v0
	s_delay_alu instid0(VALU_DEP_3)
	v_add_nc_u32_e32 v44, v42, v41
	s_wait_kmcnt 0x0
	s_add_co_i32 s0, s38, -1
	v_sub_co_u32 v2, vcc_lo, s37, v0
	s_wait_alu 0xfffe
	s_ashr_i32 s1, s0, 31
	v_ashrrev_i32_e32 v5, 31, v4
	s_wait_alu 0xfffe
	s_lshr_b32 s1, s1, 27
	v_add_nc_u32_e32 v47, 0x800, v42
	s_wait_alu 0xfffe
	s_add_co_i32 s0, s0, s1
	v_cmp_gt_i32_e64 s1, s37, v4
	s_wait_alu 0xfffe
	s_ashr_i32 s52, s0, 5
	v_cmp_gt_i32_e64 s0, s37, v0
	s_cmp_le_i32 s39, s52
	v_add_nc_u32_e32 v48, 0x1000, v42
	s_cselect_b32 s53, -1, 0
	s_cmp_eq_u32 s36, 0x84
	v_add_nc_u32_e32 v49, 0x1800, v42
	s_cselect_b32 s54, -1, 0
	s_ashr_i32 s4, s37, 31
	s_lshl_b64 s[2:3], s[26:27], 3
	v_sub_co_ci_u32_e64 v3, null, s4, v1, vcc_lo
	s_lshl_b32 s4, s39, 5
	s_add_nc_u64 s[24:25], s[24:25], s[2:3]
	s_wait_alu 0xfffe
	v_add_nc_u32_e32 v45, s4, v6
	v_lshlrev_b64_e32 v[6:7], 3, v[0:1]
	v_add_nc_u32_e32 v46, s4, v40
	s_lshl_b64 s[4:5], s[18:19], 3
	v_cmp_gt_i64_e64 s2, 1, v[2:3]
	s_wait_alu 0xfffe
	s_add_nc_u64 s[4:5], s[16:17], s[4:5]
	v_cmp_gt_i64_e64 s3, 17, v[2:3]
	s_wait_alu 0xfffe
	v_add_co_u32 v8, vcc_lo, s4, v6
	s_wait_alu 0xfffd
	v_add_co_ci_u32_e64 v9, null, s5, v7, vcc_lo
	s_mov_b32 s44, s38
	s_ashr_i32 s45, s38, 31
	s_lshl_b64 s[4:5], s[10:11], 3
	s_lshl_b64 s[46:47], s[20:21], 8
	s_add_nc_u64 s[26:27], s[44:45], -16
	s_lshl_b64 s[18:19], s[20:21], 3
	s_lshl_b64 s[16:17], s[22:23], 3
	s_wait_alu 0xfffe
	s_add_nc_u64 s[10:11], s[8:9], s[4:5]
	s_lshl_b64 s[14:15], s[14:15], 3
	s_lshl_b64 s[22:23], s[12:13], 3
	s_branch .LBB85_4
.LBB85_3:                               ;   in Loop: Header=BB85_4 Depth=1
	s_add_co_i32 s34, s34, 0x10000
	s_wait_alu 0xfffe
	s_cmp_ge_u32 s34, s33
	s_cbranch_scc1 .LBB85_67
.LBB85_4:                               ; =>This Loop Header: Depth=1
                                        ;     Child Loop BB85_7 Depth 2
                                        ;       Child Loop BB85_10 Depth 3
	s_and_not1_b32 vcc_lo, exec_lo, s53
	s_wait_alu 0xfffe
	s_cbranch_vccnz .LBB85_3
; %bb.5:                                ;   in Loop: Header=BB85_4 Depth=1
	v_mad_co_u64_u32 v[12:13], null, s16, s34, v[8:9]
	s_load_b32 s55, s[42:43], 0x4
	s_mul_u64 s[4:5], s[30:31], s[34:35]
	v_mov_b32_e32 v16, v45
	s_mul_u64 s[6:7], s[14:15], s[34:35]
	s_wait_alu 0xfffe
	s_lshl_b64 s[4:5], s[4:5], 3
	s_add_nc_u64 s[48:49], s[10:11], s[6:7]
	v_mov_b32_e32 v0, v13
	s_wait_alu 0xfffe
	s_add_nc_u64 s[36:37], s[24:25], s[4:5]
	s_mov_b32 s57, s39
	s_delay_alu instid0(VALU_DEP_1) | instskip(NEXT) | instid1(VALU_DEP_1)
	v_mad_co_u64_u32 v[0:1], null, s17, s34, v[0:1]
	v_dual_mov_b32 v14, v46 :: v_dual_mov_b32 v13, v0
	s_wait_kmcnt 0x0
	s_lshl_b32 s56, s55, 5
	s_branch .LBB85_7
.LBB85_6:                               ;   in Loop: Header=BB85_7 Depth=2
	s_wait_alu 0xfffe
	s_or_b32 exec_lo, exec_lo, s4
	v_add_nc_u32_e32 v16, s56, v16
	v_add_nc_u32_e32 v14, s56, v14
	s_add_co_i32 s57, s55, s57
	s_wait_alu 0xfffe
	s_cmp_gt_i32 s57, s52
	s_cbranch_scc1 .LBB85_3
.LBB85_7:                               ;   Parent Loop BB85_4 Depth=1
                                        ; =>  This Loop Header: Depth=2
                                        ;       Child Loop BB85_10 Depth 3
	s_wait_alu 0xfffe
	s_lshl_b32 s4, s57, 5
	v_ashrrev_i32_e32 v17, 31, v16
	s_wait_alu 0xfffe
	v_add_nc_u32_e32 v18, s4, v40
	v_ashrrev_i32_e32 v15, 31, v14
	s_sub_co_i32 s58, s38, s4
	s_delay_alu instid0(SALU_CYCLE_1) | instskip(NEXT) | instid1(VALU_DEP_2)
	s_cmp_lt_i32 s58, 1
	v_ashrrev_i32_e32 v19, 31, v18
	s_cbranch_scc1 .LBB85_58
; %bb.8:                                ;   in Loop: Header=BB85_7 Depth=2
	v_lshlrev_b64_e32 v[0:1], 3, v[14:15]
	v_mad_co_u64_u32 v[20:21], null, s18, v14, 0x80
	v_mul_lo_u32 v2, s18, v15
	v_mul_lo_u32 v3, s19, v14
	v_mad_co_u64_u32 v[28:29], null, s22, v14, s[48:49]
	v_add_co_u32 v0, vcc_lo, 0x80, v0
	s_wait_alu 0xfffd
	v_add_co_ci_u32_e64 v1, null, 0, v1, vcc_lo
	v_sub_co_u32 v22, vcc_lo, v14, v16
	v_add3_u32 v21, v3, v21, v2
	s_delay_alu instid0(VALU_DEP_3)
	v_mul_lo_u32 v2, s12, v1
	v_mul_lo_u32 v1, s20, v1
	v_mul_lo_u32 v34, s21, v0
	v_mad_co_u64_u32 v[26:27], null, s20, v0, 0x80
	v_mul_lo_u32 v3, s13, v0
	v_mad_co_u64_u32 v[24:25], null, s12, v0, s[48:49]
	v_mul_lo_u32 v0, s22, v15
	v_mul_lo_u32 v35, s23, v14
	s_wait_alu 0xfffd
	v_sub_co_ci_u32_e64 v23, null, v15, v17, vcc_lo
	v_add_co_u32 v32, vcc_lo, v18, 16
	s_wait_alu 0xfffd
	v_add_co_ci_u32_e64 v33, null, 0, v19, vcc_lo
	v_add3_u32 v27, v34, v27, v1
	v_add_co_u32 v34, s5, v22, 16
	v_add3_u32 v29, v35, v29, v0
	s_wait_alu 0xf1ff
	v_add_co_ci_u32_e64 v35, null, 0, v23, s5
	v_add_co_u32 v36, s5, v22, -16
	v_lshlrev_b64_e32 v[30:31], 3, v[16:17]
	v_cmp_le_i64_e64 s4, s[44:45], v[32:33]
	v_dual_mov_b32 v50, 0 :: v_dual_mov_b32 v39, v13
	v_add3_u32 v25, v3, v25, v2
	s_wait_alu 0xf1ff
	v_add_co_ci_u32_e64 v37, null, -1, v23, s5
	v_dual_mov_b32 v38, v12 :: v_dual_mov_b32 v51, 0
	v_dual_mov_b32 v53, 0 :: v_dual_mov_b32 v52, 0
	;; [unrolled: 1-line block ×4, first 2 shown]
	s_mov_b64 s[50:51], 0
	v_cmp_le_i32_e32 vcc_lo, s38, v18
	s_branch .LBB85_10
.LBB85_9:                               ;   in Loop: Header=BB85_10 Depth=3
	s_wait_alu 0xfffe
	s_or_b32 exec_lo, exec_lo, s5
	s_wait_dscnt 0x0
	s_barrier_signal -1
	s_barrier_wait -1
	global_inv scope:SCOPE_SE
	ds_load_b128 v[58:61], v41
	ds_load_2addr_b64 v[62:65], v42 offset1:16
	ds_load_b128 v[66:69], v41 offset:4096
	ds_load_b128 v[70:73], v41 offset:16
	;; [unrolled: 1-line block ×4, first 2 shown]
	ds_load_2addr_b64 v[78:81], v42 offset0:32 offset1:48
	ds_load_b128 v[82:85], v41 offset:4112
	v_add_co_u32 v38, s5, v38, s46
	s_wait_alu 0xf1ff
	v_add_co_ci_u32_e64 v39, null, s47, v39, s5
	v_add_co_u32 v24, s5, 0x100, v24
	s_wait_alu 0xf1ff
	v_add_co_ci_u32_e64 v25, null, 0, v25, s5
	;; [unrolled: 3-line block ×3, first 2 shown]
	s_add_nc_u64 s[50:51], s[50:51], 32
	s_wait_dscnt 0x6
	v_dual_mul_f32 v86, v59, v63 :: v_dual_mul_f32 v89, v58, v65
	v_dual_mul_f32 v87, v58, v63 :: v_dual_mul_f32 v88, v59, v65
	s_wait_dscnt 0x5
	v_mul_f32_e32 v90, v67, v63
	s_delay_alu instid0(VALU_DEP_3)
	v_fma_f32 v86, v58, v62, -v86
	v_mul_f32_e32 v63, v66, v63
	v_fmac_f32_e32 v87, v59, v62
	v_fma_f32 v58, v58, v64, -v88
	v_mul_f32_e32 v91, v67, v65
	v_mul_f32_e32 v65, v66, v65
	v_fmac_f32_e32 v89, v59, v64
	v_fma_f32 v59, v66, v62, -v90
	v_add_f32_e32 v56, v56, v86
	s_delay_alu instid0(VALU_DEP_4)
	v_dual_add_f32 v58, v54, v58 :: v_dual_fmac_f32 v65, v67, v64
	v_fmac_f32_e32 v63, v67, v62
	v_fma_f32 v62, v66, v64, -v91
	s_wait_dscnt 0x1
	v_mul_f32_e32 v66, v61, v79
	v_mul_f32_e32 v64, v60, v79
	v_add_f32_e32 v57, v57, v87
	v_add_f32_e32 v55, v55, v89
	;; [unrolled: 1-line block ×3, first 2 shown]
	v_fma_f32 v66, v60, v78, -v66
	v_dual_add_f32 v50, v50, v65 :: v_dual_add_f32 v63, v53, v63
	v_dual_fmac_f32 v64, v61, v78 :: v_dual_add_f32 v59, v52, v59
	ds_load_2addr_b64 v[51:54], v42 offset0:64 offset1:80
	v_mul_f32_e32 v67, v61, v81
	v_mul_f32_e32 v65, v60, v81
	v_add_f32_e32 v66, v56, v66
	v_dual_add_f32 v64, v57, v64 :: v_dual_mul_f32 v57, v68, v79
	s_delay_alu instid0(VALU_DEP_4)
	v_fma_f32 v56, v60, v80, -v67
	v_mul_f32_e32 v60, v69, v79
	v_fmac_f32_e32 v65, v61, v80
	s_wait_alu 0xfffe
	s_cmp_ge_i32 s50, s58
	v_add_f32_e32 v61, v58, v56
	v_fma_f32 v56, v68, v78, -v60
	v_mul_f32_e32 v58, v69, v81
	v_add_f32_e32 v60, v55, v65
	v_mul_f32_e32 v65, v68, v81
	s_delay_alu instid0(VALU_DEP_3) | instskip(SKIP_2) | instid1(VALU_DEP_2)
	v_fma_f32 v55, v68, v80, -v58
	s_wait_dscnt 0x0
	v_mul_f32_e32 v67, v70, v52
	v_add_f32_e32 v62, v62, v55
	s_delay_alu instid0(VALU_DEP_2) | instskip(SKIP_2) | instid1(VALU_DEP_3)
	v_fmac_f32_e32 v67, v71, v51
	v_add_f32_e32 v59, v59, v56
	v_mul_f32_e32 v56, v71, v52
	v_dual_add_f32 v64, v64, v67 :: v_dual_mul_f32 v67, v83, v52
	s_delay_alu instid0(VALU_DEP_2) | instskip(SKIP_2) | instid1(VALU_DEP_2)
	v_fma_f32 v68, v70, v51, -v56
	v_dual_fmac_f32 v57, v69, v78 :: v_dual_mul_f32 v52, v82, v52
	v_fmac_f32_e32 v65, v69, v80
	v_dual_add_f32 v66, v66, v68 :: v_dual_add_f32 v63, v63, v57
	ds_load_2addr_b64 v[55:58], v42 offset0:96 offset1:112
	v_mul_f32_e32 v69, v71, v54
	v_dual_add_f32 v65, v50, v65 :: v_dual_fmac_f32 v52, v83, v51
	v_mul_f32_e32 v50, v70, v54
	s_delay_alu instid0(VALU_DEP_3) | instskip(NEXT) | instid1(VALU_DEP_1)
	v_fma_f32 v68, v70, v53, -v69
	v_dual_fmac_f32 v50, v71, v53 :: v_dual_add_f32 v61, v61, v68
	v_mul_f32_e32 v68, v83, v54
	v_mul_f32_e32 v54, v82, v54
	s_delay_alu instid0(VALU_DEP_3) | instskip(NEXT) | instid1(VALU_DEP_3)
	v_add_f32_e32 v60, v60, v50
	v_fma_f32 v50, v82, v53, -v68
	s_delay_alu instid0(VALU_DEP_3) | instskip(NEXT) | instid1(VALU_DEP_2)
	v_fmac_f32_e32 v54, v83, v53
	v_add_f32_e32 v68, v62, v50
	v_fma_f32 v67, v82, v51, -v67
	s_wait_dscnt 0x0
	v_mul_f32_e32 v62, v72, v56
	v_add_f32_e32 v63, v63, v52
	ds_load_2addr_b64 v[50:53], v42 offset0:128 offset1:144
	v_add_f32_e32 v65, v65, v54
	v_dual_add_f32 v67, v59, v67 :: v_dual_mul_f32 v54, v72, v58
	v_fmac_f32_e32 v62, v73, v55
	v_mul_f32_e32 v59, v73, v56
	s_delay_alu instid0(VALU_DEP_3) | instskip(NEXT) | instid1(VALU_DEP_3)
	v_fmac_f32_e32 v54, v73, v57
	v_add_f32_e32 v64, v64, v62
	s_delay_alu instid0(VALU_DEP_3) | instskip(NEXT) | instid1(VALU_DEP_1)
	v_fma_f32 v59, v72, v55, -v59
	v_dual_mul_f32 v69, v73, v58 :: v_dual_add_f32 v66, v66, v59
	s_delay_alu instid0(VALU_DEP_1)
	v_fma_f32 v69, v72, v57, -v69
	v_mul_f32_e32 v59, v85, v56
	v_mul_f32_e32 v56, v84, v56
	v_add_f32_e32 v71, v60, v54
	v_mul_f32_e32 v54, v85, v58
	v_mul_f32_e32 v58, v84, v58
	v_fma_f32 v70, v84, v55, -v59
	v_fmac_f32_e32 v56, v85, v55
	v_add_f32_e32 v69, v61, v69
	ds_load_b128 v[59:62], v41 offset:4128
	s_wait_dscnt 0x1
	v_mul_f32_e32 v55, v75, v51
	v_fma_f32 v54, v84, v57, -v54
	v_add_f32_e32 v67, v67, v70
	v_dual_add_f32 v70, v63, v56 :: v_dual_mul_f32 v63, v74, v51
	v_fmac_f32_e32 v58, v85, v57
	s_delay_alu instid0(VALU_DEP_4)
	v_dual_add_f32 v68, v68, v54 :: v_dual_mul_f32 v73, v75, v53
	v_fma_f32 v72, v74, v50, -v55
	ds_load_2addr_b64 v[54:57], v42 offset0:160 offset1:176
	v_fmac_f32_e32 v63, v75, v50
	v_fma_f32 v73, v74, v52, -v73
	v_add_f32_e32 v72, v66, v72
	s_delay_alu instid0(VALU_DEP_3)
	v_dual_add_f32 v58, v65, v58 :: v_dual_add_f32 v79, v64, v63
	ds_load_b128 v[63:66], v41 offset:4144
	v_mul_f32_e32 v78, v74, v53
	s_wait_dscnt 0x2
	v_dual_add_f32 v69, v69, v73 :: v_dual_mul_f32 v74, v60, v51
	v_mul_f32_e32 v51, v59, v51
	s_delay_alu instid0(VALU_DEP_3) | instskip(SKIP_1) | instid1(VALU_DEP_4)
	v_dual_mul_f32 v73, v60, v53 :: v_dual_fmac_f32 v78, v75, v52
	v_mul_f32_e32 v75, v59, v53
	v_fma_f32 v74, v59, v50, -v74
	s_delay_alu instid0(VALU_DEP_3) | instskip(NEXT) | instid1(VALU_DEP_3)
	v_add_f32_e32 v71, v71, v78
	v_fmac_f32_e32 v75, v60, v52
	v_fmac_f32_e32 v51, v60, v50
	v_fma_f32 v50, v59, v52, -v73
	s_wait_dscnt 0x1
	v_mul_f32_e32 v53, v77, v55
	v_dual_add_f32 v59, v67, v74 :: v_dual_mul_f32 v74, v62, v55
	v_add_f32_e32 v58, v58, v75
	v_add_f32_e32 v60, v68, v50
	v_mul_f32_e32 v68, v76, v55
	v_add_f32_e32 v67, v70, v51
	v_fma_f32 v70, v76, v54, -v53
	ds_load_2addr_b64 v[50:53], v42 offset0:192 offset1:208
	v_mul_f32_e32 v55, v61, v55
	v_fmac_f32_e32 v68, v77, v54
	v_dual_mul_f32 v73, v77, v57 :: v_dual_add_f32 v70, v72, v70
	s_delay_alu instid0(VALU_DEP_3) | instskip(NEXT) | instid1(VALU_DEP_3)
	v_dual_mul_f32 v72, v76, v57 :: v_dual_fmac_f32 v55, v62, v54
	v_add_f32_e32 v68, v79, v68
	s_delay_alu instid0(VALU_DEP_3) | instskip(NEXT) | instid1(VALU_DEP_3)
	v_fma_f32 v73, v76, v56, -v73
	v_fmac_f32_e32 v72, v77, v56
	s_delay_alu instid0(VALU_DEP_1) | instskip(NEXT) | instid1(VALU_DEP_3)
	v_dual_add_f32 v71, v71, v72 :: v_dual_mul_f32 v72, v61, v57
	v_add_f32_e32 v69, v69, v73
	v_fma_f32 v73, v61, v54, -v74
	v_mul_f32_e32 v54, v62, v57
	s_wait_dscnt 0x0
	v_mul_f32_e32 v74, v0, v53
	v_fmac_f32_e32 v72, v62, v56
	v_dual_mul_f32 v62, v0, v51 :: v_dual_add_f32 v59, v59, v73
	v_fma_f32 v61, v61, v56, -v54
	v_add_f32_e32 v67, v67, v55
	v_mul_f32_e32 v73, v1, v51
	ds_load_2addr_b64 v[54:57], v42 offset0:224 offset1:240
	v_fmac_f32_e32 v62, v1, v50
	v_add_f32_e32 v60, v60, v61
	v_fmac_f32_e32 v74, v1, v52
	v_fma_f32 v61, v0, v50, -v73
	v_dual_mul_f32 v73, v1, v53 :: v_dual_add_f32 v72, v58, v72
	v_mul_f32_e32 v1, v64, v51
	s_delay_alu instid0(VALU_DEP_3) | instskip(NEXT) | instid1(VALU_DEP_3)
	v_dual_mul_f32 v51, v63, v51 :: v_dual_add_f32 v70, v70, v61
	v_fma_f32 v0, v0, v52, -v73
	v_add_f32_e32 v62, v68, v62
	s_delay_alu instid0(VALU_DEP_4) | instskip(NEXT) | instid1(VALU_DEP_4)
	v_fma_f32 v1, v63, v50, -v1
	v_fmac_f32_e32 v51, v64, v50
	v_mul_f32_e32 v58, v64, v53
	v_dual_add_f32 v0, v69, v0 :: v_dual_mul_f32 v69, v63, v53
	v_add_f32_e32 v68, v71, v74
	s_delay_alu instid0(VALU_DEP_4) | instskip(NEXT) | instid1(VALU_DEP_4)
	v_add_f32_e32 v67, v67, v51
	v_fma_f32 v50, v63, v52, -v58
	s_wait_dscnt 0x0
	v_mul_f32_e32 v53, v3, v55
	v_add_f32_e32 v63, v59, v1
	v_dual_fmac_f32 v69, v64, v52 :: v_dual_mul_f32 v64, v2, v55
	v_add_f32_e32 v71, v60, v50
	s_delay_alu instid0(VALU_DEP_4)
	v_fma_f32 v1, v2, v54, -v53
	v_mul_f32_e32 v73, v3, v57
	ds_load_b128 v[50:53], v41 offset:64
	ds_load_2addr_b64 v[58:61], v47 offset1:16
	v_dual_add_f32 v69, v72, v69 :: v_dual_fmac_f32 v64, v3, v54
	v_mul_f32_e32 v72, v2, v57
	v_add_f32_e32 v70, v70, v1
	v_fma_f32 v1, v2, v56, -v73
	v_mul_f32_e32 v2, v66, v55
	v_add_f32_e32 v73, v62, v64
	v_dual_mul_f32 v55, v65, v55 :: v_dual_fmac_f32 v72, v3, v56
	s_delay_alu instid0(VALU_DEP_4) | instskip(NEXT) | instid1(VALU_DEP_4)
	v_add_f32_e32 v74, v0, v1
	v_fma_f32 v62, v65, v54, -v2
	ds_load_b128 v[0:3], v41 offset:4160
	v_mul_f32_e32 v64, v66, v57
	v_dual_fmac_f32 v55, v66, v54 :: v_dual_add_f32 v72, v68, v72
	v_dual_add_f32 v75, v63, v62 :: v_dual_mul_f32 v68, v65, v57
	s_delay_alu instid0(VALU_DEP_3) | instskip(SKIP_1) | instid1(VALU_DEP_3)
	v_fma_f32 v54, v65, v56, -v64
	s_wait_dscnt 0x1
	v_dual_add_f32 v76, v67, v55 :: v_dual_mul_f32 v79, v50, v61
	v_mul_f32_e32 v57, v51, v59
	v_mul_f32_e32 v67, v50, v59
	v_dual_fmac_f32 v68, v66, v56 :: v_dual_add_f32 v71, v71, v54
	ds_load_b128 v[62:65], v41 offset:80
	v_fma_f32 v66, v50, v58, -v57
	ds_load_2addr_b64 v[54:57], v47 offset0:32 offset1:48
	v_mul_f32_e32 v77, v51, v61
	v_dual_fmac_f32 v67, v51, v58 :: v_dual_add_f32 v78, v69, v68
	v_dual_add_f32 v70, v70, v66 :: v_dual_fmac_f32 v79, v51, v60
	s_delay_alu instid0(VALU_DEP_3)
	v_fma_f32 v50, v50, v60, -v77
	s_wait_dscnt 0x2
	v_mul_f32_e32 v77, v1, v59
	v_add_f32_e32 v73, v73, v67
	ds_load_b128 v[66:69], v41 offset:4176
	v_add_f32_e32 v50, v74, v50
	v_fma_f32 v74, v0, v58, -v77
	s_delay_alu instid0(VALU_DEP_1) | instskip(NEXT) | instid1(VALU_DEP_1)
	v_dual_mul_f32 v77, v0, v61 :: v_dual_add_f32 v74, v75, v74
	v_fmac_f32_e32 v77, v1, v60
	v_mul_f32_e32 v51, v0, v59
	s_wait_dscnt 0x1
	v_mul_f32_e32 v75, v53, v57
	s_delay_alu instid0(VALU_DEP_2) | instskip(SKIP_2) | instid1(VALU_DEP_2)
	v_fmac_f32_e32 v51, v1, v58
	v_mul_f32_e32 v58, v53, v55
	v_dual_mul_f32 v59, v1, v61 :: v_dual_add_f32 v72, v72, v79
	v_fma_f32 v1, v52, v54, -v58
	s_delay_alu instid0(VALU_DEP_2)
	v_fma_f32 v0, v0, v60, -v59
	ds_load_2addr_b64 v[58:61], v47 offset0:64 offset1:80
	v_dual_add_f32 v70, v70, v1 :: v_dual_add_f32 v71, v71, v0
	v_mul_f32_e32 v0, v52, v55
	v_add_f32_e32 v51, v76, v51
	v_mul_f32_e32 v1, v52, v57
	v_fma_f32 v52, v52, v56, -v75
	s_delay_alu instid0(VALU_DEP_4) | instskip(NEXT) | instid1(VALU_DEP_2)
	v_dual_mul_f32 v75, v3, v55 :: v_dual_fmac_f32 v0, v53, v54
	v_add_f32_e32 v50, v50, v52
	s_delay_alu instid0(VALU_DEP_2) | instskip(NEXT) | instid1(VALU_DEP_3)
	v_dual_mul_f32 v52, v3, v57 :: v_dual_add_f32 v73, v73, v0
	v_fma_f32 v0, v2, v54, -v75
	v_add_f32_e32 v76, v78, v77
	s_delay_alu instid0(VALU_DEP_3) | instskip(SKIP_1) | instid1(VALU_DEP_1)
	v_fma_f32 v52, v2, v56, -v52
	v_mul_f32_e32 v55, v2, v55
	v_dual_fmac_f32 v55, v3, v54 :: v_dual_mul_f32 v54, v2, v57
	s_delay_alu instid0(VALU_DEP_3) | instskip(SKIP_2) | instid1(VALU_DEP_3)
	v_add_f32_e32 v52, v71, v52
	s_wait_dscnt 0x0
	v_mul_f32_e32 v71, v63, v61
	v_add_f32_e32 v51, v51, v55
	v_mul_f32_e32 v55, v63, v59
	v_fmac_f32_e32 v54, v3, v56
	v_dual_fmac_f32 v1, v53, v56 :: v_dual_mul_f32 v56, v62, v59
	v_add_f32_e32 v57, v74, v0
	s_delay_alu instid0(VALU_DEP_4) | instskip(NEXT) | instid1(VALU_DEP_4)
	v_fma_f32 v55, v62, v58, -v55
	v_add_f32_e32 v74, v76, v54
	v_fma_f32 v54, v62, v60, -v71
	v_dual_fmac_f32 v56, v63, v58 :: v_dual_add_f32 v53, v72, v1
	s_delay_alu instid0(VALU_DEP_4) | instskip(SKIP_4) | instid1(VALU_DEP_3)
	v_add_f32_e32 v70, v70, v55
	ds_load_2addr_b64 v[0:3], v47 offset0:96 offset1:112
	v_mul_f32_e32 v72, v62, v61
	v_dual_add_f32 v62, v73, v56 :: v_dual_mul_f32 v55, v67, v59
	v_mul_f32_e32 v56, v66, v59
	v_dual_add_f32 v59, v50, v54 :: v_dual_fmac_f32 v72, v63, v60
	v_mul_f32_e32 v50, v67, v61
	s_delay_alu instid0(VALU_DEP_2) | instskip(SKIP_2) | instid1(VALU_DEP_4)
	v_dual_fmac_f32 v56, v67, v58 :: v_dual_add_f32 v63, v53, v72
	v_fma_f32 v53, v66, v58, -v55
	v_mul_f32_e32 v58, v66, v61
	v_fma_f32 v50, v66, v60, -v50
	s_delay_alu instid0(VALU_DEP_3) | instskip(NEXT) | instid1(VALU_DEP_2)
	v_add_f32_e32 v66, v57, v53
	v_dual_fmac_f32 v58, v67, v60 :: v_dual_add_f32 v67, v52, v50
	s_wait_dscnt 0x0
	v_mul_f32_e32 v54, v65, v1
	v_mul_f32_e32 v61, v64, v1
	v_dual_add_f32 v71, v51, v56 :: v_dual_mul_f32 v72, v65, v3
	v_dual_add_f32 v73, v74, v58 :: v_dual_mul_f32 v58, v64, v3
	s_delay_alu instid0(VALU_DEP_4)
	v_fma_f32 v60, v64, v0, -v54
	ds_load_b128 v[50:53], v41 offset:96
	ds_load_2addr_b64 v[54:57], v47 offset0:128 offset1:144
	v_fmac_f32_e32 v61, v65, v0
	v_fmac_f32_e32 v58, v65, v2
	v_add_f32_e32 v70, v70, v60
	v_fma_f32 v60, v64, v2, -v72
	v_mul_f32_e32 v64, v69, v1
	v_mul_f32_e32 v1, v68, v1
	v_dual_add_f32 v72, v62, v61 :: v_dual_add_f32 v75, v63, v58
	s_delay_alu instid0(VALU_DEP_3) | instskip(NEXT) | instid1(VALU_DEP_3)
	v_fma_f32 v62, v68, v0, -v64
	v_fmac_f32_e32 v1, v69, v0
	v_mul_f32_e32 v64, v69, v3
	s_delay_alu instid0(VALU_DEP_2) | instskip(NEXT) | instid1(VALU_DEP_2)
	v_dual_add_f32 v76, v66, v62 :: v_dual_add_f32 v71, v71, v1
	v_fma_f32 v0, v68, v2, -v64
	v_mul_f32_e32 v66, v68, v3
	s_wait_dscnt 0x0
	v_mul_f32_e32 v3, v51, v55
	ds_load_b128 v[62:65], v41 offset:112
	v_dual_mul_f32 v68, v50, v55 :: v_dual_add_f32 v77, v67, v0
	v_fmac_f32_e32 v66, v69, v2
	v_add_f32_e32 v74, v59, v60
	ds_load_b128 v[58:61], v41 offset:4192
	v_fma_f32 v67, v50, v54, -v3
	ds_load_2addr_b64 v[0:3], v47 offset0:160 offset1:176
	v_mul_f32_e32 v69, v51, v57
	v_mul_f32_e32 v78, v50, v57
	v_fmac_f32_e32 v68, v51, v54
	v_add_f32_e32 v70, v70, v67
	s_delay_alu instid0(VALU_DEP_4) | instskip(NEXT) | instid1(VALU_DEP_4)
	v_fma_f32 v50, v50, v56, -v69
	v_fmac_f32_e32 v78, v51, v56
	s_wait_dscnt 0x1
	v_mul_f32_e32 v79, v59, v55
	v_mul_f32_e32 v51, v58, v55
	;; [unrolled: 1-line block ×3, first 2 shown]
	v_add_f32_e32 v73, v73, v66
	s_delay_alu instid0(VALU_DEP_3)
	v_fmac_f32_e32 v51, v59, v54
	v_add_f32_e32 v50, v74, v50
	v_fma_f32 v74, v58, v54, -v79
	v_fma_f32 v54, v58, v56, -v55
	s_wait_dscnt 0x0
	v_dual_mul_f32 v55, v53, v1 :: v_dual_add_f32 v72, v72, v68
	v_dual_add_f32 v75, v75, v78 :: v_dual_mul_f32 v78, v58, v57
	v_add_f32_e32 v51, v71, v51
	v_mul_f32_e32 v71, v52, v1
	v_add_f32_e32 v58, v76, v74
	v_fma_f32 v74, v52, v0, -v55
	v_dual_fmac_f32 v78, v59, v56 :: v_dual_add_f32 v59, v77, v54
	ds_load_2addr_b64 v[54:57], v47 offset0:192 offset1:208
	v_mul_f32_e32 v76, v53, v3
	v_fmac_f32_e32 v71, v53, v0
	v_add_f32_e32 v73, v73, v78
	v_add_f32_e32 v70, v70, v74
	v_mul_f32_e32 v74, v52, v3
	v_fma_f32 v52, v52, v2, -v76
	v_add_f32_e32 v71, v72, v71
	v_mul_f32_e32 v72, v60, v3
	ds_load_b128 v[66:69], v41 offset:4208
	v_fmac_f32_e32 v74, v53, v2
	v_mul_f32_e32 v76, v61, v1
	v_dual_mul_f32 v1, v60, v1 :: v_dual_add_f32 v50, v50, v52
	v_fmac_f32_e32 v72, v61, v2
	s_delay_alu instid0(VALU_DEP_2) | instskip(NEXT) | instid1(VALU_DEP_1)
	v_fmac_f32_e32 v1, v61, v0
	v_add_f32_e32 v51, v51, v1
	v_add_f32_e32 v53, v75, v74
	v_fma_f32 v52, v60, v0, -v76
	v_mul_f32_e32 v0, v61, v3
	s_wait_dscnt 0x1
	v_mul_f32_e32 v61, v62, v55
	s_delay_alu instid0(VALU_DEP_1) | instskip(NEXT) | instid1(VALU_DEP_1)
	v_dual_mul_f32 v74, v62, v57 :: v_dual_fmac_f32 v61, v63, v54
	v_fmac_f32_e32 v74, v63, v56
	s_delay_alu instid0(VALU_DEP_2)
	v_dual_add_f32 v52, v58, v52 :: v_dual_add_f32 v61, v71, v61
	v_fma_f32 v58, v60, v2, -v0
	ds_load_2addr_b64 v[0:3], v47 offset0:224 offset1:240
	v_add_f32_e32 v72, v73, v72
	v_add_f32_e32 v58, v59, v58
	v_mul_f32_e32 v60, v63, v55
	s_delay_alu instid0(VALU_DEP_1) | instskip(NEXT) | instid1(VALU_DEP_1)
	v_fma_f32 v59, v62, v54, -v60
	v_dual_mul_f32 v60, v63, v57 :: v_dual_add_f32 v59, v70, v59
	s_delay_alu instid0(VALU_DEP_1) | instskip(SKIP_2) | instid1(VALU_DEP_2)
	v_fma_f32 v60, v62, v56, -v60
	s_wait_dscnt 0x0
	v_dual_mul_f32 v71, v64, v1 :: v_dual_mul_f32 v62, v67, v55
	v_dual_add_f32 v60, v50, v60 :: v_dual_mul_f32 v73, v65, v3
	v_add_f32_e32 v63, v53, v74
	s_delay_alu instid0(VALU_DEP_3) | instskip(NEXT) | instid1(VALU_DEP_4)
	v_dual_fmac_f32 v71, v65, v0 :: v_dual_mul_f32 v50, v67, v57
	v_fma_f32 v53, v66, v54, -v62
	v_mul_f32_e32 v62, v66, v57
	v_mul_f32_e32 v55, v66, v55
	s_delay_alu instid0(VALU_DEP_4) | instskip(SKIP_4) | instid1(VALU_DEP_4)
	v_add_f32_e32 v71, v61, v71
	v_fma_f32 v50, v66, v56, -v50
	v_add_f32_e32 v66, v52, v53
	v_fmac_f32_e32 v62, v67, v56
	v_fmac_f32_e32 v55, v67, v54
	v_add_f32_e32 v67, v58, v50
	s_delay_alu instid0(VALU_DEP_3) | instskip(SKIP_1) | instid1(VALU_DEP_4)
	v_add_f32_e32 v72, v72, v62
	v_mul_f32_e32 v62, v64, v3
	v_add_f32_e32 v70, v51, v55
	s_delay_alu instid0(VALU_DEP_2) | instskip(SKIP_2) | instid1(VALU_DEP_3)
	v_fmac_f32_e32 v62, v65, v2
	v_mul_f32_e32 v54, v65, v1
	v_mul_f32_e32 v65, v69, v3
	v_add_f32_e32 v75, v63, v62
	s_delay_alu instid0(VALU_DEP_3)
	v_fma_f32 v58, v64, v0, -v54
	ds_load_b128 v[50:53], v41 offset:128
	ds_load_2addr_b64 v[54:57], v48 offset1:16
	v_add_f32_e32 v74, v59, v58
	v_fma_f32 v58, v64, v2, -v73
	v_mul_f32_e32 v59, v69, v1
	v_mul_f32_e32 v1, v68, v1
	s_delay_alu instid0(VALU_DEP_3) | instskip(NEXT) | instid1(VALU_DEP_3)
	v_add_f32_e32 v73, v60, v58
	v_fma_f32 v64, v68, v0, -v59
	ds_load_b128 v[58:61], v41 offset:4224
	v_fmac_f32_e32 v1, v69, v0
	v_fma_f32 v0, v68, v2, -v65
	v_add_f32_e32 v76, v66, v64
	v_mul_f32_e32 v66, v68, v3
	ds_load_b128 v[62:65], v41 offset:144
	v_add_f32_e32 v70, v70, v1
	s_wait_dscnt 0x2
	v_mul_f32_e32 v68, v50, v55
	v_mul_f32_e32 v3, v51, v55
	v_dual_add_f32 v77, v67, v0 :: v_dual_mul_f32 v78, v50, v57
	s_delay_alu instid0(VALU_DEP_3) | instskip(NEXT) | instid1(VALU_DEP_3)
	v_fmac_f32_e32 v68, v51, v54
	v_fma_f32 v67, v50, v54, -v3
	s_delay_alu instid0(VALU_DEP_3) | instskip(NEXT) | instid1(VALU_DEP_3)
	v_fmac_f32_e32 v78, v51, v56
	v_add_f32_e32 v71, v71, v68
	s_wait_dscnt 0x1
	v_dual_mul_f32 v79, v59, v55 :: v_dual_fmac_f32 v66, v69, v2
	ds_load_2addr_b64 v[0:3], v48 offset0:32 offset1:48
	v_mul_f32_e32 v69, v51, v57
	v_mul_f32_e32 v51, v58, v55
	;; [unrolled: 1-line block ×3, first 2 shown]
	v_dual_add_f32 v75, v75, v78 :: v_dual_mul_f32 v78, v58, v57
	s_delay_alu instid0(VALU_DEP_4) | instskip(NEXT) | instid1(VALU_DEP_4)
	v_fma_f32 v50, v50, v56, -v69
	v_fmac_f32_e32 v51, v59, v54
	s_delay_alu instid0(VALU_DEP_1)
	v_dual_add_f32 v50, v73, v50 :: v_dual_add_f32 v51, v70, v51
	v_fma_f32 v73, v58, v54, -v79
	v_fma_f32 v54, v58, v56, -v55
	s_wait_dscnt 0x0
	v_mul_f32_e32 v70, v52, v1
	v_dual_mul_f32 v55, v53, v1 :: v_dual_add_f32 v74, v74, v67
	s_delay_alu instid0(VALU_DEP_2) | instskip(NEXT) | instid1(VALU_DEP_1)
	v_fmac_f32_e32 v70, v53, v0
	v_dual_add_f32 v70, v71, v70 :: v_dual_mul_f32 v71, v60, v3
	v_add_f32_e32 v58, v76, v73
	s_delay_alu instid0(VALU_DEP_4) | instskip(SKIP_1) | instid1(VALU_DEP_4)
	v_fma_f32 v73, v52, v0, -v55
	v_mul_f32_e32 v76, v53, v3
	v_fmac_f32_e32 v71, v61, v2
	s_delay_alu instid0(VALU_DEP_3) | instskip(NEXT) | instid1(VALU_DEP_3)
	v_dual_add_f32 v73, v74, v73 :: v_dual_mul_f32 v74, v52, v3
	v_fma_f32 v52, v52, v2, -v76
	v_mul_f32_e32 v76, v61, v1
	v_mul_f32_e32 v1, v60, v1
	v_add_f32_e32 v72, v72, v66
	ds_load_b128 v[66:69], v41 offset:4240
	v_fmac_f32_e32 v74, v53, v2
	v_fmac_f32_e32 v1, v61, v0
	s_delay_alu instid0(VALU_DEP_2)
	v_add_f32_e32 v53, v75, v74
	v_dual_fmac_f32 v78, v59, v56 :: v_dual_add_f32 v59, v77, v54
	ds_load_2addr_b64 v[54:57], v48 offset0:64 offset1:80
	v_add_f32_e32 v51, v51, v1
	s_wait_dscnt 0x0
	v_mul_f32_e32 v74, v62, v57
	s_delay_alu instid0(VALU_DEP_1) | instskip(SKIP_4) | instid1(VALU_DEP_3)
	v_fmac_f32_e32 v74, v63, v56
	v_add_f32_e32 v50, v50, v52
	v_fma_f32 v52, v60, v0, -v76
	v_mul_f32_e32 v0, v61, v3
	v_mul_f32_e32 v61, v62, v55
	v_add_f32_e32 v52, v58, v52
	s_delay_alu instid0(VALU_DEP_3) | instskip(SKIP_4) | instid1(VALU_DEP_1)
	v_fma_f32 v58, v60, v2, -v0
	ds_load_2addr_b64 v[0:3], v48 offset0:96 offset1:112
	v_fmac_f32_e32 v61, v63, v54
	v_add_f32_e32 v58, v59, v58
	v_mul_f32_e32 v60, v63, v55
	v_fma_f32 v59, v62, v54, -v60
	v_mul_f32_e32 v60, v63, v57
	v_add_f32_e32 v72, v72, v78
	v_add_f32_e32 v63, v53, v74
	s_delay_alu instid0(VALU_DEP_4) | instskip(NEXT) | instid1(VALU_DEP_4)
	v_add_f32_e32 v59, v73, v59
	v_fma_f32 v60, v62, v56, -v60
	v_mul_f32_e32 v62, v67, v55
	v_add_f32_e32 v71, v72, v71
	v_mul_f32_e32 v55, v66, v55
	v_add_f32_e32 v61, v70, v61
	s_wait_dscnt 0x0
	v_mul_f32_e32 v73, v65, v3
	v_fma_f32 v53, v66, v54, -v62
	v_dual_mul_f32 v62, v66, v57 :: v_dual_fmac_f32 v55, v67, v54
	s_delay_alu instid0(VALU_DEP_1) | instskip(NEXT) | instid1(VALU_DEP_2)
	v_fmac_f32_e32 v62, v67, v56
	v_add_f32_e32 v70, v51, v55
	s_delay_alu instid0(VALU_DEP_2) | instskip(SKIP_1) | instid1(VALU_DEP_2)
	v_dual_add_f32 v71, v71, v62 :: v_dual_mul_f32 v62, v64, v3
	v_mul_f32_e32 v72, v64, v1
	v_fmac_f32_e32 v62, v65, v2
	v_add_f32_e32 v60, v50, v60
	v_mul_f32_e32 v50, v67, v57
	s_delay_alu instid0(VALU_DEP_3) | instskip(NEXT) | instid1(VALU_DEP_2)
	v_add_f32_e32 v75, v63, v62
	v_fma_f32 v50, v66, v56, -v50
	s_delay_alu instid0(VALU_DEP_1) | instskip(SKIP_1) | instid1(VALU_DEP_1)
	v_dual_add_f32 v66, v52, v53 :: v_dual_add_f32 v67, v58, v50
	v_mul_f32_e32 v54, v65, v1
	v_fma_f32 v58, v64, v0, -v54
	ds_load_b128 v[50:53], v41 offset:160
	ds_load_2addr_b64 v[54:57], v48 offset0:128 offset1:144
	v_dual_add_f32 v74, v59, v58 :: v_dual_mul_f32 v59, v69, v1
	v_fma_f32 v58, v64, v2, -v73
	v_mul_f32_e32 v1, v68, v1
	s_delay_alu instid0(VALU_DEP_3) | instskip(NEXT) | instid1(VALU_DEP_3)
	v_fma_f32 v64, v68, v0, -v59
	v_add_f32_e32 v73, v60, v58
	s_delay_alu instid0(VALU_DEP_3) | instskip(NEXT) | instid1(VALU_DEP_3)
	v_fmac_f32_e32 v1, v69, v0
	v_add_f32_e32 v76, v66, v64
	v_mul_f32_e32 v66, v68, v3
	s_wait_dscnt 0x0
	v_mul_f32_e32 v78, v50, v57
	s_delay_alu instid0(VALU_DEP_2) | instskip(NEXT) | instid1(VALU_DEP_2)
	v_fmac_f32_e32 v66, v69, v2
	v_fmac_f32_e32 v78, v51, v56
	s_delay_alu instid0(VALU_DEP_2) | instskip(SKIP_3) | instid1(VALU_DEP_4)
	v_dual_add_f32 v71, v71, v66 :: v_dual_fmac_f32 v72, v65, v0
	v_mul_f32_e32 v65, v69, v3
	v_mul_f32_e32 v69, v51, v57
	;; [unrolled: 1-line block ×3, first 2 shown]
	v_dual_add_f32 v75, v75, v78 :: v_dual_add_f32 v72, v61, v72
	ds_load_b128 v[58:61], v41 offset:4256
	v_fma_f32 v0, v68, v2, -v65
	ds_load_b128 v[62:65], v41 offset:176
	v_add_f32_e32 v77, v67, v0
	v_fma_f32 v67, v50, v54, -v3
	s_wait_dscnt 0x1
	v_dual_mul_f32 v78, v58, v57 :: v_dual_mul_f32 v79, v59, v55
	s_delay_alu instid0(VALU_DEP_1)
	v_fmac_f32_e32 v78, v59, v56
	v_add_f32_e32 v70, v70, v1
	ds_load_2addr_b64 v[0:3], v48 offset0:160 offset1:176
	v_mul_f32_e32 v68, v50, v55
	v_fma_f32 v50, v50, v56, -v69
	v_add_f32_e32 v71, v71, v78
	s_delay_alu instid0(VALU_DEP_3) | instskip(NEXT) | instid1(VALU_DEP_3)
	v_dual_fmac_f32 v68, v51, v54 :: v_dual_mul_f32 v51, v58, v55
	v_dual_mul_f32 v55, v59, v57 :: v_dual_add_f32 v50, v73, v50
	v_fma_f32 v73, v58, v54, -v79
	s_delay_alu instid0(VALU_DEP_3) | instskip(NEXT) | instid1(VALU_DEP_3)
	v_fmac_f32_e32 v51, v59, v54
	v_fma_f32 v54, v58, v56, -v55
	s_delay_alu instid0(VALU_DEP_2) | instskip(NEXT) | instid1(VALU_DEP_2)
	v_dual_add_f32 v58, v76, v73 :: v_dual_add_f32 v51, v70, v51
	v_add_f32_e32 v59, v77, v54
	s_wait_dscnt 0x0
	v_mul_f32_e32 v55, v53, v1
	s_delay_alu instid0(VALU_DEP_1) | instskip(SKIP_2) | instid1(VALU_DEP_1)
	v_fma_f32 v73, v52, v0, -v55
	ds_load_2addr_b64 v[54:57], v48 offset0:192 offset1:208
	v_add_f32_e32 v74, v74, v67
	v_dual_add_f32 v73, v74, v73 :: v_dual_add_f32 v72, v72, v68
	ds_load_b128 v[66:69], v41 offset:4272
	v_mul_f32_e32 v70, v52, v1
	v_mul_f32_e32 v74, v52, v3
	s_delay_alu instid0(VALU_DEP_2) | instskip(NEXT) | instid1(VALU_DEP_2)
	v_fmac_f32_e32 v70, v53, v0
	v_fmac_f32_e32 v74, v53, v2
	s_delay_alu instid0(VALU_DEP_2) | instskip(SKIP_1) | instid1(VALU_DEP_1)
	v_add_f32_e32 v70, v72, v70
	v_mul_f32_e32 v72, v60, v3
	v_fmac_f32_e32 v72, v61, v2
	s_delay_alu instid0(VALU_DEP_1) | instskip(SKIP_2) | instid1(VALU_DEP_2)
	v_dual_add_f32 v71, v71, v72 :: v_dual_mul_f32 v76, v53, v3
	s_wait_dscnt 0x1
	v_dual_add_f32 v53, v75, v74 :: v_dual_mul_f32 v74, v62, v57
	v_fma_f32 v52, v52, v2, -v76
	v_mul_f32_e32 v76, v61, v1
	s_delay_alu instid0(VALU_DEP_3) | instskip(NEXT) | instid1(VALU_DEP_3)
	v_dual_mul_f32 v1, v60, v1 :: v_dual_fmac_f32 v74, v63, v56
	v_add_f32_e32 v50, v50, v52
	s_delay_alu instid0(VALU_DEP_3) | instskip(NEXT) | instid1(VALU_DEP_3)
	v_fma_f32 v52, v60, v0, -v76
	v_fmac_f32_e32 v1, v61, v0
	v_mul_f32_e32 v0, v61, v3
	v_mul_f32_e32 v61, v62, v55
	s_delay_alu instid0(VALU_DEP_3) | instskip(NEXT) | instid1(VALU_DEP_3)
	v_dual_add_f32 v52, v58, v52 :: v_dual_add_f32 v51, v51, v1
	v_fma_f32 v58, v60, v2, -v0
	v_mul_f32_e32 v60, v63, v55
	ds_load_2addr_b64 v[0:3], v48 offset0:224 offset1:240
	v_fmac_f32_e32 v61, v63, v54
	v_add_f32_e32 v58, v59, v58
	v_fma_f32 v59, v62, v54, -v60
	v_dual_mul_f32 v60, v63, v57 :: v_dual_add_f32 v63, v53, v74
	s_delay_alu instid0(VALU_DEP_2) | instskip(NEXT) | instid1(VALU_DEP_2)
	v_add_f32_e32 v59, v73, v59
	v_fma_f32 v60, v62, v56, -v60
	s_wait_dscnt 0x1
	v_mul_f32_e32 v62, v67, v55
	v_mul_f32_e32 v55, v66, v55
	s_delay_alu instid0(VALU_DEP_2) | instskip(NEXT) | instid1(VALU_DEP_2)
	v_fma_f32 v53, v66, v54, -v62
	v_dual_mul_f32 v62, v66, v57 :: v_dual_fmac_f32 v55, v67, v54
	s_wait_dscnt 0x0
	v_mul_f32_e32 v72, v64, v1
	v_mul_f32_e32 v54, v65, v1
	s_delay_alu instid0(VALU_DEP_3) | instskip(NEXT) | instid1(VALU_DEP_3)
	v_dual_fmac_f32 v62, v67, v56 :: v_dual_mul_f32 v73, v65, v3
	v_dual_add_f32 v61, v70, v61 :: v_dual_fmac_f32 v72, v65, v0
	v_add_f32_e32 v70, v51, v55
	s_delay_alu instid0(VALU_DEP_3) | instskip(NEXT) | instid1(VALU_DEP_3)
	v_dual_add_f32 v71, v71, v62 :: v_dual_mul_f32 v62, v64, v3
	v_add_f32_e32 v72, v61, v72
	s_delay_alu instid0(VALU_DEP_2) | instskip(SKIP_2) | instid1(VALU_DEP_3)
	v_fmac_f32_e32 v62, v65, v2
	v_dual_mul_f32 v65, v69, v3 :: v_dual_add_f32 v60, v50, v60
	v_mul_f32_e32 v50, v67, v57
	v_add_f32_e32 v75, v63, v62
	s_delay_alu instid0(VALU_DEP_2) | instskip(NEXT) | instid1(VALU_DEP_1)
	v_fma_f32 v50, v66, v56, -v50
	v_dual_add_f32 v66, v52, v53 :: v_dual_add_f32 v67, v58, v50
	v_fma_f32 v58, v64, v0, -v54
	ds_load_b128 v[50:53], v41 offset:192
	ds_load_2addr_b64 v[54:57], v49 offset1:16
	v_dual_add_f32 v74, v59, v58 :: v_dual_mul_f32 v59, v69, v1
	v_fma_f32 v58, v64, v2, -v73
	v_mul_f32_e32 v1, v68, v1
	s_delay_alu instid0(VALU_DEP_3) | instskip(NEXT) | instid1(VALU_DEP_3)
	v_fma_f32 v64, v68, v0, -v59
	v_add_f32_e32 v73, v60, v58
	s_delay_alu instid0(VALU_DEP_3)
	v_fmac_f32_e32 v1, v69, v0
	v_fma_f32 v0, v68, v2, -v65
	ds_load_b128 v[58:61], v41 offset:4288
	v_add_f32_e32 v76, v66, v64
	v_mul_f32_e32 v66, v68, v3
	ds_load_b128 v[62:65], v41 offset:208
	v_add_f32_e32 v77, v67, v0
	s_wait_dscnt 0x2
	v_mul_f32_e32 v3, v51, v55
	v_mul_f32_e32 v68, v50, v55
	v_dual_fmac_f32 v66, v69, v2 :: v_dual_mul_f32 v69, v51, v57
	v_mul_f32_e32 v78, v50, v57
	s_delay_alu instid0(VALU_DEP_4) | instskip(NEXT) | instid1(VALU_DEP_4)
	v_fma_f32 v67, v50, v54, -v3
	v_fmac_f32_e32 v68, v51, v54
	s_delay_alu instid0(VALU_DEP_4)
	v_add_f32_e32 v71, v71, v66
	v_fma_f32 v50, v50, v56, -v69
	v_fmac_f32_e32 v78, v51, v56
	v_add_f32_e32 v74, v74, v67
	v_add_f32_e32 v72, v72, v68
	ds_load_b128 v[66:69], v41 offset:4304
	v_add_f32_e32 v70, v70, v1
	ds_load_2addr_b64 v[0:3], v49 offset0:32 offset1:48
	s_wait_dscnt 0x3
	v_mul_f32_e32 v79, v59, v55
	v_mul_f32_e32 v51, v58, v55
	v_dual_mul_f32 v55, v59, v57 :: v_dual_add_f32 v50, v73, v50
	v_add_f32_e32 v75, v75, v78
	s_delay_alu instid0(VALU_DEP_4) | instskip(NEXT) | instid1(VALU_DEP_4)
	v_fma_f32 v73, v58, v54, -v79
	v_dual_fmac_f32 v51, v59, v54 :: v_dual_mul_f32 v78, v58, v57
	s_delay_alu instid0(VALU_DEP_4) | instskip(NEXT) | instid1(VALU_DEP_2)
	v_fma_f32 v54, v58, v56, -v55
	v_dual_add_f32 v58, v76, v73 :: v_dual_add_f32 v51, v70, v51
	s_delay_alu instid0(VALU_DEP_2) | instskip(SKIP_4) | instid1(VALU_DEP_3)
	v_dual_fmac_f32 v78, v59, v56 :: v_dual_add_f32 v59, v77, v54
	s_wait_dscnt 0x0
	v_mul_f32_e32 v55, v53, v1
	v_mul_f32_e32 v70, v52, v1
	;; [unrolled: 1-line block ×3, first 2 shown]
	v_fma_f32 v73, v52, v0, -v55
	ds_load_2addr_b64 v[54:57], v49 offset0:64 offset1:80
	v_dual_fmac_f32 v70, v53, v0 :: v_dual_add_f32 v73, v74, v73
	v_mul_f32_e32 v74, v52, v3
	v_fma_f32 v52, v52, v2, -v76
	v_mul_f32_e32 v76, v61, v1
	v_mul_f32_e32 v1, v60, v1
	v_add_f32_e32 v70, v72, v70
	v_mul_f32_e32 v72, v60, v3
	v_add_f32_e32 v50, v50, v52
	v_fma_f32 v52, v60, v0, -v76
	v_fmac_f32_e32 v1, v61, v0
	v_mul_f32_e32 v0, v61, v3
	v_fmac_f32_e32 v74, v53, v2
	v_fmac_f32_e32 v72, v61, v2
	s_delay_alu instid0(VALU_DEP_4) | instskip(NEXT) | instid1(VALU_DEP_4)
	v_dual_add_f32 v52, v58, v52 :: v_dual_add_f32 v51, v51, v1
	v_fma_f32 v58, v60, v2, -v0
	s_wait_dscnt 0x0
	v_mul_f32_e32 v60, v63, v55
	ds_load_2addr_b64 v[0:3], v49 offset0:96 offset1:112
	v_dual_add_f32 v53, v75, v74 :: v_dual_mul_f32 v74, v62, v57
	v_add_f32_e32 v58, v59, v58
	v_fma_f32 v59, v62, v54, -v60
	v_dual_mul_f32 v60, v63, v57 :: v_dual_mul_f32 v61, v62, v55
	s_delay_alu instid0(VALU_DEP_2) | instskip(NEXT) | instid1(VALU_DEP_2)
	v_dual_fmac_f32 v74, v63, v56 :: v_dual_add_f32 v59, v73, v59
	v_fma_f32 v60, v62, v56, -v60
	v_mul_f32_e32 v62, v67, v55
	v_mul_f32_e32 v55, v66, v55
	v_fmac_f32_e32 v61, v63, v54
	s_delay_alu instid0(VALU_DEP_4)
	v_dual_add_f32 v63, v53, v74 :: v_dual_add_f32 v60, v50, v60
	v_mul_f32_e32 v50, v67, v57
	v_fma_f32 v53, v66, v54, -v62
	v_dual_fmac_f32 v55, v67, v54 :: v_dual_mul_f32 v62, v66, v57
	s_wait_dscnt 0x0
	v_mul_f32_e32 v54, v65, v1
	v_fma_f32 v50, v66, v56, -v50
	v_add_f32_e32 v61, v70, v61
	v_add_f32_e32 v66, v52, v53
	;; [unrolled: 1-line block ×3, first 2 shown]
	s_delay_alu instid0(VALU_DEP_4)
	v_dual_fmac_f32 v62, v67, v56 :: v_dual_add_f32 v67, v58, v50
	v_fma_f32 v58, v64, v0, -v54
	ds_load_b128 v[50:53], v41 offset:224
	ds_load_2addr_b64 v[54:57], v49 offset0:128 offset1:144
	v_mul_f32_e32 v73, v65, v3
	s_wait_dscnt 0x0
	v_mul_f32_e32 v79, v50, v57
	v_dual_add_f32 v71, v71, v78 :: v_dual_mul_f32 v78, v50, v55
	s_delay_alu instid0(VALU_DEP_2) | instskip(NEXT) | instid1(VALU_DEP_2)
	v_fmac_f32_e32 v79, v51, v56
	v_dual_add_f32 v71, v71, v72 :: v_dual_mul_f32 v72, v64, v1
	s_delay_alu instid0(VALU_DEP_3) | instskip(NEXT) | instid1(VALU_DEP_2)
	v_fmac_f32_e32 v78, v51, v54
	v_dual_add_f32 v71, v71, v62 :: v_dual_mul_f32 v62, v64, v3
	v_fma_f32 v64, v64, v2, -v73
	v_dual_add_f32 v73, v59, v58 :: v_dual_mul_f32 v58, v69, v1
	v_fmac_f32_e32 v72, v65, v0
	s_delay_alu instid0(VALU_DEP_4) | instskip(NEXT) | instid1(VALU_DEP_4)
	v_fmac_f32_e32 v62, v65, v2
	v_add_f32_e32 v74, v60, v64
	v_mul_f32_e32 v1, v68, v1
	v_fma_f32 v64, v68, v0, -v58
	s_delay_alu instid0(VALU_DEP_4)
	v_dual_add_f32 v72, v61, v72 :: v_dual_add_f32 v75, v63, v62
	v_mul_f32_e32 v62, v69, v3
	ds_load_b128 v[58:61], v41 offset:4320
	v_fmac_f32_e32 v1, v69, v0
	v_add_f32_e32 v76, v66, v64
	v_mul_f32_e32 v66, v68, v3
	v_fma_f32 v0, v68, v2, -v62
	v_mul_f32_e32 v3, v51, v55
	v_mul_f32_e32 v68, v51, v57
	ds_load_b128 v[62:65], v41 offset:240
	v_dual_fmac_f32 v66, v69, v2 :: v_dual_add_f32 v77, v67, v0
	v_fma_f32 v67, v50, v54, -v3
	v_fma_f32 v50, v50, v56, -v68
	v_add_f32_e32 v72, v72, v78
	s_delay_alu instid0(VALU_DEP_4)
	v_add_f32_e32 v71, v71, v66
	v_add_f32_e32 v75, v75, v79
	;; [unrolled: 1-line block ×3, first 2 shown]
	ds_load_b128 v[66:69], v41 offset:4336
	v_add_f32_e32 v70, v70, v1
	ds_load_2addr_b64 v[0:3], v49 offset0:160 offset1:176
	v_add_f32_e32 v50, v74, v50
	s_wait_dscnt 0x3
	v_mul_f32_e32 v80, v59, v55
	v_dual_mul_f32 v51, v58, v55 :: v_dual_mul_f32 v74, v59, v57
	v_mul_f32_e32 v78, v58, v57
	s_delay_alu instid0(VALU_DEP_3) | instskip(NEXT) | instid1(VALU_DEP_3)
	v_fma_f32 v55, v58, v54, -v80
	v_fmac_f32_e32 v51, v59, v54
	s_delay_alu instid0(VALU_DEP_4) | instskip(NEXT) | instid1(VALU_DEP_4)
	v_fma_f32 v54, v58, v56, -v74
	v_fmac_f32_e32 v78, v59, v56
	s_delay_alu instid0(VALU_DEP_4) | instskip(NEXT) | instid1(VALU_DEP_4)
	v_add_f32_e32 v76, v76, v55
	v_add_f32_e32 v51, v70, v51
	s_delay_alu instid0(VALU_DEP_4) | instskip(NEXT) | instid1(VALU_DEP_4)
	v_add_f32_e32 v59, v77, v54
	v_add_f32_e32 v71, v71, v78
	s_wait_dscnt 0x0
	v_mul_f32_e32 v55, v53, v1
	v_mul_f32_e32 v58, v52, v1
	;; [unrolled: 1-line block ×3, first 2 shown]
	s_delay_alu instid0(VALU_DEP_3) | instskip(SKIP_4) | instid1(VALU_DEP_3)
	v_fma_f32 v70, v52, v0, -v55
	ds_load_2addr_b64 v[54:57], v49 offset0:192 offset1:208
	v_fmac_f32_e32 v58, v53, v0
	v_dual_add_f32 v70, v73, v70 :: v_dual_mul_f32 v73, v52, v3
	v_fma_f32 v52, v52, v2, -v74
	v_add_f32_e32 v58, v72, v58
	v_mul_f32_e32 v72, v61, v1
	v_mul_f32_e32 v1, v60, v1
	s_delay_alu instid0(VALU_DEP_4) | instskip(SKIP_1) | instid1(VALU_DEP_4)
	v_dual_fmac_f32 v73, v53, v2 :: v_dual_add_f32 v50, v50, v52
	v_mul_f32_e32 v52, v61, v3
	v_fma_f32 v53, v60, v0, -v72
	s_delay_alu instid0(VALU_DEP_3) | instskip(SKIP_1) | instid1(VALU_DEP_4)
	v_dual_fmac_f32 v1, v61, v0 :: v_dual_add_f32 v72, v75, v73
	v_mul_f32_e32 v73, v60, v3
	v_fma_f32 v0, v60, v2, -v52
	s_delay_alu instid0(VALU_DEP_4) | instskip(NEXT) | instid1(VALU_DEP_4)
	v_add_f32_e32 v52, v76, v53
	v_add_f32_e32 v51, v51, v1
	s_wait_dscnt 0x0
	v_mul_f32_e32 v53, v63, v55
	v_fmac_f32_e32 v73, v61, v2
	v_add_f32_e32 v59, v59, v0
	ds_load_2addr_b64 v[0:3], v49 offset0:224 offset1:240
	v_mul_f32_e32 v60, v62, v55
	v_fma_f32 v53, v62, v54, -v53
	v_add_f32_e32 v61, v71, v73
	v_mul_f32_e32 v71, v63, v57
	s_delay_alu instid0(VALU_DEP_4) | instskip(NEXT) | instid1(VALU_DEP_4)
	v_dual_mul_f32 v73, v62, v57 :: v_dual_fmac_f32 v60, v63, v54
	v_dual_add_f32 v53, v70, v53 :: v_dual_mul_f32 v70, v67, v55
	s_delay_alu instid0(VALU_DEP_3) | instskip(SKIP_1) | instid1(VALU_DEP_4)
	v_fma_f32 v62, v62, v56, -v71
	v_mul_f32_e32 v55, v66, v55
	v_add_f32_e32 v58, v58, v60
	v_fmac_f32_e32 v73, v63, v56
	v_fma_f32 v60, v66, v54, -v70
	v_add_f32_e32 v50, v50, v62
	v_mul_f32_e32 v62, v67, v57
	v_dual_fmac_f32 v55, v67, v54 :: v_dual_mul_f32 v54, v66, v57
	s_delay_alu instid0(VALU_DEP_4) | instskip(SKIP_1) | instid1(VALU_DEP_4)
	v_add_f32_e32 v52, v52, v60
	v_add_f32_e32 v63, v72, v73
	v_fma_f32 v57, v66, v56, -v62
	s_wait_dscnt 0x0
	v_mul_f32_e32 v60, v65, v1
	v_dual_mul_f32 v62, v64, v1 :: v_dual_add_f32 v51, v51, v55
	v_fmac_f32_e32 v54, v67, v56
	v_add_f32_e32 v59, v59, v57
	s_delay_alu instid0(VALU_DEP_4) | instskip(NEXT) | instid1(VALU_DEP_4)
	v_fma_f32 v55, v64, v0, -v60
	v_fmac_f32_e32 v62, v65, v0
	v_mul_f32_e32 v60, v65, v3
	v_dual_mul_f32 v66, v64, v3 :: v_dual_add_f32 v61, v61, v54
	s_delay_alu instid0(VALU_DEP_3) | instskip(NEXT) | instid1(VALU_DEP_3)
	v_dual_add_f32 v56, v53, v55 :: v_dual_add_f32 v57, v58, v62
	v_fma_f32 v53, v64, v2, -v60
	v_mul_f32_e32 v55, v69, v1
	v_dual_mul_f32 v1, v68, v1 :: v_dual_mul_f32 v58, v69, v3
	v_dual_mul_f32 v3, v68, v3 :: v_dual_fmac_f32 v66, v65, v2
	s_delay_alu instid0(VALU_DEP_4) | instskip(NEXT) | instid1(VALU_DEP_4)
	v_add_f32_e32 v54, v50, v53
	v_fma_f32 v50, v68, v0, -v55
	s_delay_alu instid0(VALU_DEP_4) | instskip(SKIP_3) | instid1(VALU_DEP_4)
	v_fmac_f32_e32 v1, v69, v0
	v_fma_f32 v0, v68, v2, -v58
	v_fmac_f32_e32 v3, v69, v2
	v_add_f32_e32 v55, v63, v66
	v_dual_add_f32 v52, v52, v50 :: v_dual_add_f32 v53, v51, v1
	s_delay_alu instid0(VALU_DEP_3)
	v_dual_add_f32 v51, v59, v0 :: v_dual_add_f32 v50, v61, v3
	s_wait_loadcnt 0x0
	s_barrier_signal -1
	s_barrier_wait -1
	global_inv scope:SCOPE_SE
	s_cbranch_scc1 .LBB85_59
.LBB85_10:                              ;   Parent Loop BB85_4 Depth=1
                                        ;     Parent Loop BB85_7 Depth=2
                                        ; =>    This Inner Loop Header: Depth=3
	s_wait_alu 0xfffe
	v_add_co_u32 v0, s5, v16, s50
	s_wait_alu 0xf1ff
	v_add_co_ci_u32_e64 v1, null, s51, v17, s5
	v_cmp_eq_u64_e64 s7, s[50:51], v[22:23]
	v_add_co_u32 v2, s8, v28, v30
	s_delay_alu instid0(VALU_DEP_3)
	v_cmp_lt_i64_e64 s5, v[0:1], v[18:19]
	v_cmp_le_i64_e64 s6, s[44:45], v[0:1]
	s_wait_alu 0xf1ff
	v_add_co_ci_u32_e64 v3, null, v29, v31, s8
	s_and_b32 s60, s54, s7
	s_or_b32 s8, vcc_lo, s5
	s_wait_alu 0xfffe
	s_or_b32 s7, s6, s8
	s_wait_alu 0xfffe
	s_nor_b32 s7, s7, s60
	s_wait_alu 0xfffe
	s_and_saveexec_b32 s8, s7
	s_wait_alu 0xfffe
	s_xor_b32 s7, exec_lo, s8
	s_cbranch_execz .LBB85_12
; %bb.11:                               ;   in Loop: Header=BB85_10 Depth=3
	global_load_b64 v[58:59], v[2:3], off
	s_wait_loadcnt 0x0
	ds_store_b64 v43, v[58:59]
.LBB85_12:                              ;   in Loop: Header=BB85_10 Depth=3
	s_wait_alu 0xfffe
	s_or_saveexec_b32 s7, s7
	s_xor_b32 s59, s60, -1
	s_wait_alu 0xfffe
	s_xor_b32 exec_lo, exec_lo, s7
	s_cbranch_execz .LBB85_18
; %bb.13:                               ;   in Loop: Header=BB85_10 Depth=3
	s_and_saveexec_b32 s8, s59
	s_wait_alu 0xfffe
	s_xor_b32 s8, exec_lo, s8
; %bb.14:                               ;   in Loop: Header=BB85_10 Depth=3
	v_dual_mov_b32 v58, v11 :: v_dual_mov_b32 v59, v11
	ds_store_b64 v43, v[58:59]
; %bb.15:                               ;   in Loop: Header=BB85_10 Depth=3
	s_wait_alu 0xfffe
	s_and_not1_saveexec_b32 s8, s8
; %bb.16:                               ;   in Loop: Header=BB85_10 Depth=3
	ds_store_b64 v43, v[10:11]
; %bb.17:                               ;   in Loop: Header=BB85_10 Depth=3
	s_wait_alu 0xfffe
	s_or_b32 exec_lo, exec_lo, s8
.LBB85_18:                              ;   in Loop: Header=BB85_10 Depth=3
	s_delay_alu instid0(SALU_CYCLE_1) | instskip(SKIP_4) | instid1(VALU_DEP_2)
	s_or_b32 exec_lo, exec_lo, s7
	v_add_co_u32 v58, s7, v0, 16
	s_wait_alu 0xf1ff
	v_add_co_ci_u32_e64 v59, null, 0, v1, s7
	v_cmp_eq_u64_e64 s9, s[50:51], v[36:37]
	v_cmp_lt_i64_e64 s8, v[58:59], v[18:19]
	v_cmp_le_i64_e64 s7, s[44:45], v[58:59]
	s_and_b32 s9, s54, s9
	s_or_b32 s8, vcc_lo, s8
	s_wait_alu 0xfffe
	s_or_b32 s8, s7, s8
	s_wait_alu 0xfffe
	s_nor_b32 s8, s8, s9
	s_wait_alu 0xfffe
	s_and_saveexec_b32 s61, s8
	s_delay_alu instid0(SALU_CYCLE_1)
	s_xor_b32 s8, exec_lo, s61
	s_cbranch_execz .LBB85_20
; %bb.19:                               ;   in Loop: Header=BB85_10 Depth=3
	global_load_b64 v[2:3], v[2:3], off offset:128
	s_wait_loadcnt 0x0
	ds_store_b64 v43, v[2:3] offset:128
.LBB85_20:                              ;   in Loop: Header=BB85_10 Depth=3
	s_wait_alu 0xfffe
	s_and_not1_saveexec_b32 s8, s8
	s_cbranch_execz .LBB85_26
; %bb.21:                               ;   in Loop: Header=BB85_10 Depth=3
	s_xor_b32 s9, s9, -1
	s_wait_alu 0xfffe
	s_and_saveexec_b32 s61, s9
	s_delay_alu instid0(SALU_CYCLE_1)
	s_xor_b32 s9, exec_lo, s61
; %bb.22:                               ;   in Loop: Header=BB85_10 Depth=3
	v_dual_mov_b32 v2, v11 :: v_dual_mov_b32 v3, v11
	ds_store_b64 v43, v[2:3] offset:128
; %bb.23:                               ;   in Loop: Header=BB85_10 Depth=3
	s_wait_alu 0xfffe
	s_and_not1_saveexec_b32 s9, s9
; %bb.24:                               ;   in Loop: Header=BB85_10 Depth=3
	ds_store_b64 v43, v[10:11] offset:128
; %bb.25:                               ;   in Loop: Header=BB85_10 Depth=3
	s_wait_alu 0xfffe
	s_or_b32 exec_lo, exec_lo, s9
.LBB85_26:                              ;   in Loop: Header=BB85_10 Depth=3
	s_wait_alu 0xfffe
	s_or_b32 exec_lo, exec_lo, s8
	v_cmp_eq_u64_e64 s8, s[50:51], v[34:35]
	v_cmp_lt_i64_e64 s9, v[0:1], v[32:33]
	s_and_b32 s61, s54, s8
	v_add_co_u32 v0, s8, v24, v30
	s_or_b32 s9, s4, s9
	v_add_co_ci_u32_e64 v1, null, v25, v31, s8
	s_wait_alu 0xfffe
	s_or_b32 s8, s9, s61
	s_wait_alu 0xfffe
	s_nor_b32 s6, s6, s8
	s_wait_alu 0xfffe
	s_and_saveexec_b32 s8, s6
	s_wait_alu 0xfffe
	s_xor_b32 s6, exec_lo, s8
	s_cbranch_execz .LBB85_28
; %bb.27:                               ;   in Loop: Header=BB85_10 Depth=3
	global_load_b64 v[2:3], v[0:1], off
	s_wait_loadcnt 0x0
	ds_store_b64 v43, v[2:3] offset:4096
.LBB85_28:                              ;   in Loop: Header=BB85_10 Depth=3
	s_wait_alu 0xfffe
	s_and_not1_saveexec_b32 s6, s6
	s_cbranch_execz .LBB85_34
; %bb.29:                               ;   in Loop: Header=BB85_10 Depth=3
	s_xor_b32 s8, s61, -1
	s_wait_alu 0xfffe
	s_and_saveexec_b32 s9, s8
	s_wait_alu 0xfffe
	s_xor_b32 s8, exec_lo, s9
; %bb.30:                               ;   in Loop: Header=BB85_10 Depth=3
	v_dual_mov_b32 v2, v11 :: v_dual_mov_b32 v3, v11
	ds_store_b64 v43, v[2:3] offset:4096
; %bb.31:                               ;   in Loop: Header=BB85_10 Depth=3
	s_wait_alu 0xfffe
	s_and_not1_saveexec_b32 s8, s8
; %bb.32:                               ;   in Loop: Header=BB85_10 Depth=3
	ds_store_b64 v43, v[10:11] offset:4096
; %bb.33:                               ;   in Loop: Header=BB85_10 Depth=3
	s_wait_alu 0xfffe
	s_or_b32 exec_lo, exec_lo, s8
.LBB85_34:                              ;   in Loop: Header=BB85_10 Depth=3
	s_wait_alu 0xfffe
	s_or_b32 exec_lo, exec_lo, s6
	s_or_b32 s5, s4, s5
	s_wait_alu 0xfffe
	s_or_b32 s5, s7, s5
	s_wait_alu 0xfffe
	s_nor_b32 s5, s5, s60
	s_wait_alu 0xfffe
	s_and_saveexec_b32 s6, s5
	s_wait_alu 0xfffe
	s_xor_b32 s5, exec_lo, s6
	s_cbranch_execz .LBB85_36
; %bb.35:                               ;   in Loop: Header=BB85_10 Depth=3
	global_load_b64 v[0:1], v[0:1], off offset:128
	s_wait_loadcnt 0x0
	ds_store_b64 v43, v[0:1] offset:4224
.LBB85_36:                              ;   in Loop: Header=BB85_10 Depth=3
	s_wait_alu 0xfffe
	s_and_not1_saveexec_b32 s5, s5
	s_cbranch_execz .LBB85_42
; %bb.37:                               ;   in Loop: Header=BB85_10 Depth=3
	s_and_saveexec_b32 s6, s59
	s_wait_alu 0xfffe
	s_xor_b32 s6, exec_lo, s6
; %bb.38:                               ;   in Loop: Header=BB85_10 Depth=3
	v_dual_mov_b32 v0, v11 :: v_dual_mov_b32 v1, v11
	ds_store_b64 v43, v[0:1] offset:4224
; %bb.39:                               ;   in Loop: Header=BB85_10 Depth=3
	s_wait_alu 0xfffe
	s_and_not1_saveexec_b32 s6, s6
; %bb.40:                               ;   in Loop: Header=BB85_10 Depth=3
	ds_store_b64 v43, v[10:11] offset:4224
; %bb.41:                               ;   in Loop: Header=BB85_10 Depth=3
	s_wait_alu 0xfffe
	s_or_b32 exec_lo, exec_lo, s6
.LBB85_42:                              ;   in Loop: Header=BB85_10 Depth=3
	s_wait_alu 0xfffe
	s_or_b32 exec_lo, exec_lo, s5
	v_add_co_u32 v0, s5, v14, s50
	s_wait_alu 0xf1ff
	v_add_co_ci_u32_e64 v1, null, s51, v15, s5
	v_add_co_u32 v2, s6, v38, v20
	s_wait_alu 0xf1ff
	v_add_co_ci_u32_e64 v3, null, v39, v21, s6
	s_delay_alu instid0(VALU_DEP_3)
	v_cmp_le_i64_e64 s5, s[44:45], v[0:1]
	s_nor_b32 s6, s5, s2
	s_wait_alu 0xfffe
	s_and_saveexec_b32 s7, s6
	s_wait_alu 0xfffe
	s_xor_b32 s6, exec_lo, s7
	s_cbranch_execz .LBB85_44
; %bb.43:                               ;   in Loop: Header=BB85_10 Depth=3
	global_load_b64 v[58:59], v[2:3], off offset:-128
	s_wait_loadcnt 0x0
	ds_store_b64 v44, v[58:59]
.LBB85_44:                              ;   in Loop: Header=BB85_10 Depth=3
	s_wait_alu 0xfffe
	s_and_not1_saveexec_b32 s6, s6
; %bb.45:                               ;   in Loop: Header=BB85_10 Depth=3
	v_dual_mov_b32 v58, v11 :: v_dual_mov_b32 v59, v11
	ds_store_b64 v44, v[58:59]
; %bb.46:                               ;   in Loop: Header=BB85_10 Depth=3
	s_wait_alu 0xfffe
	s_or_b32 exec_lo, exec_lo, s6
	s_nor_b32 s5, s5, s3
	s_wait_alu 0xfffe
	s_and_saveexec_b32 s6, s5
	s_wait_alu 0xfffe
	s_xor_b32 s5, exec_lo, s6
	s_cbranch_execz .LBB85_48
; %bb.47:                               ;   in Loop: Header=BB85_10 Depth=3
	global_load_b64 v[2:3], v[2:3], off
	s_wait_loadcnt 0x0
	ds_store_b64 v44, v[2:3] offset:128
.LBB85_48:                              ;   in Loop: Header=BB85_10 Depth=3
	s_wait_alu 0xfffe
	s_and_not1_saveexec_b32 s5, s5
; %bb.49:                               ;   in Loop: Header=BB85_10 Depth=3
	v_dual_mov_b32 v2, v11 :: v_dual_mov_b32 v3, v11
	ds_store_b64 v44, v[2:3] offset:128
; %bb.50:                               ;   in Loop: Header=BB85_10 Depth=3
	s_wait_alu 0xfffe
	s_or_b32 exec_lo, exec_lo, s5
	v_cmp_le_i64_e64 s5, s[26:27], v[0:1]
	v_add_co_u32 v0, s6, v38, v26
	s_wait_alu 0xf1ff
	v_add_co_ci_u32_e64 v1, null, v39, v27, s6
	s_nor_b32 s6, s5, s2
	s_wait_alu 0xfffe
	s_and_saveexec_b32 s7, s6
	s_wait_alu 0xfffe
	s_xor_b32 s6, exec_lo, s7
	s_cbranch_execz .LBB85_52
; %bb.51:                               ;   in Loop: Header=BB85_10 Depth=3
	global_load_b64 v[2:3], v[0:1], off offset:-128
	s_wait_loadcnt 0x0
	ds_store_b64 v44, v[2:3] offset:4096
.LBB85_52:                              ;   in Loop: Header=BB85_10 Depth=3
	s_wait_alu 0xfffe
	s_and_not1_saveexec_b32 s6, s6
; %bb.53:                               ;   in Loop: Header=BB85_10 Depth=3
	v_dual_mov_b32 v2, v11 :: v_dual_mov_b32 v3, v11
	ds_store_b64 v44, v[2:3] offset:4096
; %bb.54:                               ;   in Loop: Header=BB85_10 Depth=3
	s_wait_alu 0xfffe
	s_or_b32 exec_lo, exec_lo, s6
	s_nor_b32 s5, s5, s3
	s_wait_alu 0xfffe
	s_and_saveexec_b32 s6, s5
	s_wait_alu 0xfffe
	s_xor_b32 s5, exec_lo, s6
	s_cbranch_execz .LBB85_56
; %bb.55:                               ;   in Loop: Header=BB85_10 Depth=3
	global_load_b64 v[0:1], v[0:1], off
	s_wait_loadcnt 0x0
	ds_store_b64 v44, v[0:1] offset:4224
.LBB85_56:                              ;   in Loop: Header=BB85_10 Depth=3
	s_wait_alu 0xfffe
	s_and_not1_saveexec_b32 s5, s5
	s_cbranch_execz .LBB85_9
; %bb.57:                               ;   in Loop: Header=BB85_10 Depth=3
	v_dual_mov_b32 v0, v11 :: v_dual_mov_b32 v1, v11
	ds_store_b64 v44, v[0:1] offset:4224
	s_branch .LBB85_9
.LBB85_58:                              ;   in Loop: Header=BB85_7 Depth=2
	v_dual_mov_b32 v56, 0 :: v_dual_mov_b32 v57, 0
	v_dual_mov_b32 v54, 0 :: v_dual_mov_b32 v55, 0
	;; [unrolled: 1-line block ×4, first 2 shown]
.LBB85_59:                              ;   in Loop: Header=BB85_7 Depth=2
	v_mul_lo_u32 v2, s29, v18
	v_mul_lo_u32 v3, s28, v19
	v_mad_co_u64_u32 v[0:1], null, s28, v18, 0
	v_cmp_gt_i32_e32 vcc_lo, s38, v18
	s_delay_alu instid0(VALU_DEP_2) | instskip(NEXT) | instid1(VALU_DEP_1)
	v_add3_u32 v1, v1, v3, v2
	v_lshlrev_b64_e32 v[0:1], 3, v[0:1]
	s_delay_alu instid0(VALU_DEP_1) | instskip(SKIP_1) | instid1(VALU_DEP_2)
	v_add_co_u32 v0, s4, s36, v0
	s_wait_alu 0xf1ff
	v_add_co_ci_u32_e64 v1, null, s37, v1, s4
	s_and_b32 s4, s0, vcc_lo
	s_wait_alu 0xfffe
	s_and_saveexec_b32 s5, s4
	s_cbranch_execz .LBB85_61
; %bb.60:                               ;   in Loop: Header=BB85_7 Depth=2
	v_add_co_u32 v2, s4, v0, v6
	s_wait_alu 0xf1ff
	v_add_co_ci_u32_e64 v3, null, v1, v7, s4
	v_mul_f32_e32 v17, s40, v57
	global_load_b64 v[19:20], v[2:3], off
	v_fmac_f32_e32 v17, s41, v56
	s_wait_loadcnt 0x0
	s_delay_alu instid0(VALU_DEP_1) | instskip(NEXT) | instid1(VALU_DEP_1)
	v_dual_mul_f32 v15, s41, v57 :: v_dual_add_f32 v20, v17, v20
	v_fma_f32 v15, v56, s40, -v15
	s_delay_alu instid0(VALU_DEP_1)
	v_add_f32_e32 v19, v19, v15
	global_store_b64 v[2:3], v[19:20], off
.LBB85_61:                              ;   in Loop: Header=BB85_7 Depth=2
	s_wait_alu 0xfffe
	s_or_b32 exec_lo, exec_lo, s5
	s_and_b32 s5, s1, vcc_lo
	s_wait_alu 0xfffe
	s_and_saveexec_b32 s4, s5
	s_cbranch_execz .LBB85_63
; %bb.62:                               ;   in Loop: Header=BB85_7 Depth=2
	v_lshlrev_b64_e32 v[2:3], 3, v[4:5]
	v_mul_f32_e32 v15, s41, v55
	v_mul_f32_e32 v17, s40, v55
	s_delay_alu instid0(VALU_DEP_2) | instskip(NEXT) | instid1(VALU_DEP_4)
	v_fma_f32 v15, v54, s40, -v15
	v_add_co_u32 v0, vcc_lo, v0, v2
	s_wait_alu 0xfffd
	v_add_co_ci_u32_e64 v1, null, v1, v3, vcc_lo
	global_load_b64 v[2:3], v[0:1], off
	s_wait_loadcnt 0x0
	v_dual_fmac_f32 v17, s41, v54 :: v_dual_add_f32 v2, v2, v15
	s_delay_alu instid0(VALU_DEP_1)
	v_add_f32_e32 v3, v17, v3
	global_store_b64 v[0:1], v[2:3], off
.LBB85_63:                              ;   in Loop: Header=BB85_7 Depth=2
	s_wait_alu 0xfffe
	s_or_b32 exec_lo, exec_lo, s4
	v_add_nc_u32_e32 v2, 16, v18
	s_delay_alu instid0(VALU_DEP_1) | instskip(SKIP_3) | instid1(VALU_DEP_4)
	v_ashrrev_i32_e32 v3, 31, v2
	v_mul_lo_u32 v15, s29, v2
	v_mad_co_u64_u32 v[0:1], null, s28, v2, 0
	v_cmp_gt_i32_e32 vcc_lo, s38, v2
	v_mul_lo_u32 v3, s28, v3
	s_delay_alu instid0(VALU_DEP_1) | instskip(NEXT) | instid1(VALU_DEP_1)
	v_add3_u32 v1, v1, v3, v15
	v_lshlrev_b64_e32 v[0:1], 3, v[0:1]
	s_delay_alu instid0(VALU_DEP_1) | instskip(SKIP_1) | instid1(VALU_DEP_2)
	v_add_co_u32 v0, s4, s36, v0
	s_wait_alu 0xf1ff
	v_add_co_ci_u32_e64 v1, null, s37, v1, s4
	s_and_b32 s4, s0, vcc_lo
	s_wait_alu 0xfffe
	s_and_saveexec_b32 s5, s4
	s_cbranch_execz .LBB85_65
; %bb.64:                               ;   in Loop: Header=BB85_7 Depth=2
	v_add_co_u32 v2, s4, v0, v6
	s_wait_alu 0xf1ff
	v_add_co_ci_u32_e64 v3, null, v1, v7, s4
	v_mul_f32_e32 v19, s40, v53
	global_load_b64 v[17:18], v[2:3], off
	v_fmac_f32_e32 v19, s41, v52
	s_wait_loadcnt 0x0
	s_delay_alu instid0(VALU_DEP_1) | instskip(NEXT) | instid1(VALU_DEP_1)
	v_dual_mul_f32 v15, s41, v53 :: v_dual_add_f32 v18, v19, v18
	v_fma_f32 v15, v52, s40, -v15
	s_delay_alu instid0(VALU_DEP_1)
	v_add_f32_e32 v17, v17, v15
	global_store_b64 v[2:3], v[17:18], off
.LBB85_65:                              ;   in Loop: Header=BB85_7 Depth=2
	s_wait_alu 0xfffe
	s_or_b32 exec_lo, exec_lo, s5
	s_and_b32 s5, s1, vcc_lo
	s_wait_alu 0xfffe
	s_and_saveexec_b32 s4, s5
	s_cbranch_execz .LBB85_6
; %bb.66:                               ;   in Loop: Header=BB85_7 Depth=2
	v_lshlrev_b64_e32 v[2:3], 3, v[4:5]
	v_mul_f32_e32 v15, s41, v50
	s_delay_alu instid0(VALU_DEP_1) | instskip(NEXT) | instid1(VALU_DEP_3)
	v_fma_f32 v15, v51, s40, -v15
	v_add_co_u32 v0, vcc_lo, v0, v2
	s_wait_alu 0xfffd
	s_delay_alu instid0(VALU_DEP_4) | instskip(SKIP_3) | instid1(VALU_DEP_1)
	v_add_co_ci_u32_e64 v1, null, v1, v3, vcc_lo
	global_load_b64 v[2:3], v[0:1], off
	s_wait_loadcnt 0x0
	v_dual_mul_f32 v17, s40, v50 :: v_dual_add_f32 v2, v2, v15
	v_fmac_f32_e32 v17, s41, v51
	s_delay_alu instid0(VALU_DEP_1)
	v_add_f32_e32 v3, v17, v3
	global_store_b64 v[0:1], v[2:3], off
	s_branch .LBB85_6
.LBB85_67:
	s_endpgm
	.section	.rodata,"a",@progbits
	.p2align	6, 0x0
	.amdhsa_kernel _ZL30rocblas_trmm_outofplace_kernelI19rocblas_complex_numIfELi32ELi2ELb0ELb0ELb0ELb0ES1_KS1_S1_Ev17rocblas_diagonal_iiT6_lPT7_lllS6_lllPT8_llli
		.amdhsa_group_segment_fixed_size 16384
		.amdhsa_private_segment_fixed_size 0
		.amdhsa_kernarg_size 392
		.amdhsa_user_sgpr_count 2
		.amdhsa_user_sgpr_dispatch_ptr 0
		.amdhsa_user_sgpr_queue_ptr 0
		.amdhsa_user_sgpr_kernarg_segment_ptr 1
		.amdhsa_user_sgpr_dispatch_id 0
		.amdhsa_user_sgpr_private_segment_size 0
		.amdhsa_wavefront_size32 1
		.amdhsa_uses_dynamic_stack 0
		.amdhsa_enable_private_segment 0
		.amdhsa_system_sgpr_workgroup_id_x 1
		.amdhsa_system_sgpr_workgroup_id_y 1
		.amdhsa_system_sgpr_workgroup_id_z 1
		.amdhsa_system_sgpr_workgroup_info 0
		.amdhsa_system_vgpr_workitem_id 1
		.amdhsa_next_free_vgpr 92
		.amdhsa_next_free_sgpr 62
		.amdhsa_reserve_vcc 1
		.amdhsa_float_round_mode_32 0
		.amdhsa_float_round_mode_16_64 0
		.amdhsa_float_denorm_mode_32 3
		.amdhsa_float_denorm_mode_16_64 3
		.amdhsa_fp16_overflow 0
		.amdhsa_workgroup_processor_mode 1
		.amdhsa_memory_ordered 1
		.amdhsa_forward_progress 1
		.amdhsa_inst_pref_size 60
		.amdhsa_round_robin_scheduling 0
		.amdhsa_exception_fp_ieee_invalid_op 0
		.amdhsa_exception_fp_denorm_src 0
		.amdhsa_exception_fp_ieee_div_zero 0
		.amdhsa_exception_fp_ieee_overflow 0
		.amdhsa_exception_fp_ieee_underflow 0
		.amdhsa_exception_fp_ieee_inexact 0
		.amdhsa_exception_int_div_zero 0
	.end_amdhsa_kernel
	.section	.text._ZL30rocblas_trmm_outofplace_kernelI19rocblas_complex_numIfELi32ELi2ELb0ELb0ELb0ELb0ES1_KS1_S1_Ev17rocblas_diagonal_iiT6_lPT7_lllS6_lllPT8_llli,"axG",@progbits,_ZL30rocblas_trmm_outofplace_kernelI19rocblas_complex_numIfELi32ELi2ELb0ELb0ELb0ELb0ES1_KS1_S1_Ev17rocblas_diagonal_iiT6_lPT7_lllS6_lllPT8_llli,comdat
.Lfunc_end85:
	.size	_ZL30rocblas_trmm_outofplace_kernelI19rocblas_complex_numIfELi32ELi2ELb0ELb0ELb0ELb0ES1_KS1_S1_Ev17rocblas_diagonal_iiT6_lPT7_lllS6_lllPT8_llli, .Lfunc_end85-_ZL30rocblas_trmm_outofplace_kernelI19rocblas_complex_numIfELi32ELi2ELb0ELb0ELb0ELb0ES1_KS1_S1_Ev17rocblas_diagonal_iiT6_lPT7_lllS6_lllPT8_llli
                                        ; -- End function
	.set _ZL30rocblas_trmm_outofplace_kernelI19rocblas_complex_numIfELi32ELi2ELb0ELb0ELb0ELb0ES1_KS1_S1_Ev17rocblas_diagonal_iiT6_lPT7_lllS6_lllPT8_llli.num_vgpr, 92
	.set _ZL30rocblas_trmm_outofplace_kernelI19rocblas_complex_numIfELi32ELi2ELb0ELb0ELb0ELb0ES1_KS1_S1_Ev17rocblas_diagonal_iiT6_lPT7_lllS6_lllPT8_llli.num_agpr, 0
	.set _ZL30rocblas_trmm_outofplace_kernelI19rocblas_complex_numIfELi32ELi2ELb0ELb0ELb0ELb0ES1_KS1_S1_Ev17rocblas_diagonal_iiT6_lPT7_lllS6_lllPT8_llli.numbered_sgpr, 62
	.set _ZL30rocblas_trmm_outofplace_kernelI19rocblas_complex_numIfELi32ELi2ELb0ELb0ELb0ELb0ES1_KS1_S1_Ev17rocblas_diagonal_iiT6_lPT7_lllS6_lllPT8_llli.num_named_barrier, 0
	.set _ZL30rocblas_trmm_outofplace_kernelI19rocblas_complex_numIfELi32ELi2ELb0ELb0ELb0ELb0ES1_KS1_S1_Ev17rocblas_diagonal_iiT6_lPT7_lllS6_lllPT8_llli.private_seg_size, 0
	.set _ZL30rocblas_trmm_outofplace_kernelI19rocblas_complex_numIfELi32ELi2ELb0ELb0ELb0ELb0ES1_KS1_S1_Ev17rocblas_diagonal_iiT6_lPT7_lllS6_lllPT8_llli.uses_vcc, 1
	.set _ZL30rocblas_trmm_outofplace_kernelI19rocblas_complex_numIfELi32ELi2ELb0ELb0ELb0ELb0ES1_KS1_S1_Ev17rocblas_diagonal_iiT6_lPT7_lllS6_lllPT8_llli.uses_flat_scratch, 0
	.set _ZL30rocblas_trmm_outofplace_kernelI19rocblas_complex_numIfELi32ELi2ELb0ELb0ELb0ELb0ES1_KS1_S1_Ev17rocblas_diagonal_iiT6_lPT7_lllS6_lllPT8_llli.has_dyn_sized_stack, 0
	.set _ZL30rocblas_trmm_outofplace_kernelI19rocblas_complex_numIfELi32ELi2ELb0ELb0ELb0ELb0ES1_KS1_S1_Ev17rocblas_diagonal_iiT6_lPT7_lllS6_lllPT8_llli.has_recursion, 0
	.set _ZL30rocblas_trmm_outofplace_kernelI19rocblas_complex_numIfELi32ELi2ELb0ELb0ELb0ELb0ES1_KS1_S1_Ev17rocblas_diagonal_iiT6_lPT7_lllS6_lllPT8_llli.has_indirect_call, 0
	.section	.AMDGPU.csdata,"",@progbits
; Kernel info:
; codeLenInByte = 7580
; TotalNumSgprs: 64
; NumVgprs: 92
; ScratchSize: 0
; MemoryBound: 1
; FloatMode: 240
; IeeeMode: 1
; LDSByteSize: 16384 bytes/workgroup (compile time only)
; SGPRBlocks: 0
; VGPRBlocks: 11
; NumSGPRsForWavesPerEU: 64
; NumVGPRsForWavesPerEU: 92
; Occupancy: 16
; WaveLimiterHint : 0
; COMPUTE_PGM_RSRC2:SCRATCH_EN: 0
; COMPUTE_PGM_RSRC2:USER_SGPR: 2
; COMPUTE_PGM_RSRC2:TRAP_HANDLER: 0
; COMPUTE_PGM_RSRC2:TGID_X_EN: 1
; COMPUTE_PGM_RSRC2:TGID_Y_EN: 1
; COMPUTE_PGM_RSRC2:TGID_Z_EN: 1
; COMPUTE_PGM_RSRC2:TIDIG_COMP_CNT: 1
	.section	.text._ZL30rocblas_trmm_outofplace_kernelI19rocblas_complex_numIfELi32ELi2ELb0ELb1ELb0ELb0EPKS1_S2_S1_Ev17rocblas_diagonal_iiT6_lPT7_lllS7_lllPT8_llli,"axG",@progbits,_ZL30rocblas_trmm_outofplace_kernelI19rocblas_complex_numIfELi32ELi2ELb0ELb1ELb0ELb0EPKS1_S2_S1_Ev17rocblas_diagonal_iiT6_lPT7_lllS7_lllPT8_llli,comdat
	.globl	_ZL30rocblas_trmm_outofplace_kernelI19rocblas_complex_numIfELi32ELi2ELb0ELb1ELb0ELb0EPKS1_S2_S1_Ev17rocblas_diagonal_iiT6_lPT7_lllS7_lllPT8_llli ; -- Begin function _ZL30rocblas_trmm_outofplace_kernelI19rocblas_complex_numIfELi32ELi2ELb0ELb1ELb0ELb0EPKS1_S2_S1_Ev17rocblas_diagonal_iiT6_lPT7_lllS7_lllPT8_llli
	.p2align	8
	.type	_ZL30rocblas_trmm_outofplace_kernelI19rocblas_complex_numIfELi32ELi2ELb0ELb1ELb0ELb0EPKS1_S2_S1_Ev17rocblas_diagonal_iiT6_lPT7_lllS7_lllPT8_llli,@function
_ZL30rocblas_trmm_outofplace_kernelI19rocblas_complex_numIfELi32ELi2ELb0ELb1ELb0ELb0EPKS1_S2_S1_Ev17rocblas_diagonal_iiT6_lPT7_lllS7_lllPT8_llli: ; @_ZL30rocblas_trmm_outofplace_kernelI19rocblas_complex_numIfELi32ELi2ELb0ELb1ELb0ELb0EPKS1_S2_S1_Ev17rocblas_diagonal_iiT6_lPT7_lllS7_lllPT8_llli
; %bb.0:
	s_load_b32 s33, s[0:1], 0x80
	s_lshr_b32 s34, ttmp7, 16
	s_wait_kmcnt 0x0
	s_cmp_ge_u32 s34, s33
	s_cbranch_scc1 .LBB86_67
; %bb.1:
	s_clause 0x1
	s_load_b96 s[36:38], s[0:1], 0x0
	s_load_b256 s[4:11], s[0:1], 0x50
	v_bfe_u32 v39, v0, 10, 10
	s_clause 0x1
	s_load_b512 s[12:27], s[0:1], 0x10
	s_load_b128 s[28:31], s[0:1], 0x70
	s_add_nc_u64 s[40:41], s[0:1], 0x88
	v_dual_mov_b32 v5, 0 :: v_dual_and_b32 v38, 0x3ff, v0
	s_and_b32 s39, ttmp7, 0xffff
	s_mov_b32 s35, 0
	v_lshl_add_u32 v47, s39, 5, v39
	s_delay_alu instid0(VALU_DEP_2) | instskip(NEXT) | instid1(VALU_DEP_1)
	v_lshl_add_u32 v0, ttmp9, 5, v38
	v_ashrrev_i32_e32 v1, 31, v0
	s_wait_kmcnt 0x0
	s_add_co_i32 s0, s38, -1
	v_mad_co_u64_u32 v[10:11], null, s4, v39, 0
	s_wait_alu 0xfffe
	s_ashr_i32 s1, s0, 31
	v_lshlrev_b32_e32 v40, 3, v38
	s_wait_alu 0xfffe
	s_lshr_b32 s1, s1, 27
	v_sub_co_u32 v6, vcc_lo, s37, v0
	s_wait_alu 0xfffe
	s_add_co_i32 s2, s0, s1
	s_lshl_b64 s[0:1], s[10:11], 3
	s_ashr_i32 s50, s2, 5
	v_mov_b32_e32 v3, v11
	s_cmp_le_i32 s39, s50
	s_wait_alu 0xfffe
	s_add_nc_u64 s[42:43], s[8:9], s[0:1]
	s_cselect_b32 s51, -1, 0
	s_cmp_eq_u32 s36, 0x84
	v_mad_co_u64_u32 v[8:9], null, s5, v39, v[3:4]
	s_cselect_b32 s52, -1, 0
	s_ashr_i32 s0, s37, 31
	v_lshl_add_u32 v4, v39, 3, 0x80
	s_wait_alu 0xfffe
	v_sub_co_ci_u32_e64 v7, null, s0, v1, vcc_lo
	v_dual_mov_b32 v11, v8 :: v_dual_add_nc_u32 v2, 16, v0
	v_cmp_gt_i32_e64 s2, s37, v0
	s_delay_alu instid0(VALU_DEP_3)
	v_cmp_gt_i64_e64 s0, 1, v[6:7]
	v_cmp_gt_i64_e64 s1, 17, v[6:7]
	v_mad_co_u64_u32 v[6:7], null, s4, v4, 0
	v_lshlrev_b32_e32 v41, 8, v39
	v_lshlrev_b64_e32 v[8:9], 3, v[0:1]
	s_lshl_b64 s[8:9], s[26:27], 3
	v_ashrrev_i32_e32 v3, 31, v2
	s_add_nc_u64 s[8:9], s[24:25], s[8:9]
	v_or_b32_e32 v42, 0x2000, v40
	v_mov_b32_e32 v0, v7
	v_add_co_u32 v7, vcc_lo, s8, v8
	s_wait_alu 0xfffd
	v_add_co_ci_u32_e64 v13, null, s9, v9, vcc_lo
	s_delay_alu instid0(VALU_DEP_3)
	v_mad_co_u64_u32 v[0:1], null, s5, v4, v[0:1]
	s_lshl_b64 s[44:45], s[4:5], 8
	v_sub_co_u32 v45, s4, 0, v38
	v_add_co_u32 v12, vcc_lo, 0x80, v7
	v_lshlrev_b64_e32 v[10:11], 3, v[10:11]
	v_lshlrev_b64_e32 v[14:15], 3, v[2:3]
	v_dual_mov_b32 v4, 1.0 :: v_dual_add_nc_u32 v43, v41, v40
	v_dual_mov_b32 v7, v0 :: v_dual_add_nc_u32 v44, v42, v41
	v_cmp_gt_i32_e64 s3, s37, v2
	s_wait_alu 0xf1ff
	v_sub_co_ci_u32_e64 v46, null, 0, 0, s4
	s_wait_alu 0xfffd
	v_add_co_ci_u32_e64 v13, null, 0, v13, vcc_lo
	v_add_nc_u32_e32 v48, 0x800, v42
	v_add_nc_u32_e32 v49, 0x1000, v42
	;; [unrolled: 1-line block ×3, first 2 shown]
	s_mov_b32 s10, s38
	s_ashr_i32 s11, s38, 31
	s_lshl_b64 s[4:5], s[18:19], 3
	s_add_nc_u64 s[46:47], s[10:11], -16
	s_lshl_b64 s[18:19], s[6:7], 3
	s_wait_alu 0xfffe
	s_add_nc_u64 s[16:17], s[16:17], s[4:5]
	s_lshl_b64 s[22:23], s[22:23], 3
	s_lshl_b64 s[24:25], s[20:21], 3
	s_branch .LBB86_4
.LBB86_2:                               ;   in Loop: Header=BB86_4 Depth=1
	s_add_co_i32 s34, s34, 0x10000
	s_wait_alu 0xfffe
	s_cmp_ge_u32 s34, s33
	s_cselect_b32 s4, -1, 0
.LBB86_3:                               ;   in Loop: Header=BB86_4 Depth=1
	s_wait_alu 0xfffe
	s_and_b32 vcc_lo, exec_lo, s4
	s_wait_alu 0xfffe
	s_cbranch_vccnz .LBB86_67
.LBB86_4:                               ; =>This Loop Header: Depth=1
                                        ;     Child Loop BB86_8 Depth 2
                                        ;       Child Loop BB86_11 Depth 3
	s_mul_u64 s[4:5], s[14:15], s[34:35]
	s_wait_alu 0xfffe
	s_lshl_b64 s[4:5], s[4:5], 3
	s_wait_alu 0xfffe
	s_add_nc_u64 s[4:5], s[12:13], s[4:5]
	global_load_b64 v[16:17], v5, s[4:5]
	s_mov_b32 s4, -1
	s_wait_loadcnt 0x0
	v_or_b32_e32 v0, v16, v17
	s_delay_alu instid0(VALU_DEP_1) | instskip(NEXT) | instid1(VALU_DEP_1)
	v_and_b32_e32 v0, 0x7fffffff, v0
	v_cmp_eq_u32_e32 vcc_lo, 0, v0
	s_cbranch_vccnz .LBB86_3
; %bb.5:                                ;   in Loop: Header=BB86_4 Depth=1
	s_and_not1_b32 vcc_lo, exec_lo, s51
	s_wait_alu 0xfffe
	s_cbranch_vccnz .LBB86_2
; %bb.6:                                ;   in Loop: Header=BB86_4 Depth=1
	v_mad_co_u64_u32 v[18:19], null, s18, s34, v[12:13]
	s_load_b32 s53, s[40:41], 0x4
	s_mul_u64 s[4:5], s[30:31], s[34:35]
	s_mul_u64 s[6:7], s[22:23], s[34:35]
	s_wait_alu 0xfffe
	s_lshl_b64 s[4:5], s[4:5], 3
	s_add_nc_u64 s[36:37], s[16:17], s[6:7]
	s_wait_alu 0xfffe
	s_add_nc_u64 s[26:27], s[42:43], s[4:5]
	v_mov_b32_e32 v0, v19
	s_mov_b32 s55, s39
	v_mov_b32_e32 v20, v47
	s_delay_alu instid0(VALU_DEP_2) | instskip(NEXT) | instid1(VALU_DEP_1)
	v_mad_co_u64_u32 v[0:1], null, s19, s34, v[0:1]
	v_mov_b32_e32 v19, v0
	s_wait_kmcnt 0x0
	s_lshl_b32 s54, s53, 5
	s_branch .LBB86_8
.LBB86_7:                               ;   in Loop: Header=BB86_8 Depth=2
	s_wait_alu 0xfffe
	s_or_b32 exec_lo, exec_lo, s4
	v_add_nc_u32_e32 v20, s54, v20
	s_add_co_i32 s55, s53, s55
	s_wait_alu 0xfffe
	s_cmp_gt_i32 s55, s50
	s_cbranch_scc1 .LBB86_2
.LBB86_8:                               ;   Parent Loop BB86_4 Depth=1
                                        ; =>  This Loop Header: Depth=2
                                        ;       Child Loop BB86_11 Depth 3
	s_wait_alu 0xfffe
	s_lshl_b32 s56, s55, 5
	v_dual_mov_b32 v56, 0 :: v_dual_mov_b32 v57, 0
	s_wait_alu 0xfffe
	v_dual_mov_b32 v55, 0 :: v_dual_add_nc_u32 v22, s56, v39
	v_dual_mov_b32 v54, 0 :: v_dual_mov_b32 v53, 0
	v_dual_mov_b32 v52, 0 :: v_dual_mov_b32 v51, 0
	s_delay_alu instid0(VALU_DEP_3)
	v_ashrrev_i32_e32 v23, 31, v22
	v_mov_b32_e32 v21, 0
	s_cmp_lt_i32 s55, 0
	s_cbranch_scc1 .LBB86_59
; %bb.9:                                ;   in Loop: Header=BB86_8 Depth=2
	v_ashrrev_i32_e32 v21, 31, v20
	v_add_co_u32 v28, s4, v22, 16
	s_wait_alu 0xf1ff
	v_add_co_ci_u32_e64 v29, null, 0, v23, s4
	s_delay_alu instid0(VALU_DEP_3) | instskip(SKIP_3) | instid1(VALU_DEP_4)
	v_lshlrev_b64_e32 v[0:1], 3, v[20:21]
	v_add_co_u32 v30, s4, v45, v20
	v_mad_co_u64_u32 v[24:25], null, s24, v20, s[36:37]
	v_mul_lo_u32 v2, s25, v20
	v_add_co_u32 v0, vcc_lo, 0x80, v0
	s_wait_alu 0xfffd
	v_add_co_ci_u32_e64 v1, null, 0, v1, vcc_lo
	v_mul_lo_u32 v3, s24, v21
	s_delay_alu instid0(VALU_DEP_3) | instskip(SKIP_1) | instid1(VALU_DEP_4)
	v_mul_lo_u32 v32, s21, v0
	v_mad_co_u64_u32 v[26:27], null, s20, v0, s[36:37]
	v_mul_lo_u32 v1, s20, v1
	s_wait_alu 0xf1ff
	v_add_co_ci_u32_e64 v31, null, v46, v21, s4
	v_cmp_le_i64_e64 s4, s[10:11], v[28:29]
	v_dual_mov_b32 v37, v19 :: v_dual_mov_b32 v52, 0
	v_add3_u32 v25, v2, v25, v3
	v_dual_mov_b32 v21, 0 :: v_dual_mov_b32 v36, v18
	v_add3_u32 v27, v32, v27, v1
	v_add_co_u32 v32, s5, v30, 16
	s_wait_alu 0xf1ff
	v_add_co_ci_u32_e64 v33, null, 0, v31, s5
	v_add_co_u32 v34, s5, v30, -16
	s_wait_alu 0xf1ff
	v_add_co_ci_u32_e64 v35, null, -1, v31, s5
	v_dual_mov_b32 v51, 0 :: v_dual_mov_b32 v54, 0
	v_dual_mov_b32 v53, 0 :: v_dual_mov_b32 v56, 0
	v_mov_b32_e32 v55, 0
	v_mov_b32_e32 v57, 0
	s_mov_b64 s[48:49], 0
	v_cmp_le_i32_e32 vcc_lo, s38, v22
	s_branch .LBB86_11
.LBB86_10:                              ;   in Loop: Header=BB86_11 Depth=3
	s_wait_alu 0xfffe
	s_or_b32 exec_lo, exec_lo, s5
	s_wait_dscnt 0x0
	s_barrier_signal -1
	s_barrier_wait -1
	global_inv scope:SCOPE_SE
	ds_load_b128 v[58:61], v41
	ds_load_2addr_b64 v[62:65], v42 offset1:16
	ds_load_b128 v[66:69], v41 offset:4096
	ds_load_b128 v[70:73], v41 offset:16
	;; [unrolled: 1-line block ×4, first 2 shown]
	ds_load_2addr_b64 v[78:81], v42 offset0:32 offset1:48
	ds_load_b128 v[82:85], v41 offset:4112
	v_add_co_u32 v36, s5, v36, s44
	s_wait_alu 0xf1ff
	v_add_co_ci_u32_e64 v37, null, s45, v37, s5
	v_add_co_u32 v26, s5, 0x100, v26
	s_wait_alu 0xf1ff
	v_add_co_ci_u32_e64 v27, null, 0, v27, s5
	v_add_co_u32 v24, s5, 0x100, v24
	s_add_nc_u64 s[48:49], s[48:49], 32
	v_add_co_ci_u32_e64 v25, null, 0, v25, s5
	s_wait_dscnt 0x6
	v_dual_mul_f32 v86, v59, v63 :: v_dual_mul_f32 v89, v58, v65
	v_dual_mul_f32 v87, v58, v63 :: v_dual_mul_f32 v88, v59, v65
	s_wait_dscnt 0x5
	v_mul_f32_e32 v90, v67, v63
	s_delay_alu instid0(VALU_DEP_3)
	v_fma_f32 v86, v58, v62, -v86
	v_mul_f32_e32 v63, v66, v63
	v_fmac_f32_e32 v87, v59, v62
	v_fma_f32 v58, v58, v64, -v88
	v_mul_f32_e32 v91, v67, v65
	v_mul_f32_e32 v65, v66, v65
	v_fmac_f32_e32 v89, v59, v64
	v_fma_f32 v59, v66, v62, -v90
	v_add_f32_e32 v56, v56, v86
	v_fmac_f32_e32 v63, v67, v62
	v_add_f32_e32 v58, v54, v58
	v_fma_f32 v62, v66, v64, -v91
	s_wait_dscnt 0x1
	v_mul_f32_e32 v66, v61, v79
	v_add_f32_e32 v57, v57, v87
	s_wait_alu 0xfffe
	s_sub_co_i32 s5, s48, 32
	v_add_f32_e32 v62, v51, v62
	v_fma_f32 v66, v60, v78, -v66
	v_dual_fmac_f32 v65, v67, v64 :: v_dual_mul_f32 v64, v60, v79
	v_add_f32_e32 v55, v55, v89
	s_delay_alu instid0(VALU_DEP_3) | instskip(NEXT) | instid1(VALU_DEP_3)
	v_dual_mul_f32 v67, v61, v81 :: v_dual_add_f32 v66, v56, v66
	v_add_f32_e32 v21, v21, v65
	s_delay_alu instid0(VALU_DEP_4) | instskip(SKIP_1) | instid1(VALU_DEP_4)
	v_dual_fmac_f32 v64, v61, v78 :: v_dual_mul_f32 v65, v60, v81
	v_add_f32_e32 v59, v52, v59
	v_fma_f32 v56, v60, v80, -v67
	v_mul_f32_e32 v60, v69, v79
	s_delay_alu instid0(VALU_DEP_4)
	v_add_f32_e32 v64, v57, v64
	v_fmac_f32_e32 v65, v61, v80
	v_add_f32_e32 v63, v53, v63
	ds_load_2addr_b64 v[51:54], v42 offset0:64 offset1:80
	v_mul_f32_e32 v57, v68, v79
	v_add_f32_e32 v61, v58, v56
	v_fma_f32 v56, v68, v78, -v60
	v_mul_f32_e32 v58, v69, v81
	s_wait_alu 0xfffe
	s_cmp_ge_i32 s5, s56
	v_fmac_f32_e32 v57, v69, v78
	s_wait_dscnt 0x0
	v_mul_f32_e32 v67, v70, v52
	s_delay_alu instid0(VALU_DEP_1) | instskip(NEXT) | instid1(VALU_DEP_1)
	v_fmac_f32_e32 v67, v71, v51
	v_add_f32_e32 v64, v64, v67
	v_add_f32_e32 v60, v55, v65
	;; [unrolled: 1-line block ×3, first 2 shown]
	v_fma_f32 v55, v68, v80, -v58
	v_dual_mul_f32 v56, v71, v52 :: v_dual_mul_f32 v65, v68, v81
	v_mul_f32_e32 v67, v83, v52
	v_dual_mul_f32 v52, v82, v52 :: v_dual_add_f32 v63, v63, v57
	s_delay_alu instid0(VALU_DEP_4) | instskip(NEXT) | instid1(VALU_DEP_4)
	v_add_f32_e32 v62, v62, v55
	v_fma_f32 v68, v70, v51, -v56
	ds_load_2addr_b64 v[55:58], v42 offset0:96 offset1:112
	v_dual_fmac_f32 v65, v69, v80 :: v_dual_fmac_f32 v52, v83, v51
	v_fma_f32 v67, v82, v51, -v67
	v_mul_f32_e32 v69, v71, v54
	s_delay_alu instid0(VALU_DEP_3) | instskip(SKIP_2) | instid1(VALU_DEP_4)
	v_add_f32_e32 v21, v21, v65
	v_add_f32_e32 v65, v66, v68
	v_mul_f32_e32 v66, v70, v54
	v_fma_f32 v68, v70, v53, -v69
	s_delay_alu instid0(VALU_DEP_1) | instskip(SKIP_1) | instid1(VALU_DEP_2)
	v_dual_fmac_f32 v66, v71, v53 :: v_dual_add_f32 v61, v61, v68
	v_mul_f32_e32 v68, v83, v54
	v_add_f32_e32 v60, v60, v66
	s_wait_dscnt 0x0
	v_dual_add_f32 v66, v59, v67 :: v_dual_mul_f32 v59, v73, v56
	s_delay_alu instid0(VALU_DEP_3) | instskip(SKIP_1) | instid1(VALU_DEP_3)
	v_fma_f32 v51, v82, v53, -v68
	v_mul_f32_e32 v68, v73, v58
	v_fma_f32 v59, v72, v55, -v59
	s_delay_alu instid0(VALU_DEP_3) | instskip(NEXT) | instid1(VALU_DEP_3)
	v_add_f32_e32 v67, v62, v51
	v_fma_f32 v68, v72, v57, -v68
	s_delay_alu instid0(VALU_DEP_3) | instskip(SKIP_2) | instid1(VALU_DEP_3)
	v_dual_mul_f32 v62, v72, v56 :: v_dual_add_f32 v65, v65, v59
	v_mul_f32_e32 v59, v85, v56
	v_mul_f32_e32 v56, v84, v56
	v_fmac_f32_e32 v62, v73, v55
	s_delay_alu instid0(VALU_DEP_3) | instskip(NEXT) | instid1(VALU_DEP_3)
	v_fma_f32 v70, v84, v55, -v59
	v_fmac_f32_e32 v56, v85, v55
	s_delay_alu instid0(VALU_DEP_3) | instskip(NEXT) | instid1(VALU_DEP_3)
	v_add_f32_e32 v64, v64, v62
	v_add_f32_e32 v70, v66, v70
	v_mul_f32_e32 v66, v84, v58
	v_dual_mul_f32 v69, v82, v54 :: v_dual_add_f32 v68, v61, v68
	s_delay_alu instid0(VALU_DEP_2) | instskip(NEXT) | instid1(VALU_DEP_2)
	v_dual_add_f32 v63, v63, v52 :: v_dual_fmac_f32 v66, v85, v57
	v_fmac_f32_e32 v69, v83, v53
	ds_load_2addr_b64 v[51:54], v42 offset0:128 offset1:144
	v_mul_f32_e32 v71, v85, v58
	v_add_f32_e32 v21, v21, v69
	s_delay_alu instid0(VALU_DEP_2) | instskip(SKIP_1) | instid1(VALU_DEP_3)
	v_fma_f32 v55, v84, v57, -v71
	v_add_f32_e32 v71, v63, v56
	v_add_f32_e32 v21, v21, v66
	s_wait_dscnt 0x0
	v_mul_f32_e32 v78, v74, v54
	s_delay_alu instid0(VALU_DEP_1) | instskip(SKIP_3) | instid1(VALU_DEP_3)
	v_dual_fmac_f32 v78, v75, v53 :: v_dual_mul_f32 v69, v72, v58
	v_mul_f32_e32 v58, v75, v52
	v_add_f32_e32 v67, v67, v55
	v_mul_f32_e32 v63, v74, v52
	v_fma_f32 v72, v74, v51, -v58
	s_delay_alu instid0(VALU_DEP_1)
	v_add_f32_e32 v72, v65, v72
	v_fmac_f32_e32 v69, v73, v57
	ds_load_2addr_b64 v[55:58], v42 offset0:160 offset1:176
	v_mul_f32_e32 v73, v75, v54
	v_add_f32_e32 v69, v60, v69
	ds_load_b128 v[59:62], v41 offset:4128
	v_fmac_f32_e32 v63, v75, v51
	v_fma_f32 v73, v74, v53, -v73
	s_delay_alu instid0(VALU_DEP_2)
	v_add_f32_e32 v79, v64, v63
	ds_load_b128 v[63:66], v41 offset:4144
	v_add_f32_e32 v68, v68, v73
	s_wait_dscnt 0x1
	v_mul_f32_e32 v74, v60, v52
	v_dual_mul_f32 v52, v59, v52 :: v_dual_mul_f32 v73, v60, v54
	v_dual_mul_f32 v75, v59, v54 :: v_dual_mul_f32 v54, v77, v56
	s_delay_alu instid0(VALU_DEP_3) | instskip(NEXT) | instid1(VALU_DEP_3)
	v_fma_f32 v74, v59, v51, -v74
	v_fmac_f32_e32 v52, v60, v51
	s_delay_alu instid0(VALU_DEP_4) | instskip(NEXT) | instid1(VALU_DEP_4)
	v_fma_f32 v51, v59, v53, -v73
	v_fmac_f32_e32 v75, v60, v53
	s_delay_alu instid0(VALU_DEP_3)
	v_dual_add_f32 v59, v70, v74 :: v_dual_add_f32 v70, v71, v52
	v_fma_f32 v71, v76, v55, -v54
	v_mul_f32_e32 v74, v62, v56
	v_add_f32_e32 v60, v67, v51
	ds_load_2addr_b64 v[51:54], v42 offset0:192 offset1:208
	v_mul_f32_e32 v73, v77, v58
	v_add_f32_e32 v71, v72, v71
	v_mul_f32_e32 v72, v76, v58
	s_delay_alu instid0(VALU_DEP_3) | instskip(SKIP_1) | instid1(VALU_DEP_3)
	v_fma_f32 v73, v76, v57, -v73
	v_add_f32_e32 v69, v69, v78
	v_fmac_f32_e32 v72, v77, v57
	s_delay_alu instid0(VALU_DEP_3) | instskip(SKIP_1) | instid1(VALU_DEP_3)
	v_add_f32_e32 v68, v68, v73
	v_fma_f32 v73, v61, v55, -v74
	v_add_f32_e32 v69, v69, v72
	v_dual_mul_f32 v72, v61, v58 :: v_dual_mul_f32 v67, v76, v56
	v_mul_f32_e32 v56, v61, v56
	s_delay_alu instid0(VALU_DEP_2) | instskip(NEXT) | instid1(VALU_DEP_2)
	v_dual_fmac_f32 v72, v62, v57 :: v_dual_fmac_f32 v67, v77, v55
	v_fmac_f32_e32 v56, v62, v55
	s_wait_dscnt 0x0
	v_dual_mul_f32 v55, v62, v58 :: v_dual_mul_f32 v62, v0, v52
	v_mul_f32_e32 v74, v0, v54
	s_delay_alu instid0(VALU_DEP_3) | instskip(NEXT) | instid1(VALU_DEP_3)
	v_add_f32_e32 v70, v70, v56
	v_fma_f32 v61, v61, v57, -v55
	ds_load_2addr_b64 v[55:58], v42 offset0:224 offset1:240
	v_fmac_f32_e32 v62, v1, v51
	v_add_f32_e32 v21, v21, v75
	v_fmac_f32_e32 v74, v1, v53
	v_add_f32_e32 v59, v59, v73
	v_dual_mul_f32 v73, v1, v52 :: v_dual_add_f32 v60, v60, v61
	s_delay_alu instid0(VALU_DEP_1) | instskip(SKIP_3) | instid1(VALU_DEP_3)
	v_fma_f32 v61, v0, v51, -v73
	v_mul_f32_e32 v73, v1, v54
	v_mul_f32_e32 v1, v64, v52
	;; [unrolled: 1-line block ×3, first 2 shown]
	v_fma_f32 v0, v0, v53, -v73
	v_add_f32_e32 v67, v79, v67
	s_delay_alu instid0(VALU_DEP_4) | instskip(NEXT) | instid1(VALU_DEP_4)
	v_fma_f32 v1, v63, v51, -v1
	v_dual_fmac_f32 v52, v64, v51 :: v_dual_add_f32 v71, v71, v61
	s_delay_alu instid0(VALU_DEP_4)
	v_add_f32_e32 v0, v68, v0
	v_mul_f32_e32 v61, v64, v54
	v_add_f32_e32 v68, v69, v74
	v_mul_f32_e32 v69, v63, v54
	s_wait_dscnt 0x0
	v_mul_f32_e32 v54, v3, v56
	v_mul_f32_e32 v73, v3, v58
	v_fma_f32 v51, v63, v53, -v61
	v_add_f32_e32 v63, v59, v1
	v_add_f32_e32 v67, v67, v62
	v_fma_f32 v1, v2, v55, -v54
	v_fmac_f32_e32 v69, v64, v53
	s_delay_alu instid0(VALU_DEP_2)
	v_dual_add_f32 v64, v60, v51 :: v_dual_add_f32 v71, v71, v1
	v_fma_f32 v1, v2, v57, -v73
	v_add_f32_e32 v21, v21, v72
	v_add_f32_e32 v72, v70, v52
	ds_load_b128 v[51:54], v41 offset:64
	ds_load_2addr_b64 v[59:62], v48 offset1:16
	v_mul_f32_e32 v70, v2, v56
	v_add_f32_e32 v74, v0, v1
	s_delay_alu instid0(VALU_DEP_2) | instskip(NEXT) | instid1(VALU_DEP_1)
	v_dual_add_f32 v21, v21, v69 :: v_dual_fmac_f32 v70, v3, v55
	v_add_f32_e32 v73, v67, v70
	v_mul_f32_e32 v70, v66, v58
	s_wait_dscnt 0x0
	v_mul_f32_e32 v78, v51, v62
	v_mul_f32_e32 v69, v2, v58
	;; [unrolled: 1-line block ×4, first 2 shown]
	s_delay_alu instid0(VALU_DEP_4) | instskip(NEXT) | instid1(VALU_DEP_4)
	v_fmac_f32_e32 v78, v52, v61
	v_fmac_f32_e32 v69, v3, v57
	s_delay_alu instid0(VALU_DEP_4)
	v_fma_f32 v67, v65, v55, -v2
	ds_load_b128 v[0:3], v41 offset:4160
	v_fmac_f32_e32 v56, v66, v55
	v_fma_f32 v55, v65, v57, -v70
	v_dual_add_f32 v75, v68, v69 :: v_dual_add_f32 v76, v63, v67
	ds_load_b128 v[67:70], v41 offset:80
	v_dual_add_f32 v72, v72, v56 :: v_dual_mul_f32 v63, v65, v58
	v_mul_f32_e32 v65, v51, v60
	s_delay_alu instid0(VALU_DEP_2) | instskip(NEXT) | instid1(VALU_DEP_2)
	v_dual_mul_f32 v58, v52, v60 :: v_dual_fmac_f32 v63, v66, v57
	v_fmac_f32_e32 v65, v52, v59
	v_mul_f32_e32 v66, v52, v62
	s_wait_dscnt 0x1
	v_mul_f32_e32 v52, v0, v60
	s_delay_alu instid0(VALU_DEP_1)
	v_dual_fmac_f32 v52, v1, v59 :: v_dual_add_f32 v75, v75, v78
	v_mul_f32_e32 v78, v0, v62
	v_add_f32_e32 v77, v64, v55
	v_fma_f32 v64, v51, v59, -v58
	ds_load_2addr_b64 v[55:58], v48 offset0:32 offset1:48
	v_fma_f32 v51, v51, v61, -v66
	v_mul_f32_e32 v79, v1, v60
	v_mul_f32_e32 v60, v1, v62
	v_fmac_f32_e32 v78, v1, v61
	s_delay_alu instid0(VALU_DEP_4) | instskip(NEXT) | instid1(VALU_DEP_4)
	v_dual_add_f32 v52, v72, v52 :: v_dual_add_f32 v51, v74, v51
	v_fma_f32 v74, v0, v59, -v79
	s_delay_alu instid0(VALU_DEP_4) | instskip(NEXT) | instid1(VALU_DEP_2)
	v_fma_f32 v0, v0, v61, -v60
	v_dual_add_f32 v74, v76, v74 :: v_dual_add_f32 v21, v21, v63
	s_delay_alu instid0(VALU_DEP_2)
	v_add_f32_e32 v72, v77, v0
	v_add_f32_e32 v73, v73, v65
	s_wait_dscnt 0x0
	v_mul_f32_e32 v59, v54, v56
	v_mul_f32_e32 v0, v53, v56
	v_dual_add_f32 v71, v71, v64 :: v_dual_mul_f32 v76, v54, v58
	v_add_f32_e32 v21, v21, v78
	s_delay_alu instid0(VALU_DEP_4)
	v_fma_f32 v1, v53, v55, -v59
	ds_load_2addr_b64 v[59:62], v48 offset0:64 offset1:80
	v_fmac_f32_e32 v0, v54, v55
	ds_load_b128 v[63:66], v41 offset:4176
	v_add_f32_e32 v71, v71, v1
	v_mul_f32_e32 v1, v53, v58
	v_fma_f32 v53, v53, v57, -v76
	v_mul_f32_e32 v76, v3, v56
	v_mul_f32_e32 v56, v2, v56
	v_add_f32_e32 v73, v73, v0
	s_delay_alu instid0(VALU_DEP_4) | instskip(NEXT) | instid1(VALU_DEP_4)
	v_add_f32_e32 v51, v51, v53
	v_fma_f32 v0, v2, v55, -v76
	s_delay_alu instid0(VALU_DEP_4) | instskip(NEXT) | instid1(VALU_DEP_1)
	v_fmac_f32_e32 v56, v3, v55
	v_dual_mul_f32 v53, v3, v58 :: v_dual_add_f32 v52, v52, v56
	s_wait_dscnt 0x1
	v_dual_fmac_f32 v1, v54, v57 :: v_dual_mul_f32 v56, v68, v60
	v_mul_f32_e32 v55, v2, v58
	v_add_f32_e32 v58, v74, v0
	v_mul_f32_e32 v74, v67, v62
	s_delay_alu instid0(VALU_DEP_4) | instskip(SKIP_1) | instid1(VALU_DEP_3)
	v_add_f32_e32 v54, v75, v1
	v_fma_f32 v56, v67, v59, -v56
	v_fmac_f32_e32 v74, v68, v61
	v_fma_f32 v53, v2, v57, -v53
	v_fmac_f32_e32 v55, v3, v57
	ds_load_2addr_b64 v[0:3], v48 offset0:96 offset1:112
	v_add_f32_e32 v71, v71, v56
	s_wait_dscnt 0x1
	v_mul_f32_e32 v56, v64, v60
	v_add_f32_e32 v53, v72, v53
	v_dual_mul_f32 v57, v67, v60 :: v_dual_mul_f32 v72, v68, v62
	s_delay_alu instid0(VALU_DEP_1) | instskip(SKIP_1) | instid1(VALU_DEP_3)
	v_dual_fmac_f32 v57, v68, v59 :: v_dual_add_f32 v68, v54, v74
	v_add_f32_e32 v21, v21, v55
	v_fma_f32 v55, v67, v61, -v72
	v_fma_f32 v54, v63, v59, -v56
	s_delay_alu instid0(VALU_DEP_4) | instskip(SKIP_1) | instid1(VALU_DEP_4)
	v_add_f32_e32 v67, v73, v57
	v_mul_f32_e32 v57, v63, v60
	v_dual_add_f32 v60, v51, v55 :: v_dual_mul_f32 v51, v64, v62
	s_delay_alu instid0(VALU_DEP_2)
	v_fmac_f32_e32 v57, v64, v59
	v_mul_f32_e32 v59, v63, v62
	s_wait_dscnt 0x0
	v_mul_f32_e32 v55, v70, v1
	v_fma_f32 v51, v63, v61, -v51
	v_dual_add_f32 v63, v58, v54 :: v_dual_add_f32 v72, v52, v57
	v_fmac_f32_e32 v59, v64, v61
	s_delay_alu instid0(VALU_DEP_4) | instskip(NEXT) | instid1(VALU_DEP_4)
	v_fma_f32 v61, v69, v0, -v55
	v_add_f32_e32 v64, v53, v51
	ds_load_b128 v[51:54], v41 offset:96
	ds_load_2addr_b64 v[55:58], v48 offset0:128 offset1:144
	v_dual_mul_f32 v62, v69, v1 :: v_dual_mul_f32 v73, v70, v3
	v_add_f32_e32 v21, v21, v59
	v_mul_f32_e32 v59, v69, v3
	s_delay_alu instid0(VALU_DEP_3) | instskip(NEXT) | instid1(VALU_DEP_4)
	v_dual_add_f32 v71, v71, v61 :: v_dual_fmac_f32 v62, v70, v0
	v_fma_f32 v61, v69, v2, -v73
	v_mul_f32_e32 v69, v66, v1
	v_mul_f32_e32 v1, v65, v1
	v_fmac_f32_e32 v59, v70, v2
	s_delay_alu instid0(VALU_DEP_4) | instskip(NEXT) | instid1(VALU_DEP_4)
	v_dual_add_f32 v73, v67, v62 :: v_dual_add_f32 v74, v60, v61
	v_fma_f32 v67, v65, v0, -v69
	v_mul_f32_e32 v69, v66, v3
	s_delay_alu instid0(VALU_DEP_2) | instskip(NEXT) | instid1(VALU_DEP_2)
	v_dual_fmac_f32 v1, v66, v0 :: v_dual_add_f32 v76, v63, v67
	v_fma_f32 v0, v65, v2, -v69
	v_mul_f32_e32 v63, v65, v3
	s_wait_dscnt 0x0
	v_mul_f32_e32 v3, v52, v56
	v_add_f32_e32 v72, v72, v1
	v_dual_mul_f32 v78, v51, v58 :: v_dual_add_f32 v77, v64, v0
	v_fmac_f32_e32 v63, v66, v2
	s_delay_alu instid0(VALU_DEP_4)
	v_fma_f32 v64, v51, v55, -v3
	ds_load_2addr_b64 v[0:3], v48 offset0:160 offset1:176
	v_add_f32_e32 v75, v68, v59
	ds_load_b128 v[59:62], v41 offset:4192
	ds_load_b128 v[67:70], v41 offset:112
	v_dual_mul_f32 v65, v51, v56 :: v_dual_mul_f32 v66, v52, v58
	v_fmac_f32_e32 v78, v52, v57
	s_delay_alu instid0(VALU_DEP_2) | instskip(NEXT) | instid1(VALU_DEP_3)
	v_fmac_f32_e32 v65, v52, v55
	v_fma_f32 v51, v51, v57, -v66
	s_wait_dscnt 0x1
	s_delay_alu instid0(VALU_DEP_1) | instskip(SKIP_2) | instid1(VALU_DEP_3)
	v_dual_add_f32 v51, v74, v51 :: v_dual_mul_f32 v52, v59, v56
	v_mul_f32_e32 v79, v60, v56
	v_mul_f32_e32 v56, v60, v58
	v_fmac_f32_e32 v52, v60, v55
	s_delay_alu instid0(VALU_DEP_3) | instskip(NEXT) | instid1(VALU_DEP_3)
	v_fma_f32 v74, v59, v55, -v79
	v_fma_f32 v55, v59, v57, -v56
	v_dual_mul_f32 v56, v54, v1 :: v_dual_add_f32 v71, v71, v64
	s_delay_alu instid0(VALU_DEP_4) | instskip(SKIP_1) | instid1(VALU_DEP_1)
	v_add_f32_e32 v52, v72, v52
	v_mul_f32_e32 v72, v53, v1
	v_dual_fmac_f32 v72, v54, v0 :: v_dual_add_f32 v75, v75, v78
	v_mul_f32_e32 v78, v59, v58
	v_add_f32_e32 v59, v76, v74
	v_fma_f32 v74, v53, v0, -v56
	v_mul_f32_e32 v76, v54, v3
	s_delay_alu instid0(VALU_DEP_2) | instskip(SKIP_1) | instid1(VALU_DEP_3)
	v_dual_fmac_f32 v78, v60, v57 :: v_dual_add_f32 v71, v71, v74
	v_mul_f32_e32 v74, v53, v3
	v_fma_f32 v53, v53, v2, -v76
	v_mul_f32_e32 v76, v62, v1
	v_mul_f32_e32 v1, v61, v1
	s_delay_alu instid0(VALU_DEP_4) | instskip(NEXT) | instid1(VALU_DEP_4)
	v_dual_add_f32 v73, v73, v65 :: v_dual_fmac_f32 v74, v54, v2
	v_add_f32_e32 v51, v51, v53
	s_delay_alu instid0(VALU_DEP_4) | instskip(NEXT) | instid1(VALU_DEP_4)
	v_fma_f32 v53, v61, v0, -v76
	v_fmac_f32_e32 v1, v62, v0
	s_delay_alu instid0(VALU_DEP_4)
	v_add_f32_e32 v72, v73, v72
	v_add_f32_e32 v54, v75, v74
	;; [unrolled: 1-line block ×3, first 2 shown]
	ds_load_2addr_b64 v[55:58], v48 offset0:192 offset1:208
	v_dual_add_f32 v52, v52, v1 :: v_dual_add_f32 v21, v21, v63
	ds_load_b128 v[63:66], v41 offset:4208
	v_mul_f32_e32 v73, v61, v3
	v_mul_f32_e32 v0, v62, v3
	s_wait_dscnt 0x1
	s_delay_alu instid0(VALU_DEP_2) | instskip(SKIP_1) | instid1(VALU_DEP_2)
	v_dual_fmac_f32 v73, v62, v2 :: v_dual_mul_f32 v62, v67, v56
	v_mul_f32_e32 v74, v67, v58
	v_fmac_f32_e32 v62, v68, v55
	s_delay_alu instid0(VALU_DEP_2) | instskip(NEXT) | instid1(VALU_DEP_2)
	v_fmac_f32_e32 v74, v68, v57
	v_dual_add_f32 v62, v72, v62 :: v_dual_add_f32 v53, v59, v53
	v_fma_f32 v59, v61, v2, -v0
	ds_load_2addr_b64 v[0:3], v48 offset0:224 offset1:240
	v_mul_f32_e32 v61, v68, v56
	v_add_f32_e32 v59, v60, v59
	s_delay_alu instid0(VALU_DEP_2) | instskip(SKIP_2) | instid1(VALU_DEP_2)
	v_fma_f32 v60, v67, v55, -v61
	v_mul_f32_e32 v61, v68, v58
	v_add_f32_e32 v68, v54, v74
	v_fma_f32 v61, v67, v57, -v61
	s_wait_dscnt 0x1
	v_mul_f32_e32 v67, v64, v56
	v_dual_mul_f32 v56, v63, v56 :: v_dual_add_f32 v21, v21, v78
	s_delay_alu instid0(VALU_DEP_2) | instskip(NEXT) | instid1(VALU_DEP_2)
	v_fma_f32 v54, v63, v55, -v67
	v_fmac_f32_e32 v56, v64, v55
	s_wait_dscnt 0x0
	v_mul_f32_e32 v72, v69, v1
	v_dual_mul_f32 v55, v70, v1 :: v_dual_add_f32 v60, v71, v60
	s_delay_alu instid0(VALU_DEP_3) | instskip(NEXT) | instid1(VALU_DEP_3)
	v_add_f32_e32 v71, v52, v56
	v_dual_fmac_f32 v72, v70, v0 :: v_dual_add_f32 v61, v51, v61
	s_delay_alu instid0(VALU_DEP_1) | instskip(SKIP_1) | instid1(VALU_DEP_2)
	v_dual_mul_f32 v51, v64, v58 :: v_dual_add_f32 v72, v62, v72
	v_mul_f32_e32 v67, v63, v58
	v_fma_f32 v51, v63, v57, -v51
	v_add_f32_e32 v63, v53, v54
	s_delay_alu instid0(VALU_DEP_2)
	v_dual_fmac_f32 v67, v64, v57 :: v_dual_add_f32 v64, v59, v51
	v_fma_f32 v59, v69, v0, -v55
	ds_load_b128 v[51:54], v41 offset:128
	ds_load_2addr_b64 v[55:58], v49 offset1:16
	v_add_f32_e32 v21, v21, v73
	v_mul_f32_e32 v73, v70, v3
	v_add_f32_e32 v74, v60, v59
	s_delay_alu instid0(VALU_DEP_3) | instskip(NEXT) | instid1(VALU_DEP_3)
	v_dual_mul_f32 v60, v66, v1 :: v_dual_add_f32 v21, v21, v67
	v_fma_f32 v59, v69, v2, -v73
	v_mul_f32_e32 v67, v69, v3
	v_mul_f32_e32 v1, v65, v1
	s_delay_alu instid0(VALU_DEP_4) | instskip(NEXT) | instid1(VALU_DEP_4)
	v_fma_f32 v69, v65, v0, -v60
	v_add_f32_e32 v73, v61, v59
	ds_load_b128 v[59:62], v41 offset:4224
	v_fmac_f32_e32 v67, v70, v2
	v_mul_f32_e32 v70, v66, v3
	v_fmac_f32_e32 v1, v66, v0
	s_wait_dscnt 0x1
	s_delay_alu instid0(VALU_DEP_3) | instskip(NEXT) | instid1(VALU_DEP_3)
	v_dual_add_f32 v75, v68, v67 :: v_dual_mul_f32 v78, v51, v58
	v_fma_f32 v0, v65, v2, -v70
	s_delay_alu instid0(VALU_DEP_2)
	v_fmac_f32_e32 v78, v52, v57
	v_dual_add_f32 v76, v63, v69 :: v_dual_mul_f32 v63, v65, v3
	ds_load_b128 v[67:70], v41 offset:144
	v_mul_f32_e32 v3, v52, v56
	v_mul_f32_e32 v65, v51, v56
	v_add_f32_e32 v77, v64, v0
	v_fmac_f32_e32 v63, v66, v2
	v_mul_f32_e32 v66, v52, v58
	v_fma_f32 v64, v51, v55, -v3
	v_fmac_f32_e32 v65, v52, v55
	s_wait_dscnt 0x1
	v_mul_f32_e32 v79, v60, v56
	v_mul_f32_e32 v52, v59, v56
	v_fma_f32 v51, v51, v57, -v66
	v_mul_f32_e32 v56, v60, v58
	v_add_f32_e32 v75, v75, v78
	v_mul_f32_e32 v78, v59, v58
	v_fmac_f32_e32 v52, v60, v55
	v_add_f32_e32 v51, v73, v51
	v_fma_f32 v73, v59, v55, -v79
	v_fma_f32 v55, v59, v57, -v56
	v_fmac_f32_e32 v78, v60, v57
	v_add_f32_e32 v74, v74, v64
	v_add_f32_e32 v72, v72, v65
	s_delay_alu instid0(VALU_DEP_4)
	v_dual_add_f32 v59, v76, v73 :: v_dual_add_f32 v60, v77, v55
	v_add_f32_e32 v71, v71, v1
	ds_load_2addr_b64 v[0:3], v49 offset0:32 offset1:48
	v_add_f32_e32 v52, v71, v52
	s_wait_dscnt 0x0
	v_mul_f32_e32 v56, v54, v1
	v_mul_f32_e32 v76, v54, v3
	s_delay_alu instid0(VALU_DEP_2) | instskip(SKIP_3) | instid1(VALU_DEP_2)
	v_fma_f32 v73, v53, v0, -v56
	ds_load_2addr_b64 v[55:58], v49 offset0:64 offset1:80
	v_mul_f32_e32 v71, v53, v1
	v_dual_add_f32 v73, v74, v73 :: v_dual_mul_f32 v74, v53, v3
	v_fmac_f32_e32 v71, v54, v0
	v_fma_f32 v53, v53, v2, -v76
	v_mul_f32_e32 v76, v62, v1
	s_delay_alu instid0(VALU_DEP_4) | instskip(NEXT) | instid1(VALU_DEP_4)
	v_dual_mul_f32 v1, v61, v1 :: v_dual_fmac_f32 v74, v54, v2
	v_add_f32_e32 v71, v72, v71
	s_delay_alu instid0(VALU_DEP_4) | instskip(NEXT) | instid1(VALU_DEP_4)
	v_dual_mul_f32 v72, v61, v3 :: v_dual_add_f32 v51, v51, v53
	v_fma_f32 v53, v61, v0, -v76
	s_delay_alu instid0(VALU_DEP_4) | instskip(SKIP_1) | instid1(VALU_DEP_3)
	v_fmac_f32_e32 v1, v62, v0
	v_mul_f32_e32 v0, v62, v3
	v_dual_fmac_f32 v72, v62, v2 :: v_dual_add_f32 v53, v59, v53
	s_wait_dscnt 0x0
	v_mul_f32_e32 v62, v67, v56
	s_delay_alu instid0(VALU_DEP_3)
	v_fma_f32 v59, v61, v2, -v0
	v_mul_f32_e32 v61, v68, v56
	v_add_f32_e32 v52, v52, v1
	ds_load_2addr_b64 v[0:3], v49 offset0:96 offset1:112
	v_fmac_f32_e32 v62, v68, v55
	v_add_f32_e32 v54, v75, v74
	v_dual_mul_f32 v74, v67, v58 :: v_dual_add_f32 v21, v21, v63
	ds_load_b128 v[63:66], v41 offset:4240
	v_add_f32_e32 v59, v60, v59
	v_fma_f32 v60, v67, v55, -v61
	v_mul_f32_e32 v61, v68, v58
	v_fmac_f32_e32 v74, v68, v57
	s_delay_alu instid0(VALU_DEP_3) | instskip(NEXT) | instid1(VALU_DEP_3)
	v_add_f32_e32 v60, v73, v60
	v_fma_f32 v61, v67, v57, -v61
	s_delay_alu instid0(VALU_DEP_1)
	v_dual_add_f32 v68, v54, v74 :: v_dual_add_f32 v61, v51, v61
	s_wait_dscnt 0x1
	v_mul_f32_e32 v73, v70, v3
	s_wait_dscnt 0x0
	v_mul_f32_e32 v67, v64, v56
	v_dual_mul_f32 v51, v64, v58 :: v_dual_mul_f32 v56, v63, v56
	s_delay_alu instid0(VALU_DEP_2) | instskip(SKIP_1) | instid1(VALU_DEP_3)
	v_fma_f32 v54, v63, v55, -v67
	v_mul_f32_e32 v67, v63, v58
	v_fma_f32 v51, v63, v57, -v51
	s_delay_alu instid0(VALU_DEP_4) | instskip(SKIP_1) | instid1(VALU_DEP_3)
	v_dual_add_f32 v21, v21, v78 :: v_dual_fmac_f32 v56, v64, v55
	v_mul_f32_e32 v55, v70, v1
	v_dual_fmac_f32 v67, v64, v57 :: v_dual_add_f32 v64, v59, v51
	s_delay_alu instid0(VALU_DEP_3) | instskip(SKIP_1) | instid1(VALU_DEP_4)
	v_add_f32_e32 v21, v21, v72
	v_mul_f32_e32 v72, v69, v1
	v_fma_f32 v59, v69, v0, -v55
	v_add_f32_e32 v63, v53, v54
	s_delay_alu instid0(VALU_DEP_4) | instskip(NEXT) | instid1(VALU_DEP_4)
	v_add_f32_e32 v21, v21, v67
	v_dual_mul_f32 v67, v69, v3 :: v_dual_fmac_f32 v72, v70, v0
	s_delay_alu instid0(VALU_DEP_4) | instskip(SKIP_2) | instid1(VALU_DEP_4)
	v_add_f32_e32 v74, v60, v59
	v_mul_f32_e32 v60, v66, v1
	v_mul_f32_e32 v1, v65, v1
	v_fmac_f32_e32 v67, v70, v2
	v_mul_f32_e32 v70, v66, v3
	v_fma_f32 v59, v69, v2, -v73
	v_fma_f32 v69, v65, v0, -v60
	v_dual_fmac_f32 v1, v66, v0 :: v_dual_add_f32 v62, v71, v62
	s_delay_alu instid0(VALU_DEP_4) | instskip(NEXT) | instid1(VALU_DEP_3)
	v_fma_f32 v0, v65, v2, -v70
	v_dual_add_f32 v75, v68, v67 :: v_dual_add_f32 v76, v63, v69
	s_delay_alu instid0(VALU_DEP_3) | instskip(NEXT) | instid1(VALU_DEP_3)
	v_dual_mul_f32 v63, v65, v3 :: v_dual_add_f32 v72, v62, v72
	v_add_f32_e32 v77, v64, v0
	v_add_f32_e32 v71, v52, v56
	ds_load_b128 v[51:54], v41 offset:160
	ds_load_2addr_b64 v[55:58], v49 offset0:128 offset1:144
	ds_load_b128 v[67:70], v41 offset:176
	v_fmac_f32_e32 v63, v66, v2
	s_wait_dscnt 0x1
	v_dual_mul_f32 v78, v51, v58 :: v_dual_mul_f32 v3, v52, v56
	v_dual_mul_f32 v65, v51, v56 :: v_dual_mul_f32 v66, v52, v58
	s_delay_alu instid0(VALU_DEP_2) | instskip(NEXT) | instid1(VALU_DEP_3)
	v_fmac_f32_e32 v78, v52, v57
	v_fma_f32 v64, v51, v55, -v3
	s_delay_alu instid0(VALU_DEP_3) | instskip(NEXT) | instid1(VALU_DEP_4)
	v_fmac_f32_e32 v65, v52, v55
	v_fma_f32 v51, v51, v57, -v66
	s_delay_alu instid0(VALU_DEP_4)
	v_add_f32_e32 v75, v75, v78
	v_add_f32_e32 v73, v61, v59
	ds_load_b128 v[59:62], v41 offset:4256
	v_add_f32_e32 v74, v74, v64
	v_dual_add_f32 v72, v72, v65 :: v_dual_add_f32 v51, v73, v51
	s_wait_dscnt 0x0
	v_mul_f32_e32 v79, v60, v56
	v_mul_f32_e32 v52, v59, v56
	;; [unrolled: 1-line block ×4, first 2 shown]
	s_delay_alu instid0(VALU_DEP_4) | instskip(NEXT) | instid1(VALU_DEP_4)
	v_fma_f32 v73, v59, v55, -v79
	v_fmac_f32_e32 v52, v60, v55
	s_delay_alu instid0(VALU_DEP_4) | instskip(NEXT) | instid1(VALU_DEP_4)
	v_fma_f32 v55, v59, v57, -v56
	v_fmac_f32_e32 v78, v60, v57
	s_delay_alu instid0(VALU_DEP_2)
	v_dual_add_f32 v59, v76, v73 :: v_dual_add_f32 v60, v77, v55
	v_add_f32_e32 v71, v71, v1
	ds_load_2addr_b64 v[0:3], v49 offset0:160 offset1:176
	v_add_f32_e32 v52, v71, v52
	s_wait_dscnt 0x0
	v_mul_f32_e32 v56, v54, v1
	v_dual_mul_f32 v71, v53, v1 :: v_dual_mul_f32 v76, v54, v3
	s_delay_alu instid0(VALU_DEP_2)
	v_fma_f32 v73, v53, v0, -v56
	ds_load_2addr_b64 v[55:58], v49 offset0:192 offset1:208
	v_fmac_f32_e32 v71, v54, v0
	v_dual_add_f32 v73, v74, v73 :: v_dual_mul_f32 v74, v53, v3
	v_fma_f32 v53, v53, v2, -v76
	v_mul_f32_e32 v76, v62, v1
	v_mul_f32_e32 v1, v61, v1
	v_add_f32_e32 v71, v72, v71
	s_delay_alu instid0(VALU_DEP_4) | instskip(NEXT) | instid1(VALU_DEP_4)
	v_dual_mul_f32 v72, v61, v3 :: v_dual_add_f32 v51, v51, v53
	v_fma_f32 v53, v61, v0, -v76
	s_delay_alu instid0(VALU_DEP_4) | instskip(SKIP_1) | instid1(VALU_DEP_4)
	v_fmac_f32_e32 v1, v62, v0
	v_mul_f32_e32 v0, v62, v3
	v_fmac_f32_e32 v72, v62, v2
	s_delay_alu instid0(VALU_DEP_4) | instskip(NEXT) | instid1(VALU_DEP_4)
	v_dual_fmac_f32 v74, v54, v2 :: v_dual_add_f32 v53, v59, v53
	v_add_f32_e32 v52, v52, v1
	s_delay_alu instid0(VALU_DEP_4)
	v_fma_f32 v59, v61, v2, -v0
	s_wait_dscnt 0x0
	v_dual_mul_f32 v62, v67, v56 :: v_dual_add_f32 v21, v21, v63
	ds_load_b128 v[63:66], v41 offset:4272
	v_mul_f32_e32 v61, v68, v56
	ds_load_2addr_b64 v[0:3], v49 offset0:224 offset1:240
	v_dual_add_f32 v59, v60, v59 :: v_dual_add_f32 v54, v75, v74
	v_mul_f32_e32 v74, v67, v58
	v_fma_f32 v60, v67, v55, -v61
	v_mul_f32_e32 v61, v68, v58
	v_fmac_f32_e32 v62, v68, v55
	s_delay_alu instid0(VALU_DEP_4) | instskip(NEXT) | instid1(VALU_DEP_4)
	v_fmac_f32_e32 v74, v68, v57
	v_add_f32_e32 v60, v73, v60
	s_delay_alu instid0(VALU_DEP_4) | instskip(NEXT) | instid1(VALU_DEP_1)
	v_fma_f32 v61, v67, v57, -v61
	v_dual_add_f32 v68, v54, v74 :: v_dual_add_f32 v61, v51, v61
	s_wait_dscnt 0x1
	v_mul_f32_e32 v67, v64, v56
	v_dual_mul_f32 v56, v63, v56 :: v_dual_mul_f32 v51, v64, v58
	s_wait_dscnt 0x0
	v_mul_f32_e32 v73, v70, v3
	s_delay_alu instid0(VALU_DEP_3) | instskip(NEXT) | instid1(VALU_DEP_3)
	v_fma_f32 v54, v63, v55, -v67
	v_dual_fmac_f32 v56, v64, v55 :: v_dual_mul_f32 v67, v63, v58
	v_fma_f32 v51, v63, v57, -v51
	v_mul_f32_e32 v55, v70, v1
	s_delay_alu instid0(VALU_DEP_4) | instskip(NEXT) | instid1(VALU_DEP_3)
	v_add_f32_e32 v63, v53, v54
	v_dual_fmac_f32 v67, v64, v57 :: v_dual_add_f32 v64, v59, v51
	s_delay_alu instid0(VALU_DEP_3) | instskip(NEXT) | instid1(VALU_DEP_1)
	v_fma_f32 v59, v69, v0, -v55
	v_dual_add_f32 v21, v21, v78 :: v_dual_add_f32 v74, v60, v59
	s_delay_alu instid0(VALU_DEP_1)
	v_add_f32_e32 v21, v21, v72
	v_mul_f32_e32 v72, v69, v1
	v_mul_f32_e32 v60, v66, v1
	;; [unrolled: 1-line block ×3, first 2 shown]
	v_fma_f32 v59, v69, v2, -v73
	v_add_f32_e32 v21, v21, v67
	v_dual_mul_f32 v67, v69, v3 :: v_dual_fmac_f32 v72, v70, v0
	v_fma_f32 v69, v65, v0, -v60
	v_dual_fmac_f32 v1, v66, v0 :: v_dual_add_f32 v62, v71, v62
	s_delay_alu instid0(VALU_DEP_3) | instskip(SKIP_1) | instid1(VALU_DEP_4)
	v_fmac_f32_e32 v67, v70, v2
	v_mul_f32_e32 v70, v66, v3
	v_dual_add_f32 v73, v61, v59 :: v_dual_add_f32 v76, v63, v69
	s_delay_alu instid0(VALU_DEP_4) | instskip(NEXT) | instid1(VALU_DEP_3)
	v_add_f32_e32 v72, v62, v72
	v_fma_f32 v0, v65, v2, -v70
	s_delay_alu instid0(VALU_DEP_1)
	v_add_f32_e32 v77, v64, v0
	v_add_f32_e32 v71, v52, v56
	ds_load_b128 v[51:54], v41 offset:192
	ds_load_2addr_b64 v[55:58], v50 offset1:16
	ds_load_b128 v[59:62], v41 offset:4288
	v_add_f32_e32 v75, v68, v67
	ds_load_b128 v[67:70], v41 offset:208
	v_mul_f32_e32 v63, v65, v3
	s_delay_alu instid0(VALU_DEP_1)
	v_fmac_f32_e32 v63, v66, v2
	s_wait_dscnt 0x2
	v_mul_f32_e32 v3, v52, v56
	v_dual_mul_f32 v65, v51, v56 :: v_dual_mul_f32 v66, v52, v58
	s_wait_dscnt 0x1
	v_dual_mul_f32 v78, v51, v58 :: v_dual_mul_f32 v79, v60, v56
	s_delay_alu instid0(VALU_DEP_3) | instskip(NEXT) | instid1(VALU_DEP_3)
	v_fma_f32 v64, v51, v55, -v3
	v_fmac_f32_e32 v65, v52, v55
	v_fma_f32 v51, v51, v57, -v66
	s_delay_alu instid0(VALU_DEP_4) | instskip(SKIP_2) | instid1(VALU_DEP_4)
	v_fmac_f32_e32 v78, v52, v57
	v_mul_f32_e32 v52, v59, v56
	v_mul_f32_e32 v56, v60, v58
	v_dual_add_f32 v74, v74, v64 :: v_dual_add_f32 v51, v73, v51
	v_fma_f32 v73, v59, v55, -v79
	s_delay_alu instid0(VALU_DEP_4) | instskip(SKIP_2) | instid1(VALU_DEP_4)
	v_dual_add_f32 v75, v75, v78 :: v_dual_fmac_f32 v52, v60, v55
	v_mul_f32_e32 v78, v59, v58
	v_fma_f32 v55, v59, v57, -v56
	v_add_f32_e32 v59, v76, v73
	v_add_f32_e32 v72, v72, v65
	s_delay_alu instid0(VALU_DEP_4) | instskip(NEXT) | instid1(VALU_DEP_4)
	v_fmac_f32_e32 v78, v60, v57
	v_dual_add_f32 v60, v77, v55 :: v_dual_add_f32 v71, v71, v1
	ds_load_2addr_b64 v[0:3], v50 offset0:32 offset1:48
	v_add_f32_e32 v52, v71, v52
	s_wait_dscnt 0x0
	v_mul_f32_e32 v56, v54, v1
	v_dual_mul_f32 v71, v53, v1 :: v_dual_mul_f32 v76, v54, v3
	s_delay_alu instid0(VALU_DEP_2)
	v_fma_f32 v73, v53, v0, -v56
	ds_load_2addr_b64 v[55:58], v50 offset0:64 offset1:80
	v_fmac_f32_e32 v71, v54, v0
	v_dual_add_f32 v73, v74, v73 :: v_dual_mul_f32 v74, v53, v3
	v_fma_f32 v53, v53, v2, -v76
	v_mul_f32_e32 v76, v62, v1
	v_mul_f32_e32 v1, v61, v1
	s_delay_alu instid0(VALU_DEP_4) | instskip(NEXT) | instid1(VALU_DEP_4)
	v_dual_add_f32 v71, v72, v71 :: v_dual_fmac_f32 v74, v54, v2
	v_add_f32_e32 v51, v51, v53
	s_delay_alu instid0(VALU_DEP_4) | instskip(NEXT) | instid1(VALU_DEP_4)
	v_fma_f32 v53, v61, v0, -v76
	v_fmac_f32_e32 v1, v62, v0
	v_mul_f32_e32 v0, v62, v3
	v_add_f32_e32 v54, v75, v74
	s_delay_alu instid0(VALU_DEP_4) | instskip(NEXT) | instid1(VALU_DEP_4)
	v_dual_mul_f32 v72, v61, v3 :: v_dual_add_f32 v53, v59, v53
	v_add_f32_e32 v52, v52, v1
	s_delay_alu instid0(VALU_DEP_4)
	v_fma_f32 v59, v61, v2, -v0
	s_wait_dscnt 0x0
	v_dual_mul_f32 v74, v67, v58 :: v_dual_mul_f32 v61, v68, v56
	v_fmac_f32_e32 v72, v62, v2
	ds_load_2addr_b64 v[0:3], v50 offset0:96 offset1:112
	v_add_f32_e32 v59, v60, v59
	v_dual_fmac_f32 v74, v68, v57 :: v_dual_add_f32 v21, v21, v63
	ds_load_b128 v[63:66], v41 offset:4304
	v_fma_f32 v60, v67, v55, -v61
	v_dual_mul_f32 v61, v68, v58 :: v_dual_mul_f32 v62, v67, v56
	s_delay_alu instid0(VALU_DEP_1) | instskip(NEXT) | instid1(VALU_DEP_2)
	v_fma_f32 v61, v67, v57, -v61
	v_fmac_f32_e32 v62, v68, v55
	s_delay_alu instid0(VALU_DEP_2) | instskip(SKIP_1) | instid1(VALU_DEP_2)
	v_dual_add_f32 v68, v54, v74 :: v_dual_add_f32 v61, v51, v61
	s_wait_dscnt 0x0
	v_dual_add_f32 v62, v71, v62 :: v_dual_mul_f32 v67, v64, v56
	v_dual_mul_f32 v56, v63, v56 :: v_dual_mul_f32 v51, v64, v58
	s_delay_alu instid0(VALU_DEP_2) | instskip(NEXT) | instid1(VALU_DEP_2)
	v_fma_f32 v54, v63, v55, -v67
	v_dual_fmac_f32 v56, v64, v55 :: v_dual_mul_f32 v67, v63, v58
	s_delay_alu instid0(VALU_DEP_3) | instskip(SKIP_1) | instid1(VALU_DEP_4)
	v_fma_f32 v51, v63, v57, -v51
	v_mul_f32_e32 v55, v70, v1
	v_add_f32_e32 v63, v53, v54
	s_delay_alu instid0(VALU_DEP_4) | instskip(NEXT) | instid1(VALU_DEP_4)
	v_add_f32_e32 v71, v52, v56
	v_dual_fmac_f32 v67, v64, v57 :: v_dual_add_f32 v64, v59, v51
	s_delay_alu instid0(VALU_DEP_4) | instskip(SKIP_3) | instid1(VALU_DEP_1)
	v_fma_f32 v59, v69, v0, -v55
	ds_load_b128 v[51:54], v41 offset:224
	ds_load_2addr_b64 v[55:58], v50 offset0:128 offset1:144
	v_add_f32_e32 v21, v21, v78
	v_add_f32_e32 v21, v21, v72
	v_mul_f32_e32 v72, v69, v1
	s_delay_alu instid0(VALU_DEP_2) | instskip(NEXT) | instid1(VALU_DEP_2)
	v_add_f32_e32 v21, v21, v67
	v_dual_mul_f32 v67, v69, v3 :: v_dual_fmac_f32 v72, v70, v0
	s_delay_alu instid0(VALU_DEP_1) | instskip(NEXT) | instid1(VALU_DEP_2)
	v_fmac_f32_e32 v67, v70, v2
	v_add_f32_e32 v72, v62, v72
	s_wait_dscnt 0x0
	v_mul_f32_e32 v78, v51, v56
	v_mul_f32_e32 v79, v51, v58
	v_add_f32_e32 v75, v68, v67
	v_mul_f32_e32 v67, v66, v3
	s_delay_alu instid0(VALU_DEP_4) | instskip(SKIP_2) | instid1(VALU_DEP_3)
	v_fmac_f32_e32 v78, v52, v55
	v_dual_add_f32 v60, v73, v60 :: v_dual_mul_f32 v73, v70, v3
	v_fmac_f32_e32 v79, v52, v57
	v_add_f32_e32 v72, v72, v78
	s_delay_alu instid0(VALU_DEP_3) | instskip(NEXT) | instid1(VALU_DEP_4)
	v_fma_f32 v69, v69, v2, -v73
	v_add_f32_e32 v73, v60, v59
	v_mul_f32_e32 v59, v66, v1
	v_mul_f32_e32 v1, v65, v1
	s_delay_alu instid0(VALU_DEP_4) | instskip(NEXT) | instid1(VALU_DEP_3)
	v_dual_add_f32 v75, v75, v79 :: v_dual_add_f32 v74, v61, v69
	v_fma_f32 v69, v65, v0, -v59
	ds_load_b128 v[59:62], v41 offset:4320
	v_fmac_f32_e32 v1, v66, v0
	v_fma_f32 v0, v65, v2, -v67
	v_dual_add_f32 v76, v63, v69 :: v_dual_mul_f32 v63, v65, v3
	v_mul_f32_e32 v3, v52, v56
	ds_load_b128 v[67:70], v41 offset:240
	v_add_f32_e32 v71, v71, v1
	v_add_f32_e32 v77, v64, v0
	v_fmac_f32_e32 v63, v66, v2
	v_fma_f32 v64, v51, v55, -v3
	ds_load_2addr_b64 v[0:3], v50 offset0:160 offset1:176
	v_mul_f32_e32 v65, v52, v58
	v_add_f32_e32 v73, v73, v64
	s_delay_alu instid0(VALU_DEP_2) | instskip(SKIP_3) | instid1(VALU_DEP_3)
	v_fma_f32 v51, v51, v57, -v65
	s_wait_dscnt 0x2
	v_mul_f32_e32 v80, v60, v56
	v_mul_f32_e32 v52, v59, v56
	v_dual_mul_f32 v78, v59, v58 :: v_dual_add_f32 v51, v74, v51
	v_mul_f32_e32 v74, v60, v58
	s_delay_alu instid0(VALU_DEP_4) | instskip(NEXT) | instid1(VALU_DEP_4)
	v_fma_f32 v56, v59, v55, -v80
	v_fmac_f32_e32 v52, v60, v55
	s_delay_alu instid0(VALU_DEP_4) | instskip(NEXT) | instid1(VALU_DEP_4)
	v_fmac_f32_e32 v78, v60, v57
	v_fma_f32 v55, v59, v57, -v74
	s_delay_alu instid0(VALU_DEP_4) | instskip(NEXT) | instid1(VALU_DEP_4)
	v_add_f32_e32 v76, v76, v56
	v_add_f32_e32 v52, v71, v52
	s_wait_dscnt 0x0
	v_mul_f32_e32 v56, v54, v1
	v_dual_mul_f32 v59, v53, v1 :: v_dual_mul_f32 v74, v54, v3
	v_add_f32_e32 v60, v77, v55
	s_delay_alu instid0(VALU_DEP_3) | instskip(NEXT) | instid1(VALU_DEP_3)
	v_fma_f32 v71, v53, v0, -v56
	v_fmac_f32_e32 v59, v54, v0
	ds_load_2addr_b64 v[55:58], v50 offset0:192 offset1:208
	v_add_f32_e32 v71, v73, v71
	v_mul_f32_e32 v73, v53, v3
	v_fma_f32 v53, v53, v2, -v74
	v_dual_add_f32 v59, v72, v59 :: v_dual_mul_f32 v72, v62, v1
	v_mul_f32_e32 v1, v61, v1
	s_delay_alu instid0(VALU_DEP_4) | instskip(NEXT) | instid1(VALU_DEP_4)
	v_fmac_f32_e32 v73, v54, v2
	v_add_f32_e32 v51, v51, v53
	v_mul_f32_e32 v53, v62, v3
	v_fma_f32 v54, v61, v0, -v72
	s_delay_alu instid0(VALU_DEP_4) | instskip(SKIP_1) | instid1(VALU_DEP_4)
	v_dual_fmac_f32 v1, v62, v0 :: v_dual_add_f32 v72, v75, v73
	v_mul_f32_e32 v73, v61, v3
	v_fma_f32 v0, v61, v2, -v53
	s_delay_alu instid0(VALU_DEP_4) | instskip(NEXT) | instid1(VALU_DEP_4)
	v_add_f32_e32 v53, v76, v54
	v_add_f32_e32 v52, v52, v1
	s_wait_dscnt 0x0
	v_mul_f32_e32 v54, v68, v56
	v_dual_add_f32 v60, v60, v0 :: v_dual_add_f32 v21, v21, v63
	ds_load_b128 v[63:66], v41 offset:4336
	v_fmac_f32_e32 v73, v62, v2
	ds_load_2addr_b64 v[0:3], v50 offset0:224 offset1:240
	v_mul_f32_e32 v61, v67, v56
	v_fma_f32 v54, v67, v55, -v54
	v_mul_f32_e32 v62, v68, v58
	v_add_f32_e32 v21, v21, v78
	s_wait_loadcnt_dscnt 0x0
	s_delay_alu instid0(VALU_DEP_3) | instskip(NEXT) | instid1(VALU_DEP_3)
	v_dual_fmac_f32 v61, v68, v55 :: v_dual_add_f32 v54, v71, v54
	v_fma_f32 v62, v67, v57, -v62
	s_delay_alu instid0(VALU_DEP_3) | instskip(SKIP_1) | instid1(VALU_DEP_4)
	v_add_f32_e32 v21, v21, v73
	v_mul_f32_e32 v73, v67, v58
	v_add_f32_e32 v59, v59, v61
	s_barrier_signal -1
	v_add_f32_e32 v51, v51, v62
	s_barrier_wait -1
	v_fmac_f32_e32 v73, v68, v57
	global_inv scope:SCOPE_SE
	v_mul_f32_e32 v71, v64, v56
	v_mul_f32_e32 v56, v63, v56
	;; [unrolled: 1-line block ×3, first 2 shown]
	v_add_f32_e32 v67, v72, v73
	s_delay_alu instid0(VALU_DEP_4) | instskip(NEXT) | instid1(VALU_DEP_4)
	v_fma_f32 v61, v63, v55, -v71
	v_dual_fmac_f32 v56, v64, v55 :: v_dual_mul_f32 v55, v63, v58
	s_delay_alu instid0(VALU_DEP_4) | instskip(SKIP_1) | instid1(VALU_DEP_4)
	v_fma_f32 v58, v63, v57, -v62
	v_mul_f32_e32 v62, v69, v1
	v_add_f32_e32 v53, v53, v61
	v_mul_f32_e32 v61, v70, v1
	v_add_f32_e32 v63, v52, v56
	v_fmac_f32_e32 v55, v64, v57
	v_add_f32_e32 v58, v60, v58
	v_fmac_f32_e32 v62, v70, v0
	v_fma_f32 v52, v69, v0, -v61
	v_mul_f32_e32 v60, v70, v3
	v_mul_f32_e32 v61, v69, v3
	v_add_f32_e32 v21, v21, v55
	s_delay_alu instid0(VALU_DEP_4) | instskip(NEXT) | instid1(VALU_DEP_4)
	v_dual_add_f32 v57, v59, v62 :: v_dual_add_f32 v56, v54, v52
	v_fma_f32 v52, v69, v2, -v60
	v_mul_f32_e32 v55, v66, v1
	v_mul_f32_e32 v1, v65, v1
	v_mul_f32_e32 v59, v66, v3
	v_mul_f32_e32 v3, v65, v3
	v_dual_fmac_f32 v61, v70, v2 :: v_dual_add_f32 v54, v51, v52
	v_fma_f32 v51, v65, v0, -v55
	v_fmac_f32_e32 v1, v66, v0
	v_fma_f32 v0, v65, v2, -v59
	v_fmac_f32_e32 v3, v66, v2
	s_delay_alu instid0(VALU_DEP_4) | instskip(NEXT) | instid1(VALU_DEP_4)
	v_dual_add_f32 v55, v67, v61 :: v_dual_add_f32 v52, v53, v51
	v_add_f32_e32 v53, v63, v1
	s_delay_alu instid0(VALU_DEP_4) | instskip(NEXT) | instid1(VALU_DEP_4)
	v_add_f32_e32 v51, v58, v0
	v_add_f32_e32 v21, v21, v3
	s_cbranch_scc1 .LBB86_59
.LBB86_11:                              ;   Parent Loop BB86_4 Depth=1
                                        ;     Parent Loop BB86_8 Depth=2
                                        ; =>    This Inner Loop Header: Depth=3
	s_wait_alu 0xfffe
	v_add_co_u32 v0, s5, v38, s48
	s_wait_alu 0xf1ff
	v_add_co_ci_u32_e64 v1, null, 0, s49, s5
	v_cmp_eq_u64_e64 s7, s[48:49], v[30:31]
	s_delay_alu instid0(VALU_DEP_2)
	v_cmp_gt_i64_e64 s5, v[0:1], v[22:23]
	v_cmp_le_i64_e64 s6, s[10:11], v[0:1]
	s_and_b32 s58, s52, s7
	v_add_co_u32 v2, s7, v24, v40
	s_or_b32 s8, vcc_lo, s5
	v_add_co_ci_u32_e64 v3, null, 0, v25, s7
	s_wait_alu 0xfffe
	s_or_b32 s7, s8, s58
	s_wait_alu 0xfffe
	s_nor_b32 s7, s6, s7
	s_wait_alu 0xfffe
	s_and_saveexec_b32 s8, s7
	s_wait_alu 0xfffe
	s_xor_b32 s7, exec_lo, s8
	s_cbranch_execz .LBB86_13
; %bb.12:                               ;   in Loop: Header=BB86_11 Depth=3
	global_load_b64 v[58:59], v[2:3], off
	s_wait_loadcnt 0x0
	ds_store_b64 v43, v[58:59]
.LBB86_13:                              ;   in Loop: Header=BB86_11 Depth=3
	s_wait_alu 0xfffe
	s_or_saveexec_b32 s7, s7
	s_xor_b32 s57, s58, -1
	s_wait_alu 0xfffe
	s_xor_b32 exec_lo, exec_lo, s7
	s_cbranch_execz .LBB86_19
; %bb.14:                               ;   in Loop: Header=BB86_11 Depth=3
	s_and_saveexec_b32 s8, s57
	s_wait_alu 0xfffe
	s_xor_b32 s8, exec_lo, s8
; %bb.15:                               ;   in Loop: Header=BB86_11 Depth=3
	v_dual_mov_b32 v58, v5 :: v_dual_mov_b32 v59, v5
	ds_store_b64 v43, v[58:59]
; %bb.16:                               ;   in Loop: Header=BB86_11 Depth=3
	s_wait_alu 0xfffe
	s_and_not1_saveexec_b32 s8, s8
; %bb.17:                               ;   in Loop: Header=BB86_11 Depth=3
	ds_store_b64 v43, v[4:5]
; %bb.18:                               ;   in Loop: Header=BB86_11 Depth=3
	s_wait_alu 0xfffe
	s_or_b32 exec_lo, exec_lo, s8
.LBB86_19:                              ;   in Loop: Header=BB86_11 Depth=3
	s_delay_alu instid0(SALU_CYCLE_1) | instskip(SKIP_4) | instid1(VALU_DEP_2)
	s_or_b32 exec_lo, exec_lo, s7
	v_add_co_u32 v58, s7, v0, 16
	s_wait_alu 0xf1ff
	v_add_co_ci_u32_e64 v59, null, 0, v1, s7
	v_cmp_eq_u64_e64 s8, s[48:49], v[34:35]
	v_cmp_gt_i64_e64 s9, v[58:59], v[22:23]
	v_cmp_le_i64_e64 s7, s[10:11], v[58:59]
	s_and_b32 s59, s52, s8
	s_or_b32 s8, vcc_lo, s9
	s_wait_alu 0xfffe
	s_or_b32 s8, s8, s59
	s_wait_alu 0xfffe
	s_nor_b32 s8, s7, s8
	s_wait_alu 0xfffe
	s_and_saveexec_b32 s9, s8
	s_wait_alu 0xfffe
	s_xor_b32 s8, exec_lo, s9
	s_cbranch_execz .LBB86_21
; %bb.20:                               ;   in Loop: Header=BB86_11 Depth=3
	global_load_b64 v[2:3], v[2:3], off offset:128
	s_wait_loadcnt 0x0
	ds_store_b64 v43, v[2:3] offset:128
.LBB86_21:                              ;   in Loop: Header=BB86_11 Depth=3
	s_wait_alu 0xfffe
	s_and_not1_saveexec_b32 s8, s8
	s_cbranch_execz .LBB86_27
; %bb.22:                               ;   in Loop: Header=BB86_11 Depth=3
	s_xor_b32 s9, s59, -1
	s_wait_alu 0xfffe
	s_and_saveexec_b32 s59, s9
	s_delay_alu instid0(SALU_CYCLE_1)
	s_xor_b32 s9, exec_lo, s59
; %bb.23:                               ;   in Loop: Header=BB86_11 Depth=3
	v_dual_mov_b32 v2, v5 :: v_dual_mov_b32 v3, v5
	ds_store_b64 v43, v[2:3] offset:128
; %bb.24:                               ;   in Loop: Header=BB86_11 Depth=3
	s_wait_alu 0xfffe
	s_and_not1_saveexec_b32 s9, s9
; %bb.25:                               ;   in Loop: Header=BB86_11 Depth=3
	ds_store_b64 v43, v[4:5] offset:128
; %bb.26:                               ;   in Loop: Header=BB86_11 Depth=3
	s_wait_alu 0xfffe
	s_or_b32 exec_lo, exec_lo, s9
.LBB86_27:                              ;   in Loop: Header=BB86_11 Depth=3
	s_wait_alu 0xfffe
	s_or_b32 exec_lo, exec_lo, s8
	v_cmp_eq_u64_e64 s8, s[48:49], v[32:33]
	v_cmp_gt_i64_e64 s9, v[0:1], v[28:29]
	s_and_b32 s59, s52, s8
	v_add_co_u32 v0, s8, v26, v40
	s_or_b32 s9, s4, s9
	v_add_co_ci_u32_e64 v1, null, 0, v27, s8
	s_wait_alu 0xfffe
	s_or_b32 s8, s9, s59
	s_wait_alu 0xfffe
	s_nor_b32 s6, s6, s8
	s_wait_alu 0xfffe
	s_and_saveexec_b32 s8, s6
	s_wait_alu 0xfffe
	s_xor_b32 s6, exec_lo, s8
	s_cbranch_execz .LBB86_29
; %bb.28:                               ;   in Loop: Header=BB86_11 Depth=3
	global_load_b64 v[2:3], v[0:1], off
	s_wait_loadcnt 0x0
	ds_store_b64 v43, v[2:3] offset:4096
.LBB86_29:                              ;   in Loop: Header=BB86_11 Depth=3
	s_wait_alu 0xfffe
	s_and_not1_saveexec_b32 s6, s6
	s_cbranch_execz .LBB86_35
; %bb.30:                               ;   in Loop: Header=BB86_11 Depth=3
	s_xor_b32 s8, s59, -1
	s_wait_alu 0xfffe
	s_and_saveexec_b32 s9, s8
	s_wait_alu 0xfffe
	s_xor_b32 s8, exec_lo, s9
; %bb.31:                               ;   in Loop: Header=BB86_11 Depth=3
	v_dual_mov_b32 v2, v5 :: v_dual_mov_b32 v3, v5
	ds_store_b64 v43, v[2:3] offset:4096
; %bb.32:                               ;   in Loop: Header=BB86_11 Depth=3
	s_wait_alu 0xfffe
	s_and_not1_saveexec_b32 s8, s8
; %bb.33:                               ;   in Loop: Header=BB86_11 Depth=3
	ds_store_b64 v43, v[4:5] offset:4096
; %bb.34:                               ;   in Loop: Header=BB86_11 Depth=3
	s_wait_alu 0xfffe
	s_or_b32 exec_lo, exec_lo, s8
.LBB86_35:                              ;   in Loop: Header=BB86_11 Depth=3
	s_wait_alu 0xfffe
	s_or_b32 exec_lo, exec_lo, s6
	s_or_b32 s5, s4, s5
	s_wait_alu 0xfffe
	s_or_b32 s5, s5, s58
	s_wait_alu 0xfffe
	s_nor_b32 s5, s7, s5
	s_wait_alu 0xfffe
	s_and_saveexec_b32 s6, s5
	s_wait_alu 0xfffe
	s_xor_b32 s5, exec_lo, s6
	s_cbranch_execz .LBB86_37
; %bb.36:                               ;   in Loop: Header=BB86_11 Depth=3
	global_load_b64 v[0:1], v[0:1], off offset:128
	s_wait_loadcnt 0x0
	ds_store_b64 v43, v[0:1] offset:4224
.LBB86_37:                              ;   in Loop: Header=BB86_11 Depth=3
	s_wait_alu 0xfffe
	s_and_not1_saveexec_b32 s5, s5
	s_cbranch_execz .LBB86_43
; %bb.38:                               ;   in Loop: Header=BB86_11 Depth=3
	s_and_saveexec_b32 s6, s57
	s_wait_alu 0xfffe
	s_xor_b32 s6, exec_lo, s6
; %bb.39:                               ;   in Loop: Header=BB86_11 Depth=3
	v_dual_mov_b32 v0, v5 :: v_dual_mov_b32 v1, v5
	ds_store_b64 v43, v[0:1] offset:4224
; %bb.40:                               ;   in Loop: Header=BB86_11 Depth=3
	s_wait_alu 0xfffe
	s_and_not1_saveexec_b32 s6, s6
; %bb.41:                               ;   in Loop: Header=BB86_11 Depth=3
	ds_store_b64 v43, v[4:5] offset:4224
; %bb.42:                               ;   in Loop: Header=BB86_11 Depth=3
	s_wait_alu 0xfffe
	s_or_b32 exec_lo, exec_lo, s6
.LBB86_43:                              ;   in Loop: Header=BB86_11 Depth=3
	s_wait_alu 0xfffe
	s_or_b32 exec_lo, exec_lo, s5
	v_add_co_u32 v0, s5, v39, s48
	s_wait_alu 0xf1ff
	v_add_co_ci_u32_e64 v1, null, 0, s49, s5
	v_add_co_u32 v2, s6, v36, v10
	s_wait_alu 0xf1ff
	v_add_co_ci_u32_e64 v3, null, v37, v11, s6
	s_delay_alu instid0(VALU_DEP_3)
	v_cmp_le_i64_e64 s5, s[10:11], v[0:1]
	s_nor_b32 s6, s5, s0
	s_wait_alu 0xfffe
	s_and_saveexec_b32 s7, s6
	s_wait_alu 0xfffe
	s_xor_b32 s6, exec_lo, s7
	s_cbranch_execz .LBB86_45
; %bb.44:                               ;   in Loop: Header=BB86_11 Depth=3
	global_load_b64 v[58:59], v[2:3], off offset:-128
	s_wait_loadcnt 0x0
	ds_store_b64 v44, v[58:59]
.LBB86_45:                              ;   in Loop: Header=BB86_11 Depth=3
	s_wait_alu 0xfffe
	s_and_not1_saveexec_b32 s6, s6
; %bb.46:                               ;   in Loop: Header=BB86_11 Depth=3
	v_dual_mov_b32 v58, v5 :: v_dual_mov_b32 v59, v5
	ds_store_b64 v44, v[58:59]
; %bb.47:                               ;   in Loop: Header=BB86_11 Depth=3
	s_wait_alu 0xfffe
	s_or_b32 exec_lo, exec_lo, s6
	s_nor_b32 s5, s5, s1
	s_wait_alu 0xfffe
	s_and_saveexec_b32 s6, s5
	s_wait_alu 0xfffe
	s_xor_b32 s5, exec_lo, s6
	s_cbranch_execz .LBB86_49
; %bb.48:                               ;   in Loop: Header=BB86_11 Depth=3
	global_load_b64 v[2:3], v[2:3], off
	s_wait_loadcnt 0x0
	ds_store_b64 v44, v[2:3] offset:128
.LBB86_49:                              ;   in Loop: Header=BB86_11 Depth=3
	s_wait_alu 0xfffe
	s_and_not1_saveexec_b32 s5, s5
; %bb.50:                               ;   in Loop: Header=BB86_11 Depth=3
	v_dual_mov_b32 v2, v5 :: v_dual_mov_b32 v3, v5
	ds_store_b64 v44, v[2:3] offset:128
; %bb.51:                               ;   in Loop: Header=BB86_11 Depth=3
	s_wait_alu 0xfffe
	s_or_b32 exec_lo, exec_lo, s5
	v_cmp_le_i64_e64 s5, s[46:47], v[0:1]
	v_add_co_u32 v0, s6, v36, v6
	s_wait_alu 0xf1ff
	v_add_co_ci_u32_e64 v1, null, v37, v7, s6
	s_nor_b32 s6, s5, s0
	s_wait_alu 0xfffe
	s_and_saveexec_b32 s7, s6
	s_wait_alu 0xfffe
	s_xor_b32 s6, exec_lo, s7
	s_cbranch_execz .LBB86_53
; %bb.52:                               ;   in Loop: Header=BB86_11 Depth=3
	global_load_b64 v[2:3], v[0:1], off offset:-128
	s_wait_loadcnt 0x0
	ds_store_b64 v44, v[2:3] offset:4096
.LBB86_53:                              ;   in Loop: Header=BB86_11 Depth=3
	s_wait_alu 0xfffe
	s_and_not1_saveexec_b32 s6, s6
; %bb.54:                               ;   in Loop: Header=BB86_11 Depth=3
	v_dual_mov_b32 v2, v5 :: v_dual_mov_b32 v3, v5
	ds_store_b64 v44, v[2:3] offset:4096
; %bb.55:                               ;   in Loop: Header=BB86_11 Depth=3
	s_wait_alu 0xfffe
	s_or_b32 exec_lo, exec_lo, s6
	s_nor_b32 s5, s5, s1
	s_wait_alu 0xfffe
	s_and_saveexec_b32 s6, s5
	s_wait_alu 0xfffe
	s_xor_b32 s5, exec_lo, s6
	s_cbranch_execz .LBB86_57
; %bb.56:                               ;   in Loop: Header=BB86_11 Depth=3
	global_load_b64 v[0:1], v[0:1], off
	s_wait_loadcnt 0x0
	ds_store_b64 v44, v[0:1] offset:4224
.LBB86_57:                              ;   in Loop: Header=BB86_11 Depth=3
	s_wait_alu 0xfffe
	s_and_not1_saveexec_b32 s5, s5
	s_cbranch_execz .LBB86_10
; %bb.58:                               ;   in Loop: Header=BB86_11 Depth=3
	v_dual_mov_b32 v0, v5 :: v_dual_mov_b32 v1, v5
	ds_store_b64 v44, v[0:1] offset:4224
	s_branch .LBB86_10
.LBB86_59:                              ;   in Loop: Header=BB86_8 Depth=2
	v_mul_lo_u32 v2, s29, v22
	v_mul_lo_u32 v3, s28, v23
	v_mad_co_u64_u32 v[0:1], null, s28, v22, 0
	v_cmp_gt_i32_e32 vcc_lo, s38, v22
	s_delay_alu instid0(VALU_DEP_2) | instskip(NEXT) | instid1(VALU_DEP_1)
	v_add3_u32 v1, v1, v3, v2
	v_lshlrev_b64_e32 v[0:1], 3, v[0:1]
	s_delay_alu instid0(VALU_DEP_1) | instskip(SKIP_1) | instid1(VALU_DEP_2)
	v_add_co_u32 v0, s4, s26, v0
	s_wait_alu 0xf1ff
	v_add_co_ci_u32_e64 v1, null, s27, v1, s4
	s_and_b32 s4, s2, vcc_lo
	s_wait_alu 0xfffe
	s_and_saveexec_b32 s5, s4
	s_cbranch_execz .LBB86_61
; %bb.60:                               ;   in Loop: Header=BB86_8 Depth=2
	v_add_co_u32 v2, s4, v0, v8
	s_wait_alu 0xf1ff
	v_add_co_ci_u32_e64 v3, null, v1, v9, s4
	global_load_b64 v[23:24], v[2:3], off
	v_mul_f32_e32 v26, v57, v16
	s_delay_alu instid0(VALU_DEP_1) | instskip(SKIP_1) | instid1(VALU_DEP_1)
	v_fmac_f32_e32 v26, v56, v17
	s_wait_loadcnt 0x0
	v_dual_mul_f32 v25, v57, v17 :: v_dual_add_f32 v24, v26, v24
	s_delay_alu instid0(VALU_DEP_1) | instskip(NEXT) | instid1(VALU_DEP_1)
	v_fma_f32 v25, v56, v16, -v25
	v_add_f32_e32 v23, v23, v25
	global_store_b64 v[2:3], v[23:24], off
.LBB86_61:                              ;   in Loop: Header=BB86_8 Depth=2
	s_wait_alu 0xfffe
	s_or_b32 exec_lo, exec_lo, s5
	s_and_b32 s5, s3, vcc_lo
	s_wait_alu 0xfffe
	s_and_saveexec_b32 s4, s5
	s_cbranch_execz .LBB86_63
; %bb.62:                               ;   in Loop: Header=BB86_8 Depth=2
	v_add_co_u32 v0, vcc_lo, v0, v14
	s_wait_alu 0xfffd
	v_add_co_ci_u32_e64 v1, null, v1, v15, vcc_lo
	v_mul_f32_e32 v23, v55, v17
	v_mul_f32_e32 v24, v55, v16
	global_load_b64 v[2:3], v[0:1], off
	v_fma_f32 v23, v54, v16, -v23
	v_fmac_f32_e32 v24, v54, v17
	s_wait_loadcnt 0x0
	s_delay_alu instid0(VALU_DEP_2) | instskip(NEXT) | instid1(VALU_DEP_2)
	v_add_f32_e32 v2, v2, v23
	v_add_f32_e32 v3, v24, v3
	global_store_b64 v[0:1], v[2:3], off
.LBB86_63:                              ;   in Loop: Header=BB86_8 Depth=2
	s_wait_alu 0xfffe
	s_or_b32 exec_lo, exec_lo, s4
	v_add_nc_u32_e32 v2, 16, v22
	s_delay_alu instid0(VALU_DEP_1) | instskip(SKIP_3) | instid1(VALU_DEP_4)
	v_ashrrev_i32_e32 v3, 31, v2
	v_mul_lo_u32 v22, s29, v2
	v_mad_co_u64_u32 v[0:1], null, s28, v2, 0
	v_cmp_gt_i32_e32 vcc_lo, s38, v2
	v_mul_lo_u32 v3, s28, v3
	s_delay_alu instid0(VALU_DEP_1) | instskip(NEXT) | instid1(VALU_DEP_1)
	v_add3_u32 v1, v1, v3, v22
	v_lshlrev_b64_e32 v[0:1], 3, v[0:1]
	s_delay_alu instid0(VALU_DEP_1) | instskip(SKIP_1) | instid1(VALU_DEP_2)
	v_add_co_u32 v0, s4, s26, v0
	s_wait_alu 0xf1ff
	v_add_co_ci_u32_e64 v1, null, s27, v1, s4
	s_and_b32 s4, s2, vcc_lo
	s_wait_alu 0xfffe
	s_and_saveexec_b32 s5, s4
	s_cbranch_execz .LBB86_65
; %bb.64:                               ;   in Loop: Header=BB86_8 Depth=2
	v_add_co_u32 v2, s4, v0, v8
	s_wait_alu 0xf1ff
	v_add_co_ci_u32_e64 v3, null, v1, v9, s4
	v_mul_f32_e32 v24, v53, v17
	v_mul_f32_e32 v25, v53, v16
	global_load_b64 v[22:23], v[2:3], off
	v_fma_f32 v24, v52, v16, -v24
	s_wait_loadcnt 0x0
	s_delay_alu instid0(VALU_DEP_1) | instskip(NEXT) | instid1(VALU_DEP_1)
	v_dual_fmac_f32 v25, v52, v17 :: v_dual_add_f32 v22, v22, v24
	v_add_f32_e32 v23, v25, v23
	global_store_b64 v[2:3], v[22:23], off
.LBB86_65:                              ;   in Loop: Header=BB86_8 Depth=2
	s_wait_alu 0xfffe
	s_or_b32 exec_lo, exec_lo, s5
	s_and_b32 s5, s3, vcc_lo
	s_wait_alu 0xfffe
	s_and_saveexec_b32 s4, s5
	s_cbranch_execz .LBB86_7
; %bb.66:                               ;   in Loop: Header=BB86_8 Depth=2
	v_add_co_u32 v0, vcc_lo, v0, v14
	s_wait_alu 0xfffd
	v_add_co_ci_u32_e64 v1, null, v1, v15, vcc_lo
	v_mul_f32_e32 v22, v21, v17
	global_load_b64 v[2:3], v[0:1], off
	v_fma_f32 v22, v51, v16, -v22
	s_wait_loadcnt 0x0
	s_delay_alu instid0(VALU_DEP_1) | instskip(NEXT) | instid1(VALU_DEP_1)
	v_dual_mul_f32 v21, v21, v16 :: v_dual_add_f32 v2, v2, v22
	v_fmac_f32_e32 v21, v51, v17
	s_delay_alu instid0(VALU_DEP_1)
	v_add_f32_e32 v3, v21, v3
	global_store_b64 v[0:1], v[2:3], off
	s_branch .LBB86_7
.LBB86_67:
	s_endpgm
	.section	.rodata,"a",@progbits
	.p2align	6, 0x0
	.amdhsa_kernel _ZL30rocblas_trmm_outofplace_kernelI19rocblas_complex_numIfELi32ELi2ELb0ELb1ELb0ELb0EPKS1_S2_S1_Ev17rocblas_diagonal_iiT6_lPT7_lllS7_lllPT8_llli
		.amdhsa_group_segment_fixed_size 16384
		.amdhsa_private_segment_fixed_size 0
		.amdhsa_kernarg_size 392
		.amdhsa_user_sgpr_count 2
		.amdhsa_user_sgpr_dispatch_ptr 0
		.amdhsa_user_sgpr_queue_ptr 0
		.amdhsa_user_sgpr_kernarg_segment_ptr 1
		.amdhsa_user_sgpr_dispatch_id 0
		.amdhsa_user_sgpr_private_segment_size 0
		.amdhsa_wavefront_size32 1
		.amdhsa_uses_dynamic_stack 0
		.amdhsa_enable_private_segment 0
		.amdhsa_system_sgpr_workgroup_id_x 1
		.amdhsa_system_sgpr_workgroup_id_y 1
		.amdhsa_system_sgpr_workgroup_id_z 1
		.amdhsa_system_sgpr_workgroup_info 0
		.amdhsa_system_vgpr_workitem_id 1
		.amdhsa_next_free_vgpr 92
		.amdhsa_next_free_sgpr 60
		.amdhsa_reserve_vcc 1
		.amdhsa_float_round_mode_32 0
		.amdhsa_float_round_mode_16_64 0
		.amdhsa_float_denorm_mode_32 3
		.amdhsa_float_denorm_mode_16_64 3
		.amdhsa_fp16_overflow 0
		.amdhsa_workgroup_processor_mode 1
		.amdhsa_memory_ordered 1
		.amdhsa_forward_progress 1
		.amdhsa_inst_pref_size 61
		.amdhsa_round_robin_scheduling 0
		.amdhsa_exception_fp_ieee_invalid_op 0
		.amdhsa_exception_fp_denorm_src 0
		.amdhsa_exception_fp_ieee_div_zero 0
		.amdhsa_exception_fp_ieee_overflow 0
		.amdhsa_exception_fp_ieee_underflow 0
		.amdhsa_exception_fp_ieee_inexact 0
		.amdhsa_exception_int_div_zero 0
	.end_amdhsa_kernel
	.section	.text._ZL30rocblas_trmm_outofplace_kernelI19rocblas_complex_numIfELi32ELi2ELb0ELb1ELb0ELb0EPKS1_S2_S1_Ev17rocblas_diagonal_iiT6_lPT7_lllS7_lllPT8_llli,"axG",@progbits,_ZL30rocblas_trmm_outofplace_kernelI19rocblas_complex_numIfELi32ELi2ELb0ELb1ELb0ELb0EPKS1_S2_S1_Ev17rocblas_diagonal_iiT6_lPT7_lllS7_lllPT8_llli,comdat
.Lfunc_end86:
	.size	_ZL30rocblas_trmm_outofplace_kernelI19rocblas_complex_numIfELi32ELi2ELb0ELb1ELb0ELb0EPKS1_S2_S1_Ev17rocblas_diagonal_iiT6_lPT7_lllS7_lllPT8_llli, .Lfunc_end86-_ZL30rocblas_trmm_outofplace_kernelI19rocblas_complex_numIfELi32ELi2ELb0ELb1ELb0ELb0EPKS1_S2_S1_Ev17rocblas_diagonal_iiT6_lPT7_lllS7_lllPT8_llli
                                        ; -- End function
	.set _ZL30rocblas_trmm_outofplace_kernelI19rocblas_complex_numIfELi32ELi2ELb0ELb1ELb0ELb0EPKS1_S2_S1_Ev17rocblas_diagonal_iiT6_lPT7_lllS7_lllPT8_llli.num_vgpr, 92
	.set _ZL30rocblas_trmm_outofplace_kernelI19rocblas_complex_numIfELi32ELi2ELb0ELb1ELb0ELb0EPKS1_S2_S1_Ev17rocblas_diagonal_iiT6_lPT7_lllS7_lllPT8_llli.num_agpr, 0
	.set _ZL30rocblas_trmm_outofplace_kernelI19rocblas_complex_numIfELi32ELi2ELb0ELb1ELb0ELb0EPKS1_S2_S1_Ev17rocblas_diagonal_iiT6_lPT7_lllS7_lllPT8_llli.numbered_sgpr, 60
	.set _ZL30rocblas_trmm_outofplace_kernelI19rocblas_complex_numIfELi32ELi2ELb0ELb1ELb0ELb0EPKS1_S2_S1_Ev17rocblas_diagonal_iiT6_lPT7_lllS7_lllPT8_llli.num_named_barrier, 0
	.set _ZL30rocblas_trmm_outofplace_kernelI19rocblas_complex_numIfELi32ELi2ELb0ELb1ELb0ELb0EPKS1_S2_S1_Ev17rocblas_diagonal_iiT6_lPT7_lllS7_lllPT8_llli.private_seg_size, 0
	.set _ZL30rocblas_trmm_outofplace_kernelI19rocblas_complex_numIfELi32ELi2ELb0ELb1ELb0ELb0EPKS1_S2_S1_Ev17rocblas_diagonal_iiT6_lPT7_lllS7_lllPT8_llli.uses_vcc, 1
	.set _ZL30rocblas_trmm_outofplace_kernelI19rocblas_complex_numIfELi32ELi2ELb0ELb1ELb0ELb0EPKS1_S2_S1_Ev17rocblas_diagonal_iiT6_lPT7_lllS7_lllPT8_llli.uses_flat_scratch, 0
	.set _ZL30rocblas_trmm_outofplace_kernelI19rocblas_complex_numIfELi32ELi2ELb0ELb1ELb0ELb0EPKS1_S2_S1_Ev17rocblas_diagonal_iiT6_lPT7_lllS7_lllPT8_llli.has_dyn_sized_stack, 0
	.set _ZL30rocblas_trmm_outofplace_kernelI19rocblas_complex_numIfELi32ELi2ELb0ELb1ELb0ELb0EPKS1_S2_S1_Ev17rocblas_diagonal_iiT6_lPT7_lllS7_lllPT8_llli.has_recursion, 0
	.set _ZL30rocblas_trmm_outofplace_kernelI19rocblas_complex_numIfELi32ELi2ELb0ELb1ELb0ELb0EPKS1_S2_S1_Ev17rocblas_diagonal_iiT6_lPT7_lllS7_lllPT8_llli.has_indirect_call, 0
	.section	.AMDGPU.csdata,"",@progbits
; Kernel info:
; codeLenInByte = 7700
; TotalNumSgprs: 62
; NumVgprs: 92
; ScratchSize: 0
; MemoryBound: 1
; FloatMode: 240
; IeeeMode: 1
; LDSByteSize: 16384 bytes/workgroup (compile time only)
; SGPRBlocks: 0
; VGPRBlocks: 11
; NumSGPRsForWavesPerEU: 62
; NumVGPRsForWavesPerEU: 92
; Occupancy: 16
; WaveLimiterHint : 0
; COMPUTE_PGM_RSRC2:SCRATCH_EN: 0
; COMPUTE_PGM_RSRC2:USER_SGPR: 2
; COMPUTE_PGM_RSRC2:TRAP_HANDLER: 0
; COMPUTE_PGM_RSRC2:TGID_X_EN: 1
; COMPUTE_PGM_RSRC2:TGID_Y_EN: 1
; COMPUTE_PGM_RSRC2:TGID_Z_EN: 1
; COMPUTE_PGM_RSRC2:TIDIG_COMP_CNT: 1
	.section	.text._ZL30rocblas_trmm_outofplace_kernelI19rocblas_complex_numIfELi32ELi2ELb0ELb1ELb0ELb0ES1_KS1_S1_Ev17rocblas_diagonal_iiT6_lPT7_lllS6_lllPT8_llli,"axG",@progbits,_ZL30rocblas_trmm_outofplace_kernelI19rocblas_complex_numIfELi32ELi2ELb0ELb1ELb0ELb0ES1_KS1_S1_Ev17rocblas_diagonal_iiT6_lPT7_lllS6_lllPT8_llli,comdat
	.globl	_ZL30rocblas_trmm_outofplace_kernelI19rocblas_complex_numIfELi32ELi2ELb0ELb1ELb0ELb0ES1_KS1_S1_Ev17rocblas_diagonal_iiT6_lPT7_lllS6_lllPT8_llli ; -- Begin function _ZL30rocblas_trmm_outofplace_kernelI19rocblas_complex_numIfELi32ELi2ELb0ELb1ELb0ELb0ES1_KS1_S1_Ev17rocblas_diagonal_iiT6_lPT7_lllS6_lllPT8_llli
	.p2align	8
	.type	_ZL30rocblas_trmm_outofplace_kernelI19rocblas_complex_numIfELi32ELi2ELb0ELb1ELb0ELb0ES1_KS1_S1_Ev17rocblas_diagonal_iiT6_lPT7_lllS6_lllPT8_llli,@function
_ZL30rocblas_trmm_outofplace_kernelI19rocblas_complex_numIfELi32ELi2ELb0ELb1ELb0ELb0ES1_KS1_S1_Ev17rocblas_diagonal_iiT6_lPT7_lllS6_lllPT8_llli: ; @_ZL30rocblas_trmm_outofplace_kernelI19rocblas_complex_numIfELi32ELi2ELb0ELb1ELb0ELb0ES1_KS1_S1_Ev17rocblas_diagonal_iiT6_lPT7_lllS6_lllPT8_llli
; %bb.0:
	s_load_b32 s33, s[0:1], 0x80
	s_lshr_b32 s34, ttmp7, 16
	s_wait_kmcnt 0x0
	s_cmp_ge_u32 s34, s33
	s_cbranch_scc1 .LBB87_66
; %bb.1:
	s_load_b64 s[40:41], s[0:1], 0xc
	s_mov_b32 s35, 0
	s_wait_kmcnt 0x0
	s_or_b32 s2, s40, s41
	s_delay_alu instid0(SALU_CYCLE_1) | instskip(NEXT) | instid1(SALU_CYCLE_1)
	s_bitset0_b32 s2, 31
	s_cmp_eq_u32 s2, 0
	s_cbranch_scc1 .LBB87_66
; %bb.2:
	s_clause 0x2
	s_load_b96 s[36:38], s[0:1], 0x0
	s_load_b512 s[8:23], s[0:1], 0x20
	s_load_b256 s[24:31], s[0:1], 0x60
	s_add_nc_u64 s[42:43], s[0:1], 0x88
	v_dual_mov_b32 v5, 0 :: v_dual_and_b32 v36, 0x3ff, v0
	v_bfe_u32 v37, v0, 10, 10
	s_and_b32 s39, ttmp7, 0xffff
	s_delay_alu instid0(VALU_DEP_2) | instskip(SKIP_1) | instid1(VALU_DEP_3)
	v_lshl_add_u32 v0, ttmp9, 5, v36
	v_sub_co_u32 v43, s4, 0, v36
	v_lshl_add_u32 v13, v37, 3, 0x80
	v_sub_co_ci_u32_e64 v44, null, 0, 0, s4
	s_delay_alu instid0(VALU_DEP_4) | instskip(SKIP_2) | instid1(VALU_DEP_3)
	v_ashrrev_i32_e32 v1, 31, v0
	v_add_nc_u32_e32 v2, 16, v0
	v_lshl_add_u32 v45, s39, 5, v37
	v_lshlrev_b64_e32 v[8:9], 3, v[0:1]
	s_wait_kmcnt 0x0
	s_add_co_i32 s0, s38, -1
	v_sub_co_u32 v6, vcc_lo, s37, v0
	s_wait_alu 0xfffe
	s_ashr_i32 s1, s0, 31
	v_mad_co_u64_u32 v[10:11], null, s20, v37, 0
	s_wait_alu 0xfffe
	s_lshr_b32 s1, s1, 27
	v_lshlrev_b32_e32 v39, 3, v36
	s_wait_alu 0xfffe
	s_add_co_i32 s0, s0, s1
	v_ashrrev_i32_e32 v3, 31, v2
	s_wait_alu 0xfffe
	s_ashr_i32 s48, s0, 5
	v_cmp_gt_i32_e64 s0, s37, v0
	s_cmp_le_i32 s39, s48
	v_mov_b32_e32 v4, v11
	s_cselect_b32 s49, -1, 0
	s_cmp_eq_u32 s36, 0x84
	v_or_b32_e32 v41, 0x2000, v39
	s_cselect_b32 s50, -1, 0
	s_ashr_i32 s1, s37, 31
	s_lshl_b64 s[2:3], s[26:27], 3
	s_wait_alu 0xfffe
	v_sub_co_ci_u32_e64 v7, null, s1, v1, vcc_lo
	s_add_nc_u64 s[24:25], s[24:25], s[2:3]
	s_lshl_b64 s[4:5], s[18:19], 3
	v_mad_co_u64_u32 v[11:12], null, s21, v37, v[4:5]
	v_cmp_gt_i64_e64 s1, 1, v[6:7]
	v_cmp_gt_i64_e64 s2, 17, v[6:7]
	v_mad_co_u64_u32 v[6:7], null, s20, v13, 0
	s_wait_alu 0xfffe
	s_add_nc_u64 s[4:5], s[16:17], s[4:5]
	v_add_nc_u32_e32 v47, 0x1000, v41
	s_wait_alu 0xfffe
	v_add_co_u32 v4, vcc_lo, s4, v8
	v_lshlrev_b64_e32 v[10:11], 3, v[10:11]
	v_lshlrev_b64_e32 v[14:15], 3, v[2:3]
	v_mov_b32_e32 v0, v7
	s_wait_alu 0xfffd
	v_add_co_ci_u32_e64 v7, null, s5, v9, vcc_lo
	v_add_co_u32 v12, vcc_lo, 0x80, v4
	s_delay_alu instid0(VALU_DEP_3)
	v_mad_co_u64_u32 v[0:1], null, s21, v13, v[0:1]
	v_lshlrev_b32_e32 v38, 8, v37
	v_cmp_gt_i32_e64 s3, s37, v2
	s_wait_alu 0xfffd
	v_add_co_ci_u32_e64 v13, null, 0, v7, vcc_lo
	v_mov_b32_e32 v4, 1.0
	v_dual_mov_b32 v7, v0 :: v_dual_add_nc_u32 v46, 0x800, v41
	v_add_nc_u32_e32 v40, v38, v39
	v_add_nc_u32_e32 v42, v41, v38
	;; [unrolled: 1-line block ×3, first 2 shown]
	s_mov_b32 s44, s38
	s_ashr_i32 s45, s38, 31
	s_lshl_b64 s[4:5], s[10:11], 3
	s_lshl_b64 s[26:27], s[20:21], 8
	s_add_nc_u64 s[46:47], s[44:45], -16
	s_lshl_b64 s[16:17], s[22:23], 3
	s_wait_alu 0xfffe
	s_add_nc_u64 s[10:11], s[8:9], s[4:5]
	s_lshl_b64 s[14:15], s[14:15], 3
	s_lshl_b64 s[18:19], s[12:13], 3
	s_branch .LBB87_4
.LBB87_3:                               ;   in Loop: Header=BB87_4 Depth=1
	s_add_co_i32 s34, s34, 0x10000
	s_wait_alu 0xfffe
	s_cmp_ge_u32 s34, s33
	s_cbranch_scc1 .LBB87_66
.LBB87_4:                               ; =>This Loop Header: Depth=1
                                        ;     Child Loop BB87_7 Depth 2
                                        ;       Child Loop BB87_10 Depth 3
	s_and_not1_b32 vcc_lo, exec_lo, s49
	s_wait_alu 0xfffe
	s_cbranch_vccnz .LBB87_3
; %bb.5:                                ;   in Loop: Header=BB87_4 Depth=1
	v_mad_co_u64_u32 v[16:17], null, s16, s34, v[12:13]
	s_load_b32 s51, s[42:43], 0x4
	s_mul_u64 s[4:5], s[30:31], s[34:35]
	s_mul_u64 s[6:7], s[14:15], s[34:35]
	s_wait_alu 0xfffe
	s_lshl_b64 s[4:5], s[4:5], 3
	s_add_nc_u64 s[22:23], s[10:11], s[6:7]
	s_wait_alu 0xfffe
	s_add_nc_u64 s[20:21], s[24:25], s[4:5]
	v_mov_b32_e32 v0, v17
	s_mov_b32 s53, s39
	v_mov_b32_e32 v18, v45
	s_delay_alu instid0(VALU_DEP_2) | instskip(NEXT) | instid1(VALU_DEP_1)
	v_mad_co_u64_u32 v[0:1], null, s17, s34, v[0:1]
	v_mov_b32_e32 v17, v0
	s_wait_kmcnt 0x0
	s_lshl_b32 s52, s51, 5
	s_branch .LBB87_7
.LBB87_6:                               ;   in Loop: Header=BB87_7 Depth=2
	s_wait_alu 0xfffe
	s_or_b32 exec_lo, exec_lo, s4
	v_add_nc_u32_e32 v18, s52, v18
	s_add_co_i32 s53, s51, s53
	s_wait_alu 0xfffe
	s_cmp_gt_i32 s53, s48
	s_cbranch_scc1 .LBB87_3
.LBB87_7:                               ;   Parent Loop BB87_4 Depth=1
                                        ; =>  This Loop Header: Depth=2
                                        ;       Child Loop BB87_10 Depth 3
	s_wait_alu 0xfffe
	s_lshl_b32 s54, s53, 5
	v_dual_mov_b32 v54, 0 :: v_dual_mov_b32 v55, 0
	s_wait_alu 0xfffe
	v_dual_mov_b32 v53, 0 :: v_dual_add_nc_u32 v20, s54, v37
	v_dual_mov_b32 v52, 0 :: v_dual_mov_b32 v51, 0
	v_dual_mov_b32 v50, 0 :: v_dual_mov_b32 v49, 0
	s_delay_alu instid0(VALU_DEP_3)
	v_ashrrev_i32_e32 v21, 31, v20
	v_mov_b32_e32 v19, 0
	s_cmp_lt_i32 s53, 0
	s_cbranch_scc1 .LBB87_58
; %bb.8:                                ;   in Loop: Header=BB87_7 Depth=2
	v_ashrrev_i32_e32 v19, 31, v18
	v_add_co_u32 v26, s4, v20, 16
	s_wait_alu 0xf1ff
	v_add_co_ci_u32_e64 v27, null, 0, v21, s4
	s_delay_alu instid0(VALU_DEP_3) | instskip(SKIP_3) | instid1(VALU_DEP_4)
	v_lshlrev_b64_e32 v[0:1], 3, v[18:19]
	v_add_co_u32 v28, s4, v43, v18
	v_mad_co_u64_u32 v[22:23], null, s18, v18, s[22:23]
	v_mul_lo_u32 v2, s19, v18
	v_add_co_u32 v0, vcc_lo, 0x80, v0
	s_wait_alu 0xfffd
	v_add_co_ci_u32_e64 v1, null, 0, v1, vcc_lo
	v_mul_lo_u32 v3, s18, v19
	s_delay_alu instid0(VALU_DEP_3) | instskip(SKIP_1) | instid1(VALU_DEP_4)
	v_mul_lo_u32 v30, s13, v0
	v_mad_co_u64_u32 v[24:25], null, s12, v0, s[22:23]
	v_mul_lo_u32 v1, s12, v1
	s_wait_alu 0xf1ff
	v_add_co_ci_u32_e64 v29, null, v44, v19, s4
	v_cmp_le_i64_e64 s4, s[44:45], v[26:27]
	v_dual_mov_b32 v35, v17 :: v_dual_mov_b32 v50, 0
	v_add3_u32 v23, v2, v23, v3
	v_dual_mov_b32 v19, 0 :: v_dual_mov_b32 v34, v16
	v_add3_u32 v25, v30, v25, v1
	v_add_co_u32 v30, s5, v28, 16
	s_wait_alu 0xf1ff
	v_add_co_ci_u32_e64 v31, null, 0, v29, s5
	v_add_co_u32 v32, s5, v28, -16
	s_wait_alu 0xf1ff
	v_add_co_ci_u32_e64 v33, null, -1, v29, s5
	v_dual_mov_b32 v49, 0 :: v_dual_mov_b32 v52, 0
	v_dual_mov_b32 v51, 0 :: v_dual_mov_b32 v54, 0
	v_mov_b32_e32 v53, 0
	v_mov_b32_e32 v55, 0
	s_mov_b64 s[36:37], 0
	v_cmp_le_i32_e32 vcc_lo, s38, v20
	s_branch .LBB87_10
.LBB87_9:                               ;   in Loop: Header=BB87_10 Depth=3
	s_wait_alu 0xfffe
	s_or_b32 exec_lo, exec_lo, s5
	s_wait_dscnt 0x0
	s_barrier_signal -1
	s_barrier_wait -1
	global_inv scope:SCOPE_SE
	ds_load_b128 v[56:59], v38
	ds_load_2addr_b64 v[60:63], v41 offset1:16
	ds_load_b128 v[64:67], v38 offset:4096
	ds_load_b128 v[68:71], v38 offset:16
	;; [unrolled: 1-line block ×4, first 2 shown]
	ds_load_2addr_b64 v[76:79], v41 offset0:32 offset1:48
	ds_load_b128 v[80:83], v38 offset:4112
	v_add_co_u32 v34, s5, v34, s26
	s_wait_alu 0xf1ff
	v_add_co_ci_u32_e64 v35, null, s27, v35, s5
	v_add_co_u32 v24, s5, 0x100, v24
	s_wait_alu 0xf1ff
	v_add_co_ci_u32_e64 v25, null, 0, v25, s5
	v_add_co_u32 v22, s5, 0x100, v22
	s_add_nc_u64 s[36:37], s[36:37], 32
	v_add_co_ci_u32_e64 v23, null, 0, v23, s5
	s_wait_dscnt 0x6
	v_dual_mul_f32 v84, v57, v61 :: v_dual_mul_f32 v87, v56, v63
	v_dual_mul_f32 v85, v56, v61 :: v_dual_mul_f32 v86, v57, v63
	s_wait_dscnt 0x5
	v_mul_f32_e32 v88, v65, v61
	s_delay_alu instid0(VALU_DEP_3)
	v_fma_f32 v84, v56, v60, -v84
	v_mul_f32_e32 v61, v64, v61
	v_fmac_f32_e32 v85, v57, v60
	v_fma_f32 v56, v56, v62, -v86
	v_mul_f32_e32 v89, v65, v63
	v_mul_f32_e32 v63, v64, v63
	v_fmac_f32_e32 v87, v57, v62
	v_fma_f32 v57, v64, v60, -v88
	v_add_f32_e32 v54, v54, v84
	v_fmac_f32_e32 v61, v65, v60
	v_add_f32_e32 v56, v52, v56
	v_fma_f32 v60, v64, v62, -v89
	s_wait_dscnt 0x1
	v_mul_f32_e32 v64, v59, v77
	v_add_f32_e32 v55, v55, v85
	s_wait_alu 0xfffe
	s_sub_co_i32 s5, s36, 32
	v_add_f32_e32 v60, v49, v60
	v_fma_f32 v64, v58, v76, -v64
	v_dual_fmac_f32 v63, v65, v62 :: v_dual_mul_f32 v62, v58, v77
	v_add_f32_e32 v53, v53, v87
	s_delay_alu instid0(VALU_DEP_3) | instskip(NEXT) | instid1(VALU_DEP_3)
	v_dual_mul_f32 v65, v59, v79 :: v_dual_add_f32 v64, v54, v64
	v_add_f32_e32 v19, v19, v63
	s_delay_alu instid0(VALU_DEP_4) | instskip(SKIP_1) | instid1(VALU_DEP_4)
	v_dual_fmac_f32 v62, v59, v76 :: v_dual_mul_f32 v63, v58, v79
	v_add_f32_e32 v57, v50, v57
	v_fma_f32 v54, v58, v78, -v65
	v_mul_f32_e32 v58, v67, v77
	s_delay_alu instid0(VALU_DEP_4)
	v_add_f32_e32 v62, v55, v62
	v_fmac_f32_e32 v63, v59, v78
	v_add_f32_e32 v61, v51, v61
	ds_load_2addr_b64 v[49:52], v41 offset0:64 offset1:80
	v_mul_f32_e32 v55, v66, v77
	v_add_f32_e32 v59, v56, v54
	v_fma_f32 v54, v66, v76, -v58
	v_mul_f32_e32 v56, v67, v79
	s_wait_alu 0xfffe
	s_cmp_ge_i32 s5, s54
	v_fmac_f32_e32 v55, v67, v76
	s_wait_dscnt 0x0
	v_mul_f32_e32 v65, v68, v50
	s_delay_alu instid0(VALU_DEP_1) | instskip(NEXT) | instid1(VALU_DEP_1)
	v_fmac_f32_e32 v65, v69, v49
	v_add_f32_e32 v62, v62, v65
	v_add_f32_e32 v58, v53, v63
	;; [unrolled: 1-line block ×3, first 2 shown]
	v_fma_f32 v53, v66, v78, -v56
	v_dual_mul_f32 v54, v69, v50 :: v_dual_mul_f32 v63, v66, v79
	v_mul_f32_e32 v65, v81, v50
	v_dual_mul_f32 v50, v80, v50 :: v_dual_add_f32 v61, v61, v55
	s_delay_alu instid0(VALU_DEP_4) | instskip(NEXT) | instid1(VALU_DEP_4)
	v_add_f32_e32 v60, v60, v53
	v_fma_f32 v66, v68, v49, -v54
	ds_load_2addr_b64 v[53:56], v41 offset0:96 offset1:112
	v_dual_fmac_f32 v63, v67, v78 :: v_dual_fmac_f32 v50, v81, v49
	v_fma_f32 v65, v80, v49, -v65
	v_mul_f32_e32 v67, v69, v52
	s_delay_alu instid0(VALU_DEP_3) | instskip(SKIP_2) | instid1(VALU_DEP_4)
	v_add_f32_e32 v19, v19, v63
	v_add_f32_e32 v63, v64, v66
	v_mul_f32_e32 v64, v68, v52
	v_fma_f32 v66, v68, v51, -v67
	s_delay_alu instid0(VALU_DEP_1) | instskip(SKIP_1) | instid1(VALU_DEP_2)
	v_dual_fmac_f32 v64, v69, v51 :: v_dual_add_f32 v59, v59, v66
	v_mul_f32_e32 v66, v81, v52
	v_add_f32_e32 v58, v58, v64
	s_wait_dscnt 0x0
	v_dual_add_f32 v64, v57, v65 :: v_dual_mul_f32 v57, v71, v54
	s_delay_alu instid0(VALU_DEP_3) | instskip(SKIP_1) | instid1(VALU_DEP_3)
	v_fma_f32 v49, v80, v51, -v66
	v_mul_f32_e32 v66, v71, v56
	v_fma_f32 v57, v70, v53, -v57
	s_delay_alu instid0(VALU_DEP_3) | instskip(NEXT) | instid1(VALU_DEP_3)
	v_add_f32_e32 v65, v60, v49
	v_fma_f32 v66, v70, v55, -v66
	s_delay_alu instid0(VALU_DEP_3) | instskip(SKIP_2) | instid1(VALU_DEP_3)
	v_dual_mul_f32 v60, v70, v54 :: v_dual_add_f32 v63, v63, v57
	v_mul_f32_e32 v57, v83, v54
	v_mul_f32_e32 v54, v82, v54
	v_fmac_f32_e32 v60, v71, v53
	s_delay_alu instid0(VALU_DEP_3) | instskip(NEXT) | instid1(VALU_DEP_3)
	v_fma_f32 v68, v82, v53, -v57
	v_fmac_f32_e32 v54, v83, v53
	s_delay_alu instid0(VALU_DEP_3) | instskip(NEXT) | instid1(VALU_DEP_3)
	v_add_f32_e32 v62, v62, v60
	v_add_f32_e32 v68, v64, v68
	v_mul_f32_e32 v64, v82, v56
	v_dual_mul_f32 v67, v80, v52 :: v_dual_add_f32 v66, v59, v66
	s_delay_alu instid0(VALU_DEP_2) | instskip(NEXT) | instid1(VALU_DEP_2)
	v_dual_add_f32 v61, v61, v50 :: v_dual_fmac_f32 v64, v83, v55
	v_fmac_f32_e32 v67, v81, v51
	ds_load_2addr_b64 v[49:52], v41 offset0:128 offset1:144
	v_mul_f32_e32 v69, v83, v56
	v_add_f32_e32 v19, v19, v67
	s_delay_alu instid0(VALU_DEP_2) | instskip(SKIP_1) | instid1(VALU_DEP_3)
	v_fma_f32 v53, v82, v55, -v69
	v_add_f32_e32 v69, v61, v54
	v_add_f32_e32 v19, v19, v64
	s_wait_dscnt 0x0
	v_mul_f32_e32 v76, v72, v52
	s_delay_alu instid0(VALU_DEP_1) | instskip(SKIP_3) | instid1(VALU_DEP_3)
	v_dual_fmac_f32 v76, v73, v51 :: v_dual_mul_f32 v67, v70, v56
	v_mul_f32_e32 v56, v73, v50
	v_add_f32_e32 v65, v65, v53
	v_mul_f32_e32 v61, v72, v50
	v_fma_f32 v70, v72, v49, -v56
	s_delay_alu instid0(VALU_DEP_1)
	v_add_f32_e32 v70, v63, v70
	v_fmac_f32_e32 v67, v71, v55
	ds_load_2addr_b64 v[53:56], v41 offset0:160 offset1:176
	v_mul_f32_e32 v71, v73, v52
	v_add_f32_e32 v67, v58, v67
	ds_load_b128 v[57:60], v38 offset:4128
	v_fmac_f32_e32 v61, v73, v49
	v_fma_f32 v71, v72, v51, -v71
	s_delay_alu instid0(VALU_DEP_2)
	v_add_f32_e32 v77, v62, v61
	ds_load_b128 v[61:64], v38 offset:4144
	v_add_f32_e32 v66, v66, v71
	s_wait_dscnt 0x1
	v_mul_f32_e32 v72, v58, v50
	v_dual_mul_f32 v50, v57, v50 :: v_dual_mul_f32 v71, v58, v52
	v_dual_mul_f32 v73, v57, v52 :: v_dual_mul_f32 v52, v75, v54
	s_delay_alu instid0(VALU_DEP_3) | instskip(NEXT) | instid1(VALU_DEP_3)
	v_fma_f32 v72, v57, v49, -v72
	v_fmac_f32_e32 v50, v58, v49
	s_delay_alu instid0(VALU_DEP_4) | instskip(NEXT) | instid1(VALU_DEP_4)
	v_fma_f32 v49, v57, v51, -v71
	v_fmac_f32_e32 v73, v58, v51
	s_delay_alu instid0(VALU_DEP_3)
	v_dual_add_f32 v57, v68, v72 :: v_dual_add_f32 v68, v69, v50
	v_fma_f32 v69, v74, v53, -v52
	v_mul_f32_e32 v72, v60, v54
	v_add_f32_e32 v58, v65, v49
	ds_load_2addr_b64 v[49:52], v41 offset0:192 offset1:208
	v_mul_f32_e32 v71, v75, v56
	v_add_f32_e32 v69, v70, v69
	v_mul_f32_e32 v70, v74, v56
	s_delay_alu instid0(VALU_DEP_3) | instskip(SKIP_1) | instid1(VALU_DEP_3)
	v_fma_f32 v71, v74, v55, -v71
	v_add_f32_e32 v67, v67, v76
	v_fmac_f32_e32 v70, v75, v55
	s_delay_alu instid0(VALU_DEP_3) | instskip(SKIP_1) | instid1(VALU_DEP_3)
	v_add_f32_e32 v66, v66, v71
	v_fma_f32 v71, v59, v53, -v72
	v_add_f32_e32 v67, v67, v70
	v_dual_mul_f32 v70, v59, v56 :: v_dual_mul_f32 v65, v74, v54
	v_mul_f32_e32 v54, v59, v54
	s_delay_alu instid0(VALU_DEP_2) | instskip(NEXT) | instid1(VALU_DEP_2)
	v_dual_fmac_f32 v70, v60, v55 :: v_dual_fmac_f32 v65, v75, v53
	v_fmac_f32_e32 v54, v60, v53
	v_mul_f32_e32 v53, v60, v56
	s_wait_dscnt 0x0
	v_dual_mul_f32 v60, v0, v50 :: v_dual_add_f32 v19, v19, v73
	v_mul_f32_e32 v72, v0, v52
	v_add_f32_e32 v68, v68, v54
	v_fma_f32 v59, v59, v55, -v53
	ds_load_2addr_b64 v[53:56], v41 offset0:224 offset1:240
	v_fmac_f32_e32 v60, v1, v49
	v_fmac_f32_e32 v72, v1, v51
	v_add_f32_e32 v58, v58, v59
	v_add_f32_e32 v57, v57, v71
	v_mul_f32_e32 v71, v1, v50
	s_delay_alu instid0(VALU_DEP_1) | instskip(SKIP_3) | instid1(VALU_DEP_3)
	v_fma_f32 v59, v0, v49, -v71
	v_mul_f32_e32 v71, v1, v52
	v_mul_f32_e32 v1, v62, v50
	;; [unrolled: 1-line block ×3, first 2 shown]
	v_fma_f32 v0, v0, v51, -v71
	v_add_f32_e32 v65, v77, v65
	s_delay_alu instid0(VALU_DEP_4) | instskip(NEXT) | instid1(VALU_DEP_4)
	v_fma_f32 v1, v61, v49, -v1
	v_dual_fmac_f32 v50, v62, v49 :: v_dual_add_f32 v69, v69, v59
	s_delay_alu instid0(VALU_DEP_4)
	v_add_f32_e32 v0, v66, v0
	v_mul_f32_e32 v59, v62, v52
	v_add_f32_e32 v66, v67, v72
	s_wait_dscnt 0x0
	v_dual_mul_f32 v67, v61, v52 :: v_dual_mul_f32 v52, v3, v54
	v_add_f32_e32 v65, v65, v60
	v_fma_f32 v49, v61, v51, -v59
	v_add_f32_e32 v61, v57, v1
	v_mul_f32_e32 v71, v3, v56
	v_fma_f32 v1, v2, v53, -v52
	v_fmac_f32_e32 v67, v62, v51
	v_add_f32_e32 v62, v58, v49
	s_delay_alu instid0(VALU_DEP_3)
	v_add_f32_e32 v69, v69, v1
	v_fma_f32 v1, v2, v55, -v71
	v_add_f32_e32 v19, v19, v70
	v_add_f32_e32 v70, v68, v50
	ds_load_b128 v[49:52], v38 offset:64
	ds_load_2addr_b64 v[57:60], v46 offset1:16
	v_mul_f32_e32 v68, v2, v54
	v_dual_add_f32 v72, v0, v1 :: v_dual_add_f32 v19, v19, v67
	v_dual_mul_f32 v67, v2, v56 :: v_dual_mul_f32 v2, v64, v54
	s_delay_alu instid0(VALU_DEP_3) | instskip(SKIP_1) | instid1(VALU_DEP_1)
	v_fmac_f32_e32 v68, v3, v53
	v_mul_f32_e32 v54, v63, v54
	v_dual_fmac_f32 v67, v3, v55 :: v_dual_fmac_f32 v54, v64, v53
	s_delay_alu instid0(VALU_DEP_1)
	v_add_f32_e32 v70, v70, v54
	s_wait_dscnt 0x0
	v_mul_f32_e32 v76, v49, v60
	v_add_f32_e32 v71, v65, v68
	v_fma_f32 v65, v63, v53, -v2
	ds_load_b128 v[0:3], v38 offset:4160
	v_dual_mul_f32 v68, v64, v56 :: v_dual_add_f32 v73, v66, v67
	v_fmac_f32_e32 v76, v50, v59
	v_add_f32_e32 v74, v61, v65
	s_delay_alu instid0(VALU_DEP_3) | instskip(SKIP_3) | instid1(VALU_DEP_2)
	v_fma_f32 v53, v63, v55, -v68
	ds_load_b128 v[65:68], v38 offset:80
	v_dual_mul_f32 v61, v63, v56 :: v_dual_mul_f32 v56, v50, v58
	v_mul_f32_e32 v63, v49, v58
	v_dual_fmac_f32 v61, v64, v55 :: v_dual_mul_f32 v64, v50, v60
	s_delay_alu instid0(VALU_DEP_2)
	v_fmac_f32_e32 v63, v50, v57
	s_wait_dscnt 0x1
	v_mul_f32_e32 v77, v1, v58
	v_mul_f32_e32 v50, v0, v58
	;; [unrolled: 1-line block ×3, first 2 shown]
	v_add_f32_e32 v73, v73, v76
	v_dual_mul_f32 v76, v0, v60 :: v_dual_add_f32 v75, v62, v53
	v_fma_f32 v62, v49, v57, -v56
	ds_load_2addr_b64 v[53:56], v46 offset0:32 offset1:48
	v_fma_f32 v49, v49, v59, -v64
	v_fmac_f32_e32 v50, v1, v57
	v_fmac_f32_e32 v76, v1, v59
	v_add_f32_e32 v69, v69, v62
	s_delay_alu instid0(VALU_DEP_4) | instskip(SKIP_3) | instid1(VALU_DEP_3)
	v_add_f32_e32 v49, v72, v49
	v_fma_f32 v72, v0, v57, -v77
	v_fma_f32 v0, v0, v59, -v58
	v_add_f32_e32 v50, v70, v50
	v_dual_add_f32 v72, v74, v72 :: v_dual_add_f32 v19, v19, v61
	s_delay_alu instid0(VALU_DEP_3) | instskip(NEXT) | instid1(VALU_DEP_2)
	v_add_f32_e32 v70, v75, v0
	v_add_f32_e32 v19, v19, v76
	s_wait_dscnt 0x0
	v_mul_f32_e32 v57, v52, v54
	v_mul_f32_e32 v0, v51, v54
	v_dual_mul_f32 v74, v52, v56 :: v_dual_add_f32 v71, v71, v63
	ds_load_b128 v[61:64], v38 offset:4176
	v_fma_f32 v1, v51, v53, -v57
	ds_load_2addr_b64 v[57:60], v46 offset0:64 offset1:80
	v_fmac_f32_e32 v0, v52, v53
	v_add_f32_e32 v69, v69, v1
	v_mul_f32_e32 v1, v51, v56
	v_fma_f32 v51, v51, v55, -v74
	v_mul_f32_e32 v74, v3, v54
	v_dual_mul_f32 v54, v2, v54 :: v_dual_add_f32 v71, v71, v0
	s_delay_alu instid0(VALU_DEP_3) | instskip(NEXT) | instid1(VALU_DEP_3)
	v_add_f32_e32 v49, v49, v51
	v_fma_f32 v0, v2, v53, -v74
	s_delay_alu instid0(VALU_DEP_3) | instskip(SKIP_1) | instid1(VALU_DEP_3)
	v_dual_fmac_f32 v54, v3, v53 :: v_dual_mul_f32 v53, v2, v56
	v_mul_f32_e32 v51, v3, v56
	v_add_f32_e32 v56, v72, v0
	s_delay_alu instid0(VALU_DEP_3) | instskip(SKIP_2) | instid1(VALU_DEP_2)
	v_dual_add_f32 v50, v50, v54 :: v_dual_fmac_f32 v53, v3, v55
	s_wait_dscnt 0x0
	v_dual_mul_f32 v72, v65, v60 :: v_dual_fmac_f32 v1, v52, v55
	v_dual_mul_f32 v54, v66, v58 :: v_dual_add_f32 v19, v19, v53
	s_delay_alu instid0(VALU_DEP_2) | instskip(SKIP_1) | instid1(VALU_DEP_3)
	v_fmac_f32_e32 v72, v66, v59
	v_fma_f32 v51, v2, v55, -v51
	v_fma_f32 v54, v65, v57, -v54
	s_delay_alu instid0(VALU_DEP_2)
	v_add_f32_e32 v51, v70, v51
	v_mul_f32_e32 v70, v66, v60
	v_add_f32_e32 v52, v73, v1
	ds_load_2addr_b64 v[0:3], v46 offset0:96 offset1:112
	v_mul_f32_e32 v55, v65, v58
	v_add_f32_e32 v69, v69, v54
	v_fma_f32 v53, v65, v59, -v70
	v_mul_f32_e32 v54, v62, v58
	s_delay_alu instid0(VALU_DEP_4) | instskip(NEXT) | instid1(VALU_DEP_2)
	v_dual_fmac_f32 v55, v66, v57 :: v_dual_add_f32 v66, v52, v72
	v_fma_f32 v52, v61, v57, -v54
	s_delay_alu instid0(VALU_DEP_2) | instskip(SKIP_2) | instid1(VALU_DEP_2)
	v_add_f32_e32 v65, v71, v55
	v_mul_f32_e32 v55, v61, v58
	v_dual_add_f32 v58, v49, v53 :: v_dual_mul_f32 v49, v62, v60
	v_fmac_f32_e32 v55, v62, v57
	v_mul_f32_e32 v57, v61, v60
	s_delay_alu instid0(VALU_DEP_3) | instskip(SKIP_3) | instid1(VALU_DEP_3)
	v_fma_f32 v49, v61, v59, -v49
	s_wait_dscnt 0x0
	v_mul_f32_e32 v53, v68, v1
	v_dual_add_f32 v61, v56, v52 :: v_dual_add_f32 v70, v50, v55
	v_dual_fmac_f32 v57, v62, v59 :: v_dual_add_f32 v62, v51, v49
	s_delay_alu instid0(VALU_DEP_3)
	v_fma_f32 v59, v67, v0, -v53
	ds_load_b128 v[49:52], v38 offset:96
	ds_load_2addr_b64 v[53:56], v46 offset0:128 offset1:144
	v_dual_mul_f32 v71, v68, v3 :: v_dual_mul_f32 v60, v67, v1
	v_add_f32_e32 v19, v19, v57
	v_mul_f32_e32 v57, v67, v3
	v_add_f32_e32 v69, v69, v59
	s_delay_alu instid0(VALU_DEP_4) | instskip(SKIP_2) | instid1(VALU_DEP_3)
	v_fma_f32 v59, v67, v2, -v71
	v_mul_f32_e32 v67, v64, v1
	v_dual_mul_f32 v1, v63, v1 :: v_dual_fmac_f32 v60, v68, v0
	v_dual_fmac_f32 v57, v68, v2 :: v_dual_add_f32 v72, v58, v59
	s_delay_alu instid0(VALU_DEP_2) | instskip(NEXT) | instid1(VALU_DEP_1)
	v_fmac_f32_e32 v1, v64, v0
	v_dual_add_f32 v70, v70, v1 :: v_dual_add_f32 v71, v65, v60
	v_fma_f32 v65, v63, v0, -v67
	s_wait_dscnt 0x0
	v_dual_mul_f32 v67, v64, v3 :: v_dual_mul_f32 v76, v49, v56
	s_delay_alu instid0(VALU_DEP_2) | instskip(NEXT) | instid1(VALU_DEP_2)
	v_add_f32_e32 v74, v61, v65
	v_fma_f32 v0, v63, v2, -v67
	v_mul_f32_e32 v61, v63, v3
	v_mul_f32_e32 v3, v50, v54
	v_fmac_f32_e32 v76, v50, v55
	s_delay_alu instid0(VALU_DEP_4) | instskip(NEXT) | instid1(VALU_DEP_4)
	v_add_f32_e32 v75, v62, v0
	v_fmac_f32_e32 v61, v64, v2
	s_delay_alu instid0(VALU_DEP_4)
	v_fma_f32 v62, v49, v53, -v3
	ds_load_2addr_b64 v[0:3], v46 offset0:160 offset1:176
	v_add_f32_e32 v73, v66, v57
	ds_load_b128 v[57:60], v38 offset:4192
	ds_load_b128 v[65:68], v38 offset:112
	v_dual_mul_f32 v63, v49, v54 :: v_dual_mul_f32 v64, v50, v56
	s_delay_alu instid0(VALU_DEP_1) | instskip(NEXT) | instid1(VALU_DEP_2)
	v_fmac_f32_e32 v63, v50, v53
	v_fma_f32 v49, v49, v55, -v64
	s_wait_dscnt 0x1
	s_delay_alu instid0(VALU_DEP_1) | instskip(SKIP_2) | instid1(VALU_DEP_3)
	v_dual_add_f32 v49, v72, v49 :: v_dual_mul_f32 v50, v57, v54
	v_mul_f32_e32 v77, v58, v54
	v_mul_f32_e32 v54, v58, v56
	v_fmac_f32_e32 v50, v58, v53
	s_delay_alu instid0(VALU_DEP_3) | instskip(NEXT) | instid1(VALU_DEP_3)
	v_fma_f32 v72, v57, v53, -v77
	v_fma_f32 v53, v57, v55, -v54
	v_mul_f32_e32 v54, v52, v1
	s_delay_alu instid0(VALU_DEP_4) | instskip(SKIP_1) | instid1(VALU_DEP_1)
	v_add_f32_e32 v50, v70, v50
	v_dual_mul_f32 v70, v51, v1 :: v_dual_add_f32 v69, v69, v62
	v_fmac_f32_e32 v70, v52, v0
	v_add_f32_e32 v73, v73, v76
	v_mul_f32_e32 v76, v57, v56
	v_add_f32_e32 v57, v74, v72
	v_fma_f32 v72, v51, v0, -v54
	v_mul_f32_e32 v74, v52, v3
	s_delay_alu instid0(VALU_DEP_2) | instskip(SKIP_1) | instid1(VALU_DEP_3)
	v_dual_fmac_f32 v76, v58, v55 :: v_dual_add_f32 v69, v69, v72
	v_mul_f32_e32 v72, v51, v3
	v_fma_f32 v51, v51, v2, -v74
	v_mul_f32_e32 v74, v60, v1
	s_delay_alu instid0(VALU_DEP_3)
	v_dual_mul_f32 v1, v59, v1 :: v_dual_fmac_f32 v72, v52, v2
	v_add_f32_e32 v58, v75, v53
	ds_load_2addr_b64 v[53:56], v46 offset0:192 offset1:208
	v_add_f32_e32 v71, v71, v63
	v_fmac_f32_e32 v1, v60, v0
	v_add_f32_e32 v49, v49, v51
	v_fma_f32 v51, v59, v0, -v74
	v_mul_f32_e32 v0, v60, v3
	v_add_f32_e32 v70, v71, v70
	v_add_f32_e32 v50, v50, v1
	;; [unrolled: 1-line block ×3, first 2 shown]
	ds_load_b128 v[61:64], v38 offset:4208
	v_dual_mul_f32 v71, v59, v3 :: v_dual_add_f32 v52, v73, v72
	s_delay_alu instid0(VALU_DEP_1) | instskip(SKIP_3) | instid1(VALU_DEP_2)
	v_fmac_f32_e32 v71, v60, v2
	s_wait_dscnt 0x1
	v_mul_f32_e32 v60, v65, v54
	v_mul_f32_e32 v72, v65, v56
	v_fmac_f32_e32 v60, v66, v53
	s_delay_alu instid0(VALU_DEP_2) | instskip(NEXT) | instid1(VALU_DEP_2)
	v_fmac_f32_e32 v72, v66, v55
	v_dual_add_f32 v60, v70, v60 :: v_dual_add_f32 v51, v57, v51
	v_fma_f32 v57, v59, v2, -v0
	ds_load_2addr_b64 v[0:3], v46 offset0:224 offset1:240
	v_mul_f32_e32 v59, v66, v54
	v_add_f32_e32 v57, v58, v57
	s_delay_alu instid0(VALU_DEP_2) | instskip(SKIP_2) | instid1(VALU_DEP_2)
	v_fma_f32 v58, v65, v53, -v59
	v_mul_f32_e32 v59, v66, v56
	v_add_f32_e32 v66, v52, v72
	v_fma_f32 v59, v65, v55, -v59
	s_wait_dscnt 0x1
	v_mul_f32_e32 v65, v62, v54
	v_dual_mul_f32 v54, v61, v54 :: v_dual_add_f32 v19, v19, v76
	s_delay_alu instid0(VALU_DEP_3) | instskip(SKIP_1) | instid1(VALU_DEP_4)
	v_add_f32_e32 v59, v49, v59
	v_mul_f32_e32 v49, v62, v56
	v_fma_f32 v52, v61, v53, -v65
	s_wait_dscnt 0x0
	v_mul_f32_e32 v70, v67, v1
	v_fmac_f32_e32 v54, v62, v53
	v_mul_f32_e32 v53, v68, v1
	v_fma_f32 v49, v61, v55, -v49
	v_add_f32_e32 v58, v69, v58
	s_delay_alu instid0(VALU_DEP_4) | instskip(NEXT) | instid1(VALU_DEP_1)
	v_dual_fmac_f32 v70, v68, v0 :: v_dual_add_f32 v69, v50, v54
	v_dual_add_f32 v70, v60, v70 :: v_dual_mul_f32 v65, v61, v56
	v_add_f32_e32 v61, v51, v52
	s_delay_alu instid0(VALU_DEP_2)
	v_dual_fmac_f32 v65, v62, v55 :: v_dual_add_f32 v62, v57, v49
	v_fma_f32 v57, v67, v0, -v53
	ds_load_b128 v[49:52], v38 offset:128
	ds_load_2addr_b64 v[53:56], v47 offset1:16
	v_add_f32_e32 v19, v19, v71
	v_dual_mul_f32 v71, v68, v3 :: v_dual_add_f32 v72, v58, v57
	v_mul_f32_e32 v58, v64, v1
	s_delay_alu instid0(VALU_DEP_3) | instskip(NEXT) | instid1(VALU_DEP_3)
	v_add_f32_e32 v19, v19, v65
	v_fma_f32 v57, v67, v2, -v71
	v_mul_f32_e32 v65, v67, v3
	v_mul_f32_e32 v1, v63, v1
	v_fma_f32 v67, v63, v0, -v58
	s_delay_alu instid0(VALU_DEP_4)
	v_add_f32_e32 v71, v59, v57
	ds_load_b128 v[57:60], v38 offset:4224
	v_fmac_f32_e32 v65, v68, v2
	v_mul_f32_e32 v68, v64, v3
	v_dual_fmac_f32 v1, v64, v0 :: v_dual_add_f32 v74, v61, v67
	s_wait_dscnt 0x1
	s_delay_alu instid0(VALU_DEP_3) | instskip(NEXT) | instid1(VALU_DEP_3)
	v_dual_add_f32 v73, v66, v65 :: v_dual_mul_f32 v76, v49, v56
	v_fma_f32 v0, v63, v2, -v68
	ds_load_b128 v[65:68], v38 offset:144
	v_fmac_f32_e32 v76, v50, v55
	v_add_f32_e32 v75, v62, v0
	s_delay_alu instid0(VALU_DEP_2)
	v_add_f32_e32 v73, v73, v76
	v_mul_f32_e32 v61, v63, v3
	s_wait_dscnt 0x1
	v_dual_mul_f32 v3, v50, v54 :: v_dual_mul_f32 v76, v57, v56
	v_add_f32_e32 v69, v69, v1
	v_mul_f32_e32 v63, v49, v54
	v_fmac_f32_e32 v61, v64, v2
	s_delay_alu instid0(VALU_DEP_4)
	v_fma_f32 v62, v49, v53, -v3
	ds_load_2addr_b64 v[0:3], v47 offset0:32 offset1:48
	v_mul_f32_e32 v64, v50, v56
	v_fmac_f32_e32 v63, v50, v53
	v_mul_f32_e32 v77, v58, v54
	v_mul_f32_e32 v50, v57, v54
	;; [unrolled: 1-line block ×3, first 2 shown]
	v_fma_f32 v49, v49, v55, -v64
	v_fmac_f32_e32 v76, v58, v55
	v_add_f32_e32 v72, v72, v62
	v_fmac_f32_e32 v50, v58, v53
	s_delay_alu instid0(VALU_DEP_4) | instskip(SKIP_2) | instid1(VALU_DEP_2)
	v_dual_add_f32 v70, v70, v63 :: v_dual_add_f32 v49, v71, v49
	v_fma_f32 v71, v57, v53, -v77
	v_fma_f32 v53, v57, v55, -v54
	v_dual_add_f32 v50, v69, v50 :: v_dual_add_f32 v57, v74, v71
	s_delay_alu instid0(VALU_DEP_2) | instskip(SKIP_3) | instid1(VALU_DEP_2)
	v_add_f32_e32 v58, v75, v53
	s_wait_dscnt 0x0
	v_mul_f32_e32 v54, v52, v1
	v_dual_mul_f32 v69, v51, v1 :: v_dual_mul_f32 v74, v52, v3
	v_fma_f32 v71, v51, v0, -v54
	ds_load_2addr_b64 v[53:56], v47 offset0:64 offset1:80
	v_fmac_f32_e32 v69, v52, v0
	v_add_f32_e32 v71, v72, v71
	v_mul_f32_e32 v72, v51, v3
	v_fma_f32 v51, v51, v2, -v74
	v_mul_f32_e32 v74, v60, v1
	v_mul_f32_e32 v1, v59, v1
	s_delay_alu instid0(VALU_DEP_4) | instskip(NEXT) | instid1(VALU_DEP_2)
	v_dual_add_f32 v69, v70, v69 :: v_dual_fmac_f32 v72, v52, v2
	v_dual_mul_f32 v70, v59, v3 :: v_dual_fmac_f32 v1, v60, v0
	s_delay_alu instid0(VALU_DEP_2) | instskip(NEXT) | instid1(VALU_DEP_2)
	v_add_f32_e32 v52, v73, v72
	v_fmac_f32_e32 v70, v60, v2
	s_delay_alu instid0(VALU_DEP_3) | instskip(SKIP_2) | instid1(VALU_DEP_1)
	v_add_f32_e32 v50, v50, v1
	s_wait_dscnt 0x0
	v_mul_f32_e32 v72, v65, v56
	v_fmac_f32_e32 v72, v66, v55
	v_add_f32_e32 v49, v49, v51
	v_fma_f32 v51, v59, v0, -v74
	v_mul_f32_e32 v0, v60, v3
	v_mul_f32_e32 v60, v65, v54
	s_delay_alu instid0(VALU_DEP_3) | instskip(NEXT) | instid1(VALU_DEP_3)
	v_add_f32_e32 v51, v57, v51
	v_fma_f32 v57, v59, v2, -v0
	s_delay_alu instid0(VALU_DEP_3)
	v_fmac_f32_e32 v60, v66, v53
	v_add_f32_e32 v19, v19, v61
	ds_load_b128 v[61:64], v38 offset:4240
	v_mul_f32_e32 v59, v66, v54
	ds_load_2addr_b64 v[0:3], v47 offset0:96 offset1:112
	v_dual_add_f32 v57, v58, v57 :: v_dual_add_f32 v60, v69, v60
	v_fma_f32 v58, v65, v53, -v59
	v_mul_f32_e32 v59, v66, v56
	v_add_f32_e32 v66, v52, v72
	s_delay_alu instid0(VALU_DEP_3) | instskip(NEXT) | instid1(VALU_DEP_3)
	v_add_f32_e32 v58, v71, v58
	v_fma_f32 v59, v65, v55, -v59
	s_delay_alu instid0(VALU_DEP_1)
	v_add_f32_e32 v59, v49, v59
	s_wait_dscnt 0x1
	v_mul_f32_e32 v65, v62, v54
	v_dual_mul_f32 v49, v62, v56 :: v_dual_mul_f32 v54, v61, v54
	s_wait_dscnt 0x0
	v_mul_f32_e32 v71, v68, v3
	s_delay_alu instid0(VALU_DEP_3) | instskip(SKIP_4) | instid1(VALU_DEP_3)
	v_fma_f32 v52, v61, v53, -v65
	v_mul_f32_e32 v65, v61, v56
	v_fma_f32 v49, v61, v55, -v49
	v_dual_add_f32 v19, v19, v76 :: v_dual_fmac_f32 v54, v62, v53
	v_mul_f32_e32 v53, v68, v1
	v_dual_fmac_f32 v65, v62, v55 :: v_dual_add_f32 v62, v57, v49
	s_delay_alu instid0(VALU_DEP_3) | instskip(SKIP_1) | instid1(VALU_DEP_4)
	v_add_f32_e32 v19, v19, v70
	v_mul_f32_e32 v70, v67, v1
	v_fma_f32 v57, v67, v0, -v53
	v_add_f32_e32 v61, v51, v52
	s_delay_alu instid0(VALU_DEP_4) | instskip(NEXT) | instid1(VALU_DEP_4)
	v_add_f32_e32 v19, v19, v65
	v_dual_mul_f32 v65, v67, v3 :: v_dual_fmac_f32 v70, v68, v0
	s_delay_alu instid0(VALU_DEP_4) | instskip(SKIP_2) | instid1(VALU_DEP_4)
	v_add_f32_e32 v72, v58, v57
	v_mul_f32_e32 v58, v64, v1
	v_mul_f32_e32 v1, v63, v1
	v_fmac_f32_e32 v65, v68, v2
	v_mul_f32_e32 v68, v64, v3
	v_fma_f32 v57, v67, v2, -v71
	v_fma_f32 v67, v63, v0, -v58
	v_fmac_f32_e32 v1, v64, v0
	v_add_f32_e32 v70, v60, v70
	v_fma_f32 v0, v63, v2, -v68
	s_delay_alu instid0(VALU_DEP_4) | instskip(SKIP_1) | instid1(VALU_DEP_3)
	v_dual_add_f32 v71, v59, v57 :: v_dual_add_f32 v74, v61, v67
	v_mul_f32_e32 v61, v63, v3
	v_add_f32_e32 v75, v62, v0
	v_add_f32_e32 v69, v50, v54
	ds_load_b128 v[49:52], v38 offset:160
	ds_load_2addr_b64 v[53:56], v47 offset0:128 offset1:144
	ds_load_b128 v[57:60], v38 offset:4256
	v_add_f32_e32 v73, v66, v65
	ds_load_b128 v[65:68], v38 offset:176
	v_fmac_f32_e32 v61, v64, v2
	s_wait_dscnt 0x2
	v_mul_f32_e32 v3, v50, v54
	v_dual_mul_f32 v63, v49, v54 :: v_dual_mul_f32 v64, v50, v56
	s_wait_dscnt 0x1
	v_dual_mul_f32 v76, v49, v56 :: v_dual_mul_f32 v77, v58, v54
	s_delay_alu instid0(VALU_DEP_3) | instskip(NEXT) | instid1(VALU_DEP_3)
	v_fma_f32 v62, v49, v53, -v3
	v_fmac_f32_e32 v63, v50, v53
	v_fma_f32 v49, v49, v55, -v64
	s_delay_alu instid0(VALU_DEP_4) | instskip(SKIP_2) | instid1(VALU_DEP_4)
	v_fmac_f32_e32 v76, v50, v55
	v_mul_f32_e32 v50, v57, v54
	v_mul_f32_e32 v54, v58, v56
	v_dual_add_f32 v72, v72, v62 :: v_dual_add_f32 v49, v71, v49
	v_fma_f32 v71, v57, v53, -v77
	s_delay_alu instid0(VALU_DEP_4) | instskip(SKIP_2) | instid1(VALU_DEP_4)
	v_dual_add_f32 v73, v73, v76 :: v_dual_fmac_f32 v50, v58, v53
	v_mul_f32_e32 v76, v57, v56
	v_fma_f32 v53, v57, v55, -v54
	v_add_f32_e32 v57, v74, v71
	v_add_f32_e32 v70, v70, v63
	s_delay_alu instid0(VALU_DEP_4) | instskip(NEXT) | instid1(VALU_DEP_4)
	v_fmac_f32_e32 v76, v58, v55
	v_add_f32_e32 v58, v75, v53
	v_add_f32_e32 v69, v69, v1
	ds_load_2addr_b64 v[0:3], v47 offset0:160 offset1:176
	v_add_f32_e32 v50, v69, v50
	s_wait_dscnt 0x0
	v_mul_f32_e32 v54, v52, v1
	v_dual_mul_f32 v69, v51, v1 :: v_dual_mul_f32 v74, v52, v3
	s_delay_alu instid0(VALU_DEP_2)
	v_fma_f32 v71, v51, v0, -v54
	ds_load_2addr_b64 v[53:56], v47 offset0:192 offset1:208
	v_fmac_f32_e32 v69, v52, v0
	v_add_f32_e32 v71, v72, v71
	v_mul_f32_e32 v72, v51, v3
	v_fma_f32 v51, v51, v2, -v74
	v_mul_f32_e32 v74, v60, v1
	v_mul_f32_e32 v1, v59, v1
	v_dual_add_f32 v69, v70, v69 :: v_dual_mul_f32 v70, v59, v3
	s_delay_alu instid0(VALU_DEP_4) | instskip(NEXT) | instid1(VALU_DEP_4)
	v_add_f32_e32 v49, v49, v51
	v_fma_f32 v51, v59, v0, -v74
	s_delay_alu instid0(VALU_DEP_4) | instskip(SKIP_2) | instid1(VALU_DEP_4)
	v_fmac_f32_e32 v1, v60, v0
	v_mul_f32_e32 v0, v60, v3
	v_fmac_f32_e32 v70, v60, v2
	v_dual_fmac_f32 v72, v52, v2 :: v_dual_add_f32 v51, v57, v51
	s_delay_alu instid0(VALU_DEP_4) | instskip(NEXT) | instid1(VALU_DEP_4)
	v_add_f32_e32 v50, v50, v1
	v_fma_f32 v57, v59, v2, -v0
	s_wait_dscnt 0x0
	v_mul_f32_e32 v60, v65, v54
	v_add_f32_e32 v52, v73, v72
	v_dual_mul_f32 v72, v65, v56 :: v_dual_mul_f32 v59, v66, v54
	ds_load_2addr_b64 v[0:3], v47 offset0:224 offset1:240
	v_fmac_f32_e32 v60, v66, v53
	v_add_f32_e32 v57, v58, v57
	v_fmac_f32_e32 v72, v66, v55
	v_fma_f32 v58, v65, v53, -v59
	v_mul_f32_e32 v59, v66, v56
	v_dual_add_f32 v60, v69, v60 :: v_dual_add_f32 v19, v19, v61
	ds_load_b128 v[61:64], v38 offset:4272
	v_add_f32_e32 v66, v52, v72
	v_fma_f32 v59, v65, v55, -v59
	s_delay_alu instid0(VALU_DEP_1) | instskip(SKIP_3) | instid1(VALU_DEP_2)
	v_dual_add_f32 v58, v71, v58 :: v_dual_add_f32 v59, v49, v59
	s_wait_dscnt 0x0
	v_mul_f32_e32 v65, v62, v54
	v_dual_mul_f32 v54, v61, v54 :: v_dual_mul_f32 v49, v62, v56
	v_fma_f32 v52, v61, v53, -v65
	s_delay_alu instid0(VALU_DEP_2) | instskip(NEXT) | instid1(VALU_DEP_3)
	v_dual_fmac_f32 v54, v62, v53 :: v_dual_mul_f32 v65, v61, v56
	v_fma_f32 v49, v61, v55, -v49
	v_mul_f32_e32 v53, v68, v1
	v_add_f32_e32 v19, v19, v76
	v_add_f32_e32 v61, v51, v52
	;; [unrolled: 1-line block ×3, first 2 shown]
	v_dual_fmac_f32 v65, v62, v55 :: v_dual_add_f32 v62, v57, v49
	v_fma_f32 v57, v67, v0, -v53
	ds_load_b128 v[49:52], v38 offset:192
	ds_load_2addr_b64 v[53:56], v48 offset1:16
	v_add_f32_e32 v72, v58, v57
	v_mul_f32_e32 v58, v64, v1
	s_wait_dscnt 0x0
	v_dual_mul_f32 v76, v49, v56 :: v_dual_add_f32 v19, v19, v70
	v_mul_f32_e32 v70, v67, v1
	s_delay_alu instid0(VALU_DEP_2) | instskip(NEXT) | instid1(VALU_DEP_2)
	v_dual_fmac_f32 v76, v50, v55 :: v_dual_add_f32 v19, v19, v65
	v_dual_mul_f32 v65, v67, v3 :: v_dual_fmac_f32 v70, v68, v0
	s_delay_alu instid0(VALU_DEP_1) | instskip(NEXT) | instid1(VALU_DEP_1)
	v_fmac_f32_e32 v65, v68, v2
	v_dual_add_f32 v70, v60, v70 :: v_dual_add_f32 v73, v66, v65
	s_delay_alu instid0(VALU_DEP_1) | instskip(SKIP_2) | instid1(VALU_DEP_2)
	v_add_f32_e32 v73, v73, v76
	v_mul_f32_e32 v71, v68, v3
	v_mul_f32_e32 v68, v64, v3
	v_fma_f32 v57, v67, v2, -v71
	v_fma_f32 v67, v63, v0, -v58
	s_delay_alu instid0(VALU_DEP_2) | instskip(SKIP_2) | instid1(VALU_DEP_1)
	v_add_f32_e32 v71, v59, v57
	ds_load_b128 v[57:60], v38 offset:4288
	v_dual_mul_f32 v1, v63, v1 :: v_dual_add_f32 v74, v61, v67
	v_fmac_f32_e32 v1, v64, v0
	v_fma_f32 v0, v63, v2, -v68
	ds_load_b128 v[65:68], v38 offset:208
	v_mul_f32_e32 v61, v63, v3
	v_mul_f32_e32 v3, v50, v54
	v_mul_f32_e32 v63, v49, v54
	v_add_f32_e32 v75, v62, v0
	s_delay_alu instid0(VALU_DEP_4) | instskip(NEXT) | instid1(VALU_DEP_4)
	v_dual_fmac_f32 v61, v64, v2 :: v_dual_mul_f32 v64, v50, v56
	v_fma_f32 v62, v49, v53, -v3
	s_delay_alu instid0(VALU_DEP_4) | instskip(NEXT) | instid1(VALU_DEP_3)
	v_fmac_f32_e32 v63, v50, v53
	v_fma_f32 v49, v49, v55, -v64
	s_wait_dscnt 0x1
	v_mul_f32_e32 v77, v58, v54
	v_mul_f32_e32 v50, v57, v54
	v_mul_f32_e32 v54, v58, v56
	v_dual_mul_f32 v76, v57, v56 :: v_dual_add_f32 v49, v71, v49
	s_delay_alu instid0(VALU_DEP_4) | instskip(NEXT) | instid1(VALU_DEP_4)
	v_fma_f32 v71, v57, v53, -v77
	v_fmac_f32_e32 v50, v58, v53
	s_delay_alu instid0(VALU_DEP_4) | instskip(NEXT) | instid1(VALU_DEP_4)
	v_fma_f32 v53, v57, v55, -v54
	v_fmac_f32_e32 v76, v58, v55
	s_delay_alu instid0(VALU_DEP_4) | instskip(SKIP_1) | instid1(VALU_DEP_4)
	v_dual_add_f32 v72, v72, v62 :: v_dual_add_f32 v57, v74, v71
	v_add_f32_e32 v70, v70, v63
	v_add_f32_e32 v58, v75, v53
	v_add_f32_e32 v69, v69, v1
	ds_load_2addr_b64 v[0:3], v48 offset0:32 offset1:48
	v_add_f32_e32 v50, v69, v50
	s_wait_dscnt 0x0
	v_mul_f32_e32 v54, v52, v1
	v_dual_mul_f32 v69, v51, v1 :: v_dual_mul_f32 v74, v52, v3
	s_delay_alu instid0(VALU_DEP_2)
	v_fma_f32 v71, v51, v0, -v54
	ds_load_2addr_b64 v[53:56], v48 offset0:64 offset1:80
	v_fmac_f32_e32 v69, v52, v0
	v_add_f32_e32 v71, v72, v71
	v_mul_f32_e32 v72, v51, v3
	v_fma_f32 v51, v51, v2, -v74
	v_mul_f32_e32 v74, v60, v1
	v_mul_f32_e32 v1, v59, v1
	v_dual_add_f32 v69, v70, v69 :: v_dual_mul_f32 v70, v59, v3
	s_delay_alu instid0(VALU_DEP_4) | instskip(NEXT) | instid1(VALU_DEP_4)
	v_add_f32_e32 v49, v49, v51
	v_fma_f32 v51, v59, v0, -v74
	s_delay_alu instid0(VALU_DEP_4) | instskip(SKIP_2) | instid1(VALU_DEP_4)
	v_fmac_f32_e32 v1, v60, v0
	v_mul_f32_e32 v0, v60, v3
	v_fmac_f32_e32 v70, v60, v2
	v_dual_fmac_f32 v72, v52, v2 :: v_dual_add_f32 v51, v57, v51
	s_delay_alu instid0(VALU_DEP_4) | instskip(NEXT) | instid1(VALU_DEP_4)
	v_add_f32_e32 v50, v50, v1
	v_fma_f32 v57, v59, v2, -v0
	s_wait_dscnt 0x0
	v_mul_f32_e32 v60, v65, v54
	ds_load_2addr_b64 v[0:3], v48 offset0:96 offset1:112
	v_dual_mul_f32 v59, v66, v54 :: v_dual_add_f32 v52, v73, v72
	v_add_f32_e32 v57, v58, v57
	v_fmac_f32_e32 v60, v66, v53
	v_mul_f32_e32 v72, v65, v56
	s_delay_alu instid0(VALU_DEP_4) | instskip(SKIP_1) | instid1(VALU_DEP_4)
	v_fma_f32 v58, v65, v53, -v59
	v_mul_f32_e32 v59, v66, v56
	v_dual_add_f32 v60, v69, v60 :: v_dual_add_f32 v19, v19, v61
	ds_load_b128 v[61:64], v38 offset:4304
	v_fma_f32 v59, v65, v55, -v59
	v_fmac_f32_e32 v72, v66, v55
	s_delay_alu instid0(VALU_DEP_1) | instskip(SKIP_3) | instid1(VALU_DEP_2)
	v_dual_add_f32 v59, v49, v59 :: v_dual_add_f32 v66, v52, v72
	s_wait_dscnt 0x0
	v_mul_f32_e32 v65, v62, v54
	v_dual_mul_f32 v54, v61, v54 :: v_dual_mul_f32 v49, v62, v56
	v_fma_f32 v52, v61, v53, -v65
	s_delay_alu instid0(VALU_DEP_2) | instskip(NEXT) | instid1(VALU_DEP_3)
	v_dual_fmac_f32 v54, v62, v53 :: v_dual_mul_f32 v65, v61, v56
	v_fma_f32 v49, v61, v55, -v49
	v_mul_f32_e32 v53, v68, v1
	s_delay_alu instid0(VALU_DEP_4) | instskip(NEXT) | instid1(VALU_DEP_4)
	v_add_f32_e32 v61, v51, v52
	v_add_f32_e32 v69, v50, v54
	s_delay_alu instid0(VALU_DEP_4) | instskip(NEXT) | instid1(VALU_DEP_4)
	v_dual_fmac_f32 v65, v62, v55 :: v_dual_add_f32 v62, v57, v49
	v_fma_f32 v57, v67, v0, -v53
	ds_load_b128 v[49:52], v38 offset:224
	ds_load_2addr_b64 v[53:56], v48 offset0:128 offset1:144
	s_wait_dscnt 0x0
	v_dual_add_f32 v19, v19, v76 :: v_dual_mul_f32 v76, v49, v54
	s_delay_alu instid0(VALU_DEP_1) | instskip(SKIP_1) | instid1(VALU_DEP_3)
	v_add_f32_e32 v19, v19, v70
	v_dual_mul_f32 v70, v67, v1 :: v_dual_mul_f32 v77, v49, v56
	v_fmac_f32_e32 v76, v50, v53
	v_dual_add_f32 v58, v71, v58 :: v_dual_mul_f32 v71, v68, v3
	s_delay_alu instid0(VALU_DEP_4) | instskip(NEXT) | instid1(VALU_DEP_4)
	v_add_f32_e32 v19, v19, v65
	v_dual_mul_f32 v65, v67, v3 :: v_dual_fmac_f32 v70, v68, v0
	v_fmac_f32_e32 v77, v50, v55
	s_delay_alu instid0(VALU_DEP_4)
	v_fma_f32 v67, v67, v2, -v71
	v_add_f32_e32 v71, v58, v57
	v_mul_f32_e32 v57, v64, v1
	v_fmac_f32_e32 v65, v68, v2
	v_add_f32_e32 v70, v60, v70
	v_add_f32_e32 v72, v59, v67
	v_mul_f32_e32 v1, v63, v1
	v_fma_f32 v67, v63, v0, -v57
	v_add_f32_e32 v73, v66, v65
	v_mul_f32_e32 v65, v64, v3
	ds_load_b128 v[57:60], v38 offset:4320
	v_dual_fmac_f32 v1, v64, v0 :: v_dual_add_f32 v74, v61, v67
	v_mul_f32_e32 v61, v63, v3
	v_fma_f32 v0, v63, v2, -v65
	v_mul_f32_e32 v3, v50, v54
	ds_load_b128 v[65:68], v38 offset:240
	v_add_f32_e32 v69, v69, v1
	v_fmac_f32_e32 v61, v64, v2
	v_add_f32_e32 v75, v62, v0
	v_fma_f32 v62, v49, v53, -v3
	ds_load_2addr_b64 v[0:3], v48 offset0:160 offset1:176
	v_mul_f32_e32 v63, v50, v56
	v_dual_add_f32 v70, v70, v76 :: v_dual_add_f32 v73, v73, v77
	v_add_f32_e32 v71, v71, v62
	s_delay_alu instid0(VALU_DEP_3) | instskip(SKIP_2) | instid1(VALU_DEP_2)
	v_fma_f32 v49, v49, v55, -v63
	s_wait_dscnt 0x2
	v_mul_f32_e32 v78, v58, v54
	v_dual_mul_f32 v50, v57, v54 :: v_dual_add_f32 v49, v72, v49
	v_mul_f32_e32 v72, v58, v56
	v_mul_f32_e32 v76, v57, v56
	s_delay_alu instid0(VALU_DEP_4) | instskip(NEXT) | instid1(VALU_DEP_4)
	v_fma_f32 v54, v57, v53, -v78
	v_fmac_f32_e32 v50, v58, v53
	s_delay_alu instid0(VALU_DEP_4) | instskip(NEXT) | instid1(VALU_DEP_4)
	v_fma_f32 v53, v57, v55, -v72
	v_fmac_f32_e32 v76, v58, v55
	s_delay_alu instid0(VALU_DEP_4)
	v_add_f32_e32 v74, v74, v54
	s_wait_dscnt 0x0
	v_mul_f32_e32 v54, v52, v1
	v_dual_add_f32 v50, v69, v50 :: v_dual_mul_f32 v57, v51, v1
	v_mul_f32_e32 v72, v52, v3
	v_add_f32_e32 v58, v75, v53
	s_delay_alu instid0(VALU_DEP_4)
	v_fma_f32 v69, v51, v0, -v54
	ds_load_2addr_b64 v[53:56], v48 offset0:192 offset1:208
	v_fmac_f32_e32 v57, v52, v0
	v_add_f32_e32 v69, v71, v69
	v_mul_f32_e32 v71, v51, v3
	v_fma_f32 v51, v51, v2, -v72
	s_delay_alu instid0(VALU_DEP_4)
	v_add_f32_e32 v57, v70, v57
	v_mul_f32_e32 v70, v60, v1
	v_mul_f32_e32 v1, v59, v1
	v_fmac_f32_e32 v71, v52, v2
	v_add_f32_e32 v49, v49, v51
	v_mul_f32_e32 v51, v60, v3
	v_fma_f32 v52, v59, v0, -v70
	s_delay_alu instid0(VALU_DEP_4) | instskip(SKIP_1) | instid1(VALU_DEP_4)
	v_dual_fmac_f32 v1, v60, v0 :: v_dual_add_f32 v70, v73, v71
	v_mul_f32_e32 v71, v59, v3
	v_fma_f32 v0, v59, v2, -v51
	s_delay_alu instid0(VALU_DEP_4) | instskip(NEXT) | instid1(VALU_DEP_4)
	v_add_f32_e32 v51, v74, v52
	v_add_f32_e32 v50, v50, v1
	s_wait_dscnt 0x0
	v_mul_f32_e32 v52, v66, v54
	v_dual_fmac_f32 v71, v60, v2 :: v_dual_add_f32 v58, v58, v0
	v_add_f32_e32 v19, v19, v61
	ds_load_b128 v[61:64], v38 offset:4336
	ds_load_2addr_b64 v[0:3], v48 offset0:224 offset1:240
	v_mul_f32_e32 v59, v65, v54
	v_fma_f32 v52, v65, v53, -v52
	v_mul_f32_e32 v60, v66, v56
	v_add_f32_e32 v19, v19, v76
	s_wait_loadcnt_dscnt 0x0
	s_delay_alu instid0(VALU_DEP_3) | instskip(NEXT) | instid1(VALU_DEP_3)
	v_dual_fmac_f32 v59, v66, v53 :: v_dual_add_f32 v52, v69, v52
	v_fma_f32 v60, v65, v55, -v60
	s_delay_alu instid0(VALU_DEP_3) | instskip(SKIP_1) | instid1(VALU_DEP_4)
	v_add_f32_e32 v19, v19, v71
	v_mul_f32_e32 v71, v65, v56
	v_add_f32_e32 v57, v57, v59
	s_barrier_signal -1
	v_add_f32_e32 v49, v49, v60
	s_barrier_wait -1
	v_fmac_f32_e32 v71, v66, v55
	global_inv scope:SCOPE_SE
	v_mul_f32_e32 v69, v62, v54
	v_mul_f32_e32 v54, v61, v54
	;; [unrolled: 1-line block ×3, first 2 shown]
	v_add_f32_e32 v65, v70, v71
	s_delay_alu instid0(VALU_DEP_4) | instskip(NEXT) | instid1(VALU_DEP_4)
	v_fma_f32 v59, v61, v53, -v69
	v_dual_fmac_f32 v54, v62, v53 :: v_dual_mul_f32 v53, v61, v56
	s_delay_alu instid0(VALU_DEP_4) | instskip(SKIP_1) | instid1(VALU_DEP_4)
	v_fma_f32 v56, v61, v55, -v60
	v_mul_f32_e32 v60, v67, v1
	v_add_f32_e32 v51, v51, v59
	v_mul_f32_e32 v59, v68, v1
	v_add_f32_e32 v61, v50, v54
	v_fmac_f32_e32 v53, v62, v55
	v_add_f32_e32 v56, v58, v56
	v_fmac_f32_e32 v60, v68, v0
	v_fma_f32 v50, v67, v0, -v59
	v_mul_f32_e32 v58, v68, v3
	v_mul_f32_e32 v59, v67, v3
	v_add_f32_e32 v19, v19, v53
	s_delay_alu instid0(VALU_DEP_4) | instskip(NEXT) | instid1(VALU_DEP_4)
	v_dual_add_f32 v55, v57, v60 :: v_dual_add_f32 v54, v52, v50
	v_fma_f32 v50, v67, v2, -v58
	v_mul_f32_e32 v53, v64, v1
	v_mul_f32_e32 v1, v63, v1
	;; [unrolled: 1-line block ×4, first 2 shown]
	v_fmac_f32_e32 v59, v68, v2
	v_add_f32_e32 v52, v49, v50
	v_fma_f32 v49, v63, v0, -v53
	v_fmac_f32_e32 v1, v64, v0
	v_fma_f32 v0, v63, v2, -v57
	v_fmac_f32_e32 v3, v64, v2
	s_delay_alu instid0(VALU_DEP_4) | instskip(NEXT) | instid1(VALU_DEP_4)
	v_dual_add_f32 v53, v65, v59 :: v_dual_add_f32 v50, v51, v49
	v_add_f32_e32 v51, v61, v1
	s_delay_alu instid0(VALU_DEP_4) | instskip(NEXT) | instid1(VALU_DEP_4)
	v_add_f32_e32 v49, v56, v0
	v_add_f32_e32 v19, v19, v3
	s_cbranch_scc1 .LBB87_58
.LBB87_10:                              ;   Parent Loop BB87_4 Depth=1
                                        ;     Parent Loop BB87_7 Depth=2
                                        ; =>    This Inner Loop Header: Depth=3
	s_wait_alu 0xfffe
	v_add_co_u32 v0, s5, v36, s36
	s_wait_alu 0xf1ff
	v_add_co_ci_u32_e64 v1, null, 0, s37, s5
	v_cmp_eq_u64_e64 s7, s[36:37], v[28:29]
	s_delay_alu instid0(VALU_DEP_2)
	v_cmp_gt_i64_e64 s5, v[0:1], v[20:21]
	v_cmp_le_i64_e64 s6, s[44:45], v[0:1]
	s_and_b32 s56, s50, s7
	v_add_co_u32 v2, s7, v22, v39
	s_or_b32 s8, vcc_lo, s5
	v_add_co_ci_u32_e64 v3, null, 0, v23, s7
	s_wait_alu 0xfffe
	s_or_b32 s7, s8, s56
	s_wait_alu 0xfffe
	s_nor_b32 s7, s6, s7
	s_wait_alu 0xfffe
	s_and_saveexec_b32 s8, s7
	s_wait_alu 0xfffe
	s_xor_b32 s7, exec_lo, s8
	s_cbranch_execz .LBB87_12
; %bb.11:                               ;   in Loop: Header=BB87_10 Depth=3
	global_load_b64 v[56:57], v[2:3], off
	s_wait_loadcnt 0x0
	ds_store_b64 v40, v[56:57]
.LBB87_12:                              ;   in Loop: Header=BB87_10 Depth=3
	s_wait_alu 0xfffe
	s_or_saveexec_b32 s7, s7
	s_xor_b32 s55, s56, -1
	s_wait_alu 0xfffe
	s_xor_b32 exec_lo, exec_lo, s7
	s_cbranch_execz .LBB87_18
; %bb.13:                               ;   in Loop: Header=BB87_10 Depth=3
	s_and_saveexec_b32 s8, s55
	s_wait_alu 0xfffe
	s_xor_b32 s8, exec_lo, s8
; %bb.14:                               ;   in Loop: Header=BB87_10 Depth=3
	v_dual_mov_b32 v56, v5 :: v_dual_mov_b32 v57, v5
	ds_store_b64 v40, v[56:57]
; %bb.15:                               ;   in Loop: Header=BB87_10 Depth=3
	s_wait_alu 0xfffe
	s_and_not1_saveexec_b32 s8, s8
; %bb.16:                               ;   in Loop: Header=BB87_10 Depth=3
	ds_store_b64 v40, v[4:5]
; %bb.17:                               ;   in Loop: Header=BB87_10 Depth=3
	s_wait_alu 0xfffe
	s_or_b32 exec_lo, exec_lo, s8
.LBB87_18:                              ;   in Loop: Header=BB87_10 Depth=3
	s_delay_alu instid0(SALU_CYCLE_1) | instskip(SKIP_4) | instid1(VALU_DEP_2)
	s_or_b32 exec_lo, exec_lo, s7
	v_add_co_u32 v56, s7, v0, 16
	s_wait_alu 0xf1ff
	v_add_co_ci_u32_e64 v57, null, 0, v1, s7
	v_cmp_eq_u64_e64 s8, s[36:37], v[32:33]
	v_cmp_gt_i64_e64 s9, v[56:57], v[20:21]
	v_cmp_le_i64_e64 s7, s[44:45], v[56:57]
	s_and_b32 s57, s50, s8
	s_or_b32 s8, vcc_lo, s9
	s_wait_alu 0xfffe
	s_or_b32 s8, s8, s57
	s_wait_alu 0xfffe
	s_nor_b32 s8, s7, s8
	s_wait_alu 0xfffe
	s_and_saveexec_b32 s9, s8
	s_wait_alu 0xfffe
	s_xor_b32 s8, exec_lo, s9
	s_cbranch_execz .LBB87_20
; %bb.19:                               ;   in Loop: Header=BB87_10 Depth=3
	global_load_b64 v[2:3], v[2:3], off offset:128
	s_wait_loadcnt 0x0
	ds_store_b64 v40, v[2:3] offset:128
.LBB87_20:                              ;   in Loop: Header=BB87_10 Depth=3
	s_wait_alu 0xfffe
	s_and_not1_saveexec_b32 s8, s8
	s_cbranch_execz .LBB87_26
; %bb.21:                               ;   in Loop: Header=BB87_10 Depth=3
	s_xor_b32 s9, s57, -1
	s_wait_alu 0xfffe
	s_and_saveexec_b32 s57, s9
	s_delay_alu instid0(SALU_CYCLE_1)
	s_xor_b32 s9, exec_lo, s57
; %bb.22:                               ;   in Loop: Header=BB87_10 Depth=3
	v_dual_mov_b32 v2, v5 :: v_dual_mov_b32 v3, v5
	ds_store_b64 v40, v[2:3] offset:128
; %bb.23:                               ;   in Loop: Header=BB87_10 Depth=3
	s_wait_alu 0xfffe
	s_and_not1_saveexec_b32 s9, s9
; %bb.24:                               ;   in Loop: Header=BB87_10 Depth=3
	ds_store_b64 v40, v[4:5] offset:128
; %bb.25:                               ;   in Loop: Header=BB87_10 Depth=3
	s_wait_alu 0xfffe
	s_or_b32 exec_lo, exec_lo, s9
.LBB87_26:                              ;   in Loop: Header=BB87_10 Depth=3
	s_wait_alu 0xfffe
	s_or_b32 exec_lo, exec_lo, s8
	v_cmp_eq_u64_e64 s8, s[36:37], v[30:31]
	v_cmp_gt_i64_e64 s9, v[0:1], v[26:27]
	s_and_b32 s57, s50, s8
	v_add_co_u32 v0, s8, v24, v39
	s_or_b32 s9, s4, s9
	v_add_co_ci_u32_e64 v1, null, 0, v25, s8
	s_wait_alu 0xfffe
	s_or_b32 s8, s9, s57
	s_wait_alu 0xfffe
	s_nor_b32 s6, s6, s8
	s_wait_alu 0xfffe
	s_and_saveexec_b32 s8, s6
	s_wait_alu 0xfffe
	s_xor_b32 s6, exec_lo, s8
	s_cbranch_execz .LBB87_28
; %bb.27:                               ;   in Loop: Header=BB87_10 Depth=3
	global_load_b64 v[2:3], v[0:1], off
	s_wait_loadcnt 0x0
	ds_store_b64 v40, v[2:3] offset:4096
.LBB87_28:                              ;   in Loop: Header=BB87_10 Depth=3
	s_wait_alu 0xfffe
	s_and_not1_saveexec_b32 s6, s6
	s_cbranch_execz .LBB87_34
; %bb.29:                               ;   in Loop: Header=BB87_10 Depth=3
	s_xor_b32 s8, s57, -1
	s_wait_alu 0xfffe
	s_and_saveexec_b32 s9, s8
	s_wait_alu 0xfffe
	s_xor_b32 s8, exec_lo, s9
; %bb.30:                               ;   in Loop: Header=BB87_10 Depth=3
	v_dual_mov_b32 v2, v5 :: v_dual_mov_b32 v3, v5
	ds_store_b64 v40, v[2:3] offset:4096
; %bb.31:                               ;   in Loop: Header=BB87_10 Depth=3
	s_wait_alu 0xfffe
	s_and_not1_saveexec_b32 s8, s8
; %bb.32:                               ;   in Loop: Header=BB87_10 Depth=3
	ds_store_b64 v40, v[4:5] offset:4096
; %bb.33:                               ;   in Loop: Header=BB87_10 Depth=3
	s_wait_alu 0xfffe
	s_or_b32 exec_lo, exec_lo, s8
.LBB87_34:                              ;   in Loop: Header=BB87_10 Depth=3
	s_wait_alu 0xfffe
	s_or_b32 exec_lo, exec_lo, s6
	s_or_b32 s5, s4, s5
	s_wait_alu 0xfffe
	s_or_b32 s5, s5, s56
	s_wait_alu 0xfffe
	s_nor_b32 s5, s7, s5
	s_wait_alu 0xfffe
	s_and_saveexec_b32 s6, s5
	s_wait_alu 0xfffe
	s_xor_b32 s5, exec_lo, s6
	s_cbranch_execz .LBB87_36
; %bb.35:                               ;   in Loop: Header=BB87_10 Depth=3
	global_load_b64 v[0:1], v[0:1], off offset:128
	s_wait_loadcnt 0x0
	ds_store_b64 v40, v[0:1] offset:4224
.LBB87_36:                              ;   in Loop: Header=BB87_10 Depth=3
	s_wait_alu 0xfffe
	s_and_not1_saveexec_b32 s5, s5
	s_cbranch_execz .LBB87_42
; %bb.37:                               ;   in Loop: Header=BB87_10 Depth=3
	s_and_saveexec_b32 s6, s55
	s_wait_alu 0xfffe
	s_xor_b32 s6, exec_lo, s6
; %bb.38:                               ;   in Loop: Header=BB87_10 Depth=3
	v_dual_mov_b32 v0, v5 :: v_dual_mov_b32 v1, v5
	ds_store_b64 v40, v[0:1] offset:4224
; %bb.39:                               ;   in Loop: Header=BB87_10 Depth=3
	s_wait_alu 0xfffe
	s_and_not1_saveexec_b32 s6, s6
; %bb.40:                               ;   in Loop: Header=BB87_10 Depth=3
	ds_store_b64 v40, v[4:5] offset:4224
; %bb.41:                               ;   in Loop: Header=BB87_10 Depth=3
	s_wait_alu 0xfffe
	s_or_b32 exec_lo, exec_lo, s6
.LBB87_42:                              ;   in Loop: Header=BB87_10 Depth=3
	s_wait_alu 0xfffe
	s_or_b32 exec_lo, exec_lo, s5
	v_add_co_u32 v0, s5, v37, s36
	s_wait_alu 0xf1ff
	v_add_co_ci_u32_e64 v1, null, 0, s37, s5
	v_add_co_u32 v2, s6, v34, v10
	s_wait_alu 0xf1ff
	v_add_co_ci_u32_e64 v3, null, v35, v11, s6
	s_delay_alu instid0(VALU_DEP_3)
	v_cmp_le_i64_e64 s5, s[44:45], v[0:1]
	s_nor_b32 s6, s5, s1
	s_wait_alu 0xfffe
	s_and_saveexec_b32 s7, s6
	s_wait_alu 0xfffe
	s_xor_b32 s6, exec_lo, s7
	s_cbranch_execz .LBB87_44
; %bb.43:                               ;   in Loop: Header=BB87_10 Depth=3
	global_load_b64 v[56:57], v[2:3], off offset:-128
	s_wait_loadcnt 0x0
	ds_store_b64 v42, v[56:57]
.LBB87_44:                              ;   in Loop: Header=BB87_10 Depth=3
	s_wait_alu 0xfffe
	s_and_not1_saveexec_b32 s6, s6
; %bb.45:                               ;   in Loop: Header=BB87_10 Depth=3
	v_dual_mov_b32 v56, v5 :: v_dual_mov_b32 v57, v5
	ds_store_b64 v42, v[56:57]
; %bb.46:                               ;   in Loop: Header=BB87_10 Depth=3
	s_wait_alu 0xfffe
	s_or_b32 exec_lo, exec_lo, s6
	s_nor_b32 s5, s5, s2
	s_wait_alu 0xfffe
	s_and_saveexec_b32 s6, s5
	s_wait_alu 0xfffe
	s_xor_b32 s5, exec_lo, s6
	s_cbranch_execz .LBB87_48
; %bb.47:                               ;   in Loop: Header=BB87_10 Depth=3
	global_load_b64 v[2:3], v[2:3], off
	s_wait_loadcnt 0x0
	ds_store_b64 v42, v[2:3] offset:128
.LBB87_48:                              ;   in Loop: Header=BB87_10 Depth=3
	s_wait_alu 0xfffe
	s_and_not1_saveexec_b32 s5, s5
; %bb.49:                               ;   in Loop: Header=BB87_10 Depth=3
	v_dual_mov_b32 v2, v5 :: v_dual_mov_b32 v3, v5
	ds_store_b64 v42, v[2:3] offset:128
; %bb.50:                               ;   in Loop: Header=BB87_10 Depth=3
	s_wait_alu 0xfffe
	s_or_b32 exec_lo, exec_lo, s5
	v_cmp_le_i64_e64 s5, s[46:47], v[0:1]
	v_add_co_u32 v0, s6, v34, v6
	s_wait_alu 0xf1ff
	v_add_co_ci_u32_e64 v1, null, v35, v7, s6
	s_nor_b32 s6, s5, s1
	s_wait_alu 0xfffe
	s_and_saveexec_b32 s7, s6
	s_wait_alu 0xfffe
	s_xor_b32 s6, exec_lo, s7
	s_cbranch_execz .LBB87_52
; %bb.51:                               ;   in Loop: Header=BB87_10 Depth=3
	global_load_b64 v[2:3], v[0:1], off offset:-128
	s_wait_loadcnt 0x0
	ds_store_b64 v42, v[2:3] offset:4096
.LBB87_52:                              ;   in Loop: Header=BB87_10 Depth=3
	s_wait_alu 0xfffe
	s_and_not1_saveexec_b32 s6, s6
; %bb.53:                               ;   in Loop: Header=BB87_10 Depth=3
	v_dual_mov_b32 v2, v5 :: v_dual_mov_b32 v3, v5
	ds_store_b64 v42, v[2:3] offset:4096
; %bb.54:                               ;   in Loop: Header=BB87_10 Depth=3
	s_wait_alu 0xfffe
	s_or_b32 exec_lo, exec_lo, s6
	s_nor_b32 s5, s5, s2
	s_wait_alu 0xfffe
	s_and_saveexec_b32 s6, s5
	s_wait_alu 0xfffe
	s_xor_b32 s5, exec_lo, s6
	s_cbranch_execz .LBB87_56
; %bb.55:                               ;   in Loop: Header=BB87_10 Depth=3
	global_load_b64 v[0:1], v[0:1], off
	s_wait_loadcnt 0x0
	ds_store_b64 v42, v[0:1] offset:4224
.LBB87_56:                              ;   in Loop: Header=BB87_10 Depth=3
	s_wait_alu 0xfffe
	s_and_not1_saveexec_b32 s5, s5
	s_cbranch_execz .LBB87_9
; %bb.57:                               ;   in Loop: Header=BB87_10 Depth=3
	v_dual_mov_b32 v0, v5 :: v_dual_mov_b32 v1, v5
	ds_store_b64 v42, v[0:1] offset:4224
	s_branch .LBB87_9
.LBB87_58:                              ;   in Loop: Header=BB87_7 Depth=2
	v_mul_lo_u32 v2, s29, v20
	v_mul_lo_u32 v3, s28, v21
	v_mad_co_u64_u32 v[0:1], null, s28, v20, 0
	v_cmp_gt_i32_e32 vcc_lo, s38, v20
	s_delay_alu instid0(VALU_DEP_2) | instskip(NEXT) | instid1(VALU_DEP_1)
	v_add3_u32 v1, v1, v3, v2
	v_lshlrev_b64_e32 v[0:1], 3, v[0:1]
	s_delay_alu instid0(VALU_DEP_1) | instskip(SKIP_1) | instid1(VALU_DEP_2)
	v_add_co_u32 v0, s4, s20, v0
	s_wait_alu 0xf1ff
	v_add_co_ci_u32_e64 v1, null, s21, v1, s4
	s_and_b32 s4, s0, vcc_lo
	s_wait_alu 0xfffe
	s_and_saveexec_b32 s5, s4
	s_cbranch_execz .LBB87_60
; %bb.59:                               ;   in Loop: Header=BB87_7 Depth=2
	v_add_co_u32 v2, s4, v0, v8
	s_wait_alu 0xf1ff
	v_add_co_ci_u32_e64 v3, null, v1, v9, s4
	v_mul_f32_e32 v24, s40, v55
	v_mul_f32_e32 v23, s41, v55
	global_load_b64 v[21:22], v[2:3], off
	v_fmac_f32_e32 v24, s41, v54
	v_fma_f32 v23, v54, s40, -v23
	s_wait_loadcnt 0x0
	s_delay_alu instid0(VALU_DEP_1)
	v_dual_add_f32 v21, v21, v23 :: v_dual_add_f32 v22, v24, v22
	global_store_b64 v[2:3], v[21:22], off
.LBB87_60:                              ;   in Loop: Header=BB87_7 Depth=2
	s_wait_alu 0xfffe
	s_or_b32 exec_lo, exec_lo, s5
	s_and_b32 s5, s3, vcc_lo
	s_wait_alu 0xfffe
	s_and_saveexec_b32 s4, s5
	s_cbranch_execz .LBB87_62
; %bb.61:                               ;   in Loop: Header=BB87_7 Depth=2
	v_add_co_u32 v0, vcc_lo, v0, v14
	s_wait_alu 0xfffd
	v_add_co_ci_u32_e64 v1, null, v1, v15, vcc_lo
	v_mul_f32_e32 v22, s40, v53
	v_mul_f32_e32 v21, s41, v53
	global_load_b64 v[2:3], v[0:1], off
	v_fmac_f32_e32 v22, s41, v52
	v_fma_f32 v21, v52, s40, -v21
	s_wait_loadcnt 0x0
	s_delay_alu instid0(VALU_DEP_1) | instskip(NEXT) | instid1(VALU_DEP_3)
	v_add_f32_e32 v2, v2, v21
	v_add_f32_e32 v3, v22, v3
	global_store_b64 v[0:1], v[2:3], off
.LBB87_62:                              ;   in Loop: Header=BB87_7 Depth=2
	s_wait_alu 0xfffe
	s_or_b32 exec_lo, exec_lo, s4
	v_add_nc_u32_e32 v2, 16, v20
	s_delay_alu instid0(VALU_DEP_1) | instskip(SKIP_3) | instid1(VALU_DEP_4)
	v_ashrrev_i32_e32 v3, 31, v2
	v_mul_lo_u32 v20, s29, v2
	v_mad_co_u64_u32 v[0:1], null, s28, v2, 0
	v_cmp_gt_i32_e32 vcc_lo, s38, v2
	v_mul_lo_u32 v3, s28, v3
	s_delay_alu instid0(VALU_DEP_1) | instskip(NEXT) | instid1(VALU_DEP_1)
	v_add3_u32 v1, v1, v3, v20
	v_lshlrev_b64_e32 v[0:1], 3, v[0:1]
	s_delay_alu instid0(VALU_DEP_1) | instskip(SKIP_1) | instid1(VALU_DEP_2)
	v_add_co_u32 v0, s4, s20, v0
	s_wait_alu 0xf1ff
	v_add_co_ci_u32_e64 v1, null, s21, v1, s4
	s_and_b32 s4, s0, vcc_lo
	s_wait_alu 0xfffe
	s_and_saveexec_b32 s5, s4
	s_cbranch_execz .LBB87_64
; %bb.63:                               ;   in Loop: Header=BB87_7 Depth=2
	v_add_co_u32 v2, s4, v0, v8
	s_wait_alu 0xf1ff
	v_add_co_ci_u32_e64 v3, null, v1, v9, s4
	global_load_b64 v[20:21], v[2:3], off
	v_mul_f32_e32 v23, s40, v51
	s_delay_alu instid0(VALU_DEP_1) | instskip(NEXT) | instid1(VALU_DEP_1)
	v_dual_mul_f32 v22, s41, v51 :: v_dual_fmac_f32 v23, s41, v50
	v_fma_f32 v22, v50, s40, -v22
	s_wait_loadcnt 0x0
	s_delay_alu instid0(VALU_DEP_1)
	v_dual_add_f32 v20, v20, v22 :: v_dual_add_f32 v21, v23, v21
	global_store_b64 v[2:3], v[20:21], off
.LBB87_64:                              ;   in Loop: Header=BB87_7 Depth=2
	s_wait_alu 0xfffe
	s_or_b32 exec_lo, exec_lo, s5
	s_and_b32 s5, s3, vcc_lo
	s_wait_alu 0xfffe
	s_and_saveexec_b32 s4, s5
	s_cbranch_execz .LBB87_6
; %bb.65:                               ;   in Loop: Header=BB87_7 Depth=2
	v_add_co_u32 v0, vcc_lo, v0, v14
	s_wait_alu 0xfffd
	v_add_co_ci_u32_e64 v1, null, v1, v15, vcc_lo
	v_mul_f32_e32 v20, s41, v19
	global_load_b64 v[2:3], v[0:1], off
	v_mul_f32_e32 v19, s40, v19
	s_delay_alu instid0(VALU_DEP_1) | instskip(SKIP_2) | instid1(VALU_DEP_1)
	v_fmac_f32_e32 v19, s41, v49
	v_fma_f32 v20, v49, s40, -v20
	s_wait_loadcnt 0x0
	v_dual_add_f32 v2, v2, v20 :: v_dual_add_f32 v3, v19, v3
	global_store_b64 v[0:1], v[2:3], off
	s_branch .LBB87_6
.LBB87_66:
	s_endpgm
	.section	.rodata,"a",@progbits
	.p2align	6, 0x0
	.amdhsa_kernel _ZL30rocblas_trmm_outofplace_kernelI19rocblas_complex_numIfELi32ELi2ELb0ELb1ELb0ELb0ES1_KS1_S1_Ev17rocblas_diagonal_iiT6_lPT7_lllS6_lllPT8_llli
		.amdhsa_group_segment_fixed_size 16384
		.amdhsa_private_segment_fixed_size 0
		.amdhsa_kernarg_size 392
		.amdhsa_user_sgpr_count 2
		.amdhsa_user_sgpr_dispatch_ptr 0
		.amdhsa_user_sgpr_queue_ptr 0
		.amdhsa_user_sgpr_kernarg_segment_ptr 1
		.amdhsa_user_sgpr_dispatch_id 0
		.amdhsa_user_sgpr_private_segment_size 0
		.amdhsa_wavefront_size32 1
		.amdhsa_uses_dynamic_stack 0
		.amdhsa_enable_private_segment 0
		.amdhsa_system_sgpr_workgroup_id_x 1
		.amdhsa_system_sgpr_workgroup_id_y 1
		.amdhsa_system_sgpr_workgroup_id_z 1
		.amdhsa_system_sgpr_workgroup_info 0
		.amdhsa_system_vgpr_workitem_id 1
		.amdhsa_next_free_vgpr 90
		.amdhsa_next_free_sgpr 58
		.amdhsa_reserve_vcc 1
		.amdhsa_float_round_mode_32 0
		.amdhsa_float_round_mode_16_64 0
		.amdhsa_float_denorm_mode_32 3
		.amdhsa_float_denorm_mode_16_64 3
		.amdhsa_fp16_overflow 0
		.amdhsa_workgroup_processor_mode 1
		.amdhsa_memory_ordered 1
		.amdhsa_forward_progress 1
		.amdhsa_inst_pref_size 60
		.amdhsa_round_robin_scheduling 0
		.amdhsa_exception_fp_ieee_invalid_op 0
		.amdhsa_exception_fp_denorm_src 0
		.amdhsa_exception_fp_ieee_div_zero 0
		.amdhsa_exception_fp_ieee_overflow 0
		.amdhsa_exception_fp_ieee_underflow 0
		.amdhsa_exception_fp_ieee_inexact 0
		.amdhsa_exception_int_div_zero 0
	.end_amdhsa_kernel
	.section	.text._ZL30rocblas_trmm_outofplace_kernelI19rocblas_complex_numIfELi32ELi2ELb0ELb1ELb0ELb0ES1_KS1_S1_Ev17rocblas_diagonal_iiT6_lPT7_lllS6_lllPT8_llli,"axG",@progbits,_ZL30rocblas_trmm_outofplace_kernelI19rocblas_complex_numIfELi32ELi2ELb0ELb1ELb0ELb0ES1_KS1_S1_Ev17rocblas_diagonal_iiT6_lPT7_lllS6_lllPT8_llli,comdat
.Lfunc_end87:
	.size	_ZL30rocblas_trmm_outofplace_kernelI19rocblas_complex_numIfELi32ELi2ELb0ELb1ELb0ELb0ES1_KS1_S1_Ev17rocblas_diagonal_iiT6_lPT7_lllS6_lllPT8_llli, .Lfunc_end87-_ZL30rocblas_trmm_outofplace_kernelI19rocblas_complex_numIfELi32ELi2ELb0ELb1ELb0ELb0ES1_KS1_S1_Ev17rocblas_diagonal_iiT6_lPT7_lllS6_lllPT8_llli
                                        ; -- End function
	.set _ZL30rocblas_trmm_outofplace_kernelI19rocblas_complex_numIfELi32ELi2ELb0ELb1ELb0ELb0ES1_KS1_S1_Ev17rocblas_diagonal_iiT6_lPT7_lllS6_lllPT8_llli.num_vgpr, 90
	.set _ZL30rocblas_trmm_outofplace_kernelI19rocblas_complex_numIfELi32ELi2ELb0ELb1ELb0ELb0ES1_KS1_S1_Ev17rocblas_diagonal_iiT6_lPT7_lllS6_lllPT8_llli.num_agpr, 0
	.set _ZL30rocblas_trmm_outofplace_kernelI19rocblas_complex_numIfELi32ELi2ELb0ELb1ELb0ELb0ES1_KS1_S1_Ev17rocblas_diagonal_iiT6_lPT7_lllS6_lllPT8_llli.numbered_sgpr, 58
	.set _ZL30rocblas_trmm_outofplace_kernelI19rocblas_complex_numIfELi32ELi2ELb0ELb1ELb0ELb0ES1_KS1_S1_Ev17rocblas_diagonal_iiT6_lPT7_lllS6_lllPT8_llli.num_named_barrier, 0
	.set _ZL30rocblas_trmm_outofplace_kernelI19rocblas_complex_numIfELi32ELi2ELb0ELb1ELb0ELb0ES1_KS1_S1_Ev17rocblas_diagonal_iiT6_lPT7_lllS6_lllPT8_llli.private_seg_size, 0
	.set _ZL30rocblas_trmm_outofplace_kernelI19rocblas_complex_numIfELi32ELi2ELb0ELb1ELb0ELb0ES1_KS1_S1_Ev17rocblas_diagonal_iiT6_lPT7_lllS6_lllPT8_llli.uses_vcc, 1
	.set _ZL30rocblas_trmm_outofplace_kernelI19rocblas_complex_numIfELi32ELi2ELb0ELb1ELb0ELb0ES1_KS1_S1_Ev17rocblas_diagonal_iiT6_lPT7_lllS6_lllPT8_llli.uses_flat_scratch, 0
	.set _ZL30rocblas_trmm_outofplace_kernelI19rocblas_complex_numIfELi32ELi2ELb0ELb1ELb0ELb0ES1_KS1_S1_Ev17rocblas_diagonal_iiT6_lPT7_lllS6_lllPT8_llli.has_dyn_sized_stack, 0
	.set _ZL30rocblas_trmm_outofplace_kernelI19rocblas_complex_numIfELi32ELi2ELb0ELb1ELb0ELb0ES1_KS1_S1_Ev17rocblas_diagonal_iiT6_lPT7_lllS6_lllPT8_llli.has_recursion, 0
	.set _ZL30rocblas_trmm_outofplace_kernelI19rocblas_complex_numIfELi32ELi2ELb0ELb1ELb0ELb0ES1_KS1_S1_Ev17rocblas_diagonal_iiT6_lPT7_lllS6_lllPT8_llli.has_indirect_call, 0
	.section	.AMDGPU.csdata,"",@progbits
; Kernel info:
; codeLenInByte = 7572
; TotalNumSgprs: 60
; NumVgprs: 90
; ScratchSize: 0
; MemoryBound: 1
; FloatMode: 240
; IeeeMode: 1
; LDSByteSize: 16384 bytes/workgroup (compile time only)
; SGPRBlocks: 0
; VGPRBlocks: 11
; NumSGPRsForWavesPerEU: 60
; NumVGPRsForWavesPerEU: 90
; Occupancy: 16
; WaveLimiterHint : 0
; COMPUTE_PGM_RSRC2:SCRATCH_EN: 0
; COMPUTE_PGM_RSRC2:USER_SGPR: 2
; COMPUTE_PGM_RSRC2:TRAP_HANDLER: 0
; COMPUTE_PGM_RSRC2:TGID_X_EN: 1
; COMPUTE_PGM_RSRC2:TGID_Y_EN: 1
; COMPUTE_PGM_RSRC2:TGID_Z_EN: 1
; COMPUTE_PGM_RSRC2:TIDIG_COMP_CNT: 1
	.section	.text._ZL30rocblas_trmm_outofplace_kernelI19rocblas_complex_numIfELi32ELi2ELb0ELb0ELb1ELb0EPKS1_S2_S1_Ev17rocblas_diagonal_iiT6_lPT7_lllS7_lllPT8_llli,"axG",@progbits,_ZL30rocblas_trmm_outofplace_kernelI19rocblas_complex_numIfELi32ELi2ELb0ELb0ELb1ELb0EPKS1_S2_S1_Ev17rocblas_diagonal_iiT6_lPT7_lllS7_lllPT8_llli,comdat
	.globl	_ZL30rocblas_trmm_outofplace_kernelI19rocblas_complex_numIfELi32ELi2ELb0ELb0ELb1ELb0EPKS1_S2_S1_Ev17rocblas_diagonal_iiT6_lPT7_lllS7_lllPT8_llli ; -- Begin function _ZL30rocblas_trmm_outofplace_kernelI19rocblas_complex_numIfELi32ELi2ELb0ELb0ELb1ELb0EPKS1_S2_S1_Ev17rocblas_diagonal_iiT6_lPT7_lllS7_lllPT8_llli
	.p2align	8
	.type	_ZL30rocblas_trmm_outofplace_kernelI19rocblas_complex_numIfELi32ELi2ELb0ELb0ELb1ELb0EPKS1_S2_S1_Ev17rocblas_diagonal_iiT6_lPT7_lllS7_lllPT8_llli,@function
_ZL30rocblas_trmm_outofplace_kernelI19rocblas_complex_numIfELi32ELi2ELb0ELb0ELb1ELb0EPKS1_S2_S1_Ev17rocblas_diagonal_iiT6_lPT7_lllS7_lllPT8_llli: ; @_ZL30rocblas_trmm_outofplace_kernelI19rocblas_complex_numIfELi32ELi2ELb0ELb0ELb1ELb0EPKS1_S2_S1_Ev17rocblas_diagonal_iiT6_lPT7_lllS7_lllPT8_llli
; %bb.0:
	s_load_b32 s33, s[0:1], 0x80
	s_lshr_b32 s34, ttmp7, 16
	s_wait_kmcnt 0x0
	s_cmp_ge_u32 s34, s33
	s_cbranch_scc1 .LBB88_67
; %bb.1:
	s_clause 0x3
	s_load_b96 s[36:38], s[0:1], 0x0
	s_load_b256 s[4:11], s[0:1], 0x50
	s_load_b512 s[12:27], s[0:1], 0x10
	s_load_b128 s[28:31], s[0:1], 0x70
	s_add_nc_u64 s[40:41], s[0:1], 0x88
	v_dual_mov_b32 v5, 0 :: v_dual_and_b32 v48, 0x3ff, v0
	v_bfe_u32 v49, v0, 10, 10
	s_and_b32 s39, ttmp7, 0xffff
	s_mov_b32 s35, 0
	s_delay_alu instid0(VALU_DEP_2) | instskip(NEXT) | instid1(VALU_DEP_2)
	v_lshl_add_u32 v0, ttmp9, 5, v48
	v_lshl_add_u32 v17, v49, 3, 0x80
	v_lshl_add_u32 v56, s39, 5, v49
	s_delay_alu instid0(VALU_DEP_3)
	v_ashrrev_i32_e32 v1, 31, v0
	v_add_nc_u32_e32 v2, 16, v0
	s_wait_kmcnt 0x0
	s_add_co_i32 s0, s38, -1
	v_mad_co_u64_u32 v[10:11], null, s4, v49, 0
	s_wait_alu 0xfffe
	s_ashr_i32 s1, s0, 31
	v_sub_co_u32 v3, vcc_lo, s37, v0
	s_wait_alu 0xfffe
	s_lshr_b32 s1, s1, 27
	v_mad_co_u64_u32 v[14:15], null, s20, v48, 0
	s_wait_alu 0xfffe
	s_add_co_i32 s2, s0, s1
	s_lshl_b64 s[0:1], s[10:11], 3
	s_ashr_i32 s50, s2, 5
	s_wait_alu 0xfffe
	s_add_nc_u64 s[42:43], s[8:9], s[0:1]
	s_cmp_le_i32 s39, s50
	v_sub_co_u32 v54, s8, 0, v48
	s_cselect_b32 s51, -1, 0
	s_cmp_eq_u32 s36, 0x84
	v_sub_co_ci_u32_e64 v55, null, 0, 0, s8
	s_cselect_b32 s36, -1, 0
	s_ashr_i32 s0, s37, 31
	s_lshl_b64 s[8:9], s[18:19], 3
	s_wait_alu 0xfffe
	v_sub_co_ci_u32_e64 v4, null, s0, v1, vcc_lo
	s_add_nc_u64 s[8:9], s[16:17], s[8:9]
	v_mad_co_u64_u32 v[6:7], null, s4, v17, 0
	v_cmp_gt_i64_e64 s0, 1, v[3:4]
	v_cmp_gt_i64_e64 s1, 17, v[3:4]
	v_mov_b32_e32 v4, v11
	v_cmp_gt_i32_e64 s2, s37, v0
	s_lshl_b64 s[16:17], s[26:27], 3
	v_ashrrev_i32_e32 v3, 31, v2
	s_add_nc_u64 s[16:17], s[24:25], s[16:17]
	v_mad_co_u64_u32 v[8:9], null, s5, v49, v[4:5]
	v_lshlrev_b32_e32 v12, 3, v48
	v_cmp_gt_i32_e64 s3, s37, v2
	s_mov_b32 s10, s38
	s_ashr_i32 s11, s38, 31
	s_lshl_b64 s[44:45], s[20:21], 8
	s_lshl_b64 s[46:47], s[4:5], 8
	v_dual_mov_b32 v11, v8 :: v_dual_add_nc_u32 v18, 0x80, v12
	v_or_b32_e32 v51, 0x2000, v12
	v_mov_b32_e32 v4, v15
	s_add_nc_u64 s[48:49], s[10:11], -16
	s_delay_alu instid0(VALU_DEP_3)
	v_lshlrev_b64_e32 v[10:11], 3, v[10:11]
	s_wait_alu 0xfffe
	v_mad_co_u64_u32 v[8:9], null, s20, v18, s[8:9]
	v_add_nc_u32_e32 v59, 0x1800, v51
	v_mad_co_u64_u32 v[15:16], null, s21, v48, v[4:5]
	v_add_nc_u32_e32 v57, 0x800, v51
	v_add_nc_u32_e32 v58, 0x1000, v51
	s_lshl_b64 s[18:19], s[22:23], 3
	v_mad_co_u64_u32 v[16:17], null, s5, v17, v[7:8]
	s_delay_alu instid0(VALU_DEP_1) | instskip(NEXT) | instid1(VALU_DEP_1)
	v_dual_mov_b32 v7, v16 :: v_dual_lshlrev_b32 v50, 8, v49
	v_add_nc_u32_e32 v52, v50, v12
	v_add_nc_u32_e32 v53, v51, v50
	v_lshlrev_b64_e32 v[12:13], 3, v[0:1]
	v_mov_b32_e32 v0, v9
	s_delay_alu instid0(VALU_DEP_1) | instskip(NEXT) | instid1(VALU_DEP_3)
	v_mad_co_u64_u32 v[0:1], null, s21, v18, v[0:1]
	v_add_co_u32 v1, vcc_lo, s16, v12
	v_lshlrev_b64_e32 v[17:18], 3, v[14:15]
	s_wait_alu 0xfffd
	v_add_co_ci_u32_e64 v4, null, s17, v13, vcc_lo
	s_delay_alu instid0(VALU_DEP_3) | instskip(SKIP_2) | instid1(VALU_DEP_3)
	v_add_co_u32 v14, vcc_lo, 0x80, v1
	v_mov_b32_e32 v9, v0
	s_wait_alu 0xfffd
	v_add_co_ci_u32_e64 v15, null, 0, v4, vcc_lo
	v_add_co_u32 v16, vcc_lo, s8, v17
	s_wait_alu 0xfffd
	v_add_co_ci_u32_e64 v17, null, s9, v18, vcc_lo
	v_lshlrev_b64_e32 v[18:19], 3, v[2:3]
	v_mov_b32_e32 v4, 1.0
	s_lshl_b64 s[16:17], s[6:7], 3
	s_branch .LBB88_4
.LBB88_2:                               ;   in Loop: Header=BB88_4 Depth=1
	s_add_co_i32 s34, s34, 0x10000
	s_wait_alu 0xfffe
	s_cmp_ge_u32 s34, s33
	s_cselect_b32 s4, -1, 0
.LBB88_3:                               ;   in Loop: Header=BB88_4 Depth=1
	s_wait_alu 0xfffe
	s_and_b32 vcc_lo, exec_lo, s4
	s_wait_alu 0xfffe
	s_cbranch_vccnz .LBB88_67
.LBB88_4:                               ; =>This Loop Header: Depth=1
                                        ;     Child Loop BB88_8 Depth 2
                                        ;       Child Loop BB88_11 Depth 3
	s_mul_u64 s[4:5], s[14:15], s[34:35]
	s_wait_alu 0xfffe
	s_lshl_b64 s[4:5], s[4:5], 3
	s_wait_alu 0xfffe
	s_add_nc_u64 s[4:5], s[12:13], s[4:5]
	global_load_b64 v[20:21], v5, s[4:5]
	s_mov_b32 s4, -1
	s_wait_loadcnt 0x0
	v_or_b32_e32 v0, v20, v21
	s_delay_alu instid0(VALU_DEP_1) | instskip(NEXT) | instid1(VALU_DEP_1)
	v_and_b32_e32 v0, 0x7fffffff, v0
	v_cmp_eq_u32_e32 vcc_lo, 0, v0
	s_cbranch_vccnz .LBB88_3
; %bb.5:                                ;   in Loop: Header=BB88_4 Depth=1
	s_and_not1_b32 vcc_lo, exec_lo, s51
	s_wait_alu 0xfffe
	s_cbranch_vccnz .LBB88_2
; %bb.6:                                ;   in Loop: Header=BB88_4 Depth=1
	v_mad_co_u64_u32 v[22:23], null, s16, s34, v[14:15]
	s_load_b32 s24, s[40:41], 0x4
	v_mad_co_u64_u32 v[24:25], null, s18, s34, v[8:9]
	s_mul_i32 s6, s19, s34
	v_mad_co_u64_u32 v[26:27], null, s18, s34, v[16:17]
	v_mov_b32_e32 v0, v23
	s_mul_u64 s[4:5], s[30:31], s[34:35]
	s_wait_alu 0xfffe
	v_dual_mov_b32 v28, v56 :: v_dual_add_nc_u32 v25, s6, v25
	s_lshl_b64 s[4:5], s[4:5], 3
	v_mad_co_u64_u32 v[0:1], null, s17, s34, v[0:1]
	s_delay_alu instid0(VALU_DEP_4) | instskip(SKIP_3) | instid1(VALU_DEP_2)
	v_add_nc_u32_e32 v27, s6, v27
	s_wait_alu 0xfffe
	s_add_nc_u64 s[20:21], s[42:43], s[4:5]
	s_mov_b32 s26, s39
	v_mov_b32_e32 v23, v0
	s_wait_kmcnt 0x0
	s_lshl_b32 s25, s24, 5
	s_branch .LBB88_8
.LBB88_7:                               ;   in Loop: Header=BB88_8 Depth=2
	s_wait_alu 0xfffe
	s_or_b32 exec_lo, exec_lo, s4
	v_add_nc_u32_e32 v28, s25, v28
	s_add_co_i32 s26, s24, s26
	s_wait_alu 0xfffe
	s_cmp_gt_i32 s26, s50
	s_cbranch_scc1 .LBB88_2
.LBB88_8:                               ;   Parent Loop BB88_4 Depth=1
                                        ; =>  This Loop Header: Depth=2
                                        ;       Child Loop BB88_11 Depth 3
	s_wait_alu 0xfffe
	s_lshl_b32 s27, s26, 5
	s_wait_alu 0xfffe
	v_dual_mov_b32 v65, 0 :: v_dual_add_nc_u32 v30, s27, v49
	v_dual_mov_b32 v66, 0 :: v_dual_mov_b32 v63, 0
	v_dual_mov_b32 v64, 0 :: v_dual_mov_b32 v61, 0
	s_delay_alu instid0(VALU_DEP_3)
	v_ashrrev_i32_e32 v31, 31, v30
	v_dual_mov_b32 v62, 0 :: v_dual_mov_b32 v29, 0
	v_mov_b32_e32 v60, 0
	s_cmp_lt_i32 s26, 0
	s_cbranch_scc1 .LBB88_59
; %bb.9:                                ;   in Loop: Header=BB88_8 Depth=2
	v_ashrrev_i32_e32 v29, 31, v28
	v_add_co_u32 v32, vcc_lo, v30, 16
	s_wait_alu 0xfffd
	v_add_co_ci_u32_e64 v33, null, 0, v31, vcc_lo
	v_add_co_u32 v34, vcc_lo, v54, v28
	s_wait_alu 0xfffd
	v_add_co_ci_u32_e64 v35, null, v55, v29, vcc_lo
	v_lshlrev_b64_e32 v[36:37], 3, v[28:29]
	s_delay_alu instid0(VALU_DEP_3) | instskip(SKIP_1) | instid1(VALU_DEP_3)
	v_add_co_u32 v38, s5, v34, 16
	s_wait_alu 0xf1ff
	v_add_co_ci_u32_e64 v39, null, 0, v35, s5
	v_add_co_u32 v40, s5, v34, -16
	v_cmp_le_i64_e64 s4, s[10:11], v[32:33]
	v_mov_b32_e32 v43, v27
	v_mov_b32_e32 v45, v25
	v_dual_mov_b32 v47, v23 :: v_dual_mov_b32 v60, 0
	s_wait_alu 0xf1ff
	v_add_co_ci_u32_e64 v41, null, -1, v35, s5
	v_dual_mov_b32 v29, 0 :: v_dual_mov_b32 v42, v26
	v_mov_b32_e32 v44, v24
	v_mov_b32_e32 v46, v22
	v_dual_mov_b32 v62, 0 :: v_dual_mov_b32 v61, 0
	v_dual_mov_b32 v64, 0 :: v_dual_mov_b32 v63, 0
	;; [unrolled: 1-line block ×3, first 2 shown]
	s_mov_b64 s[22:23], 0
	v_cmp_le_i32_e32 vcc_lo, s38, v30
	s_branch .LBB88_11
.LBB88_10:                              ;   in Loop: Header=BB88_11 Depth=3
	s_wait_alu 0xfffe
	s_or_b32 exec_lo, exec_lo, s5
	s_wait_dscnt 0x0
	s_barrier_signal -1
	s_barrier_wait -1
	global_inv scope:SCOPE_SE
	ds_load_b128 v[67:70], v50
	ds_load_2addr_b64 v[71:74], v51 offset1:16
	ds_load_b128 v[75:78], v50 offset:4096
	ds_load_b128 v[79:82], v50 offset:16
	;; [unrolled: 1-line block ×4, first 2 shown]
	ds_load_2addr_b64 v[87:90], v51 offset0:32 offset1:48
	ds_load_b128 v[91:94], v50 offset:4112
	v_add_co_u32 v46, s5, v46, s46
	s_wait_alu 0xf1ff
	v_add_co_ci_u32_e64 v47, null, s47, v47, s5
	v_add_co_u32 v44, s5, v44, s44
	s_wait_alu 0xf1ff
	v_add_co_ci_u32_e64 v45, null, s45, v45, s5
	v_add_co_u32 v42, s5, v42, s44
	s_add_nc_u64 s[22:23], s[22:23], 32
	v_add_co_ci_u32_e64 v43, null, s45, v43, s5
	s_wait_dscnt 0x6
	v_dual_mul_f32 v95, v68, v72 :: v_dual_mul_f32 v98, v67, v74
	v_dual_mul_f32 v96, v67, v72 :: v_dual_mul_f32 v97, v68, v74
	s_wait_dscnt 0x5
	v_mul_f32_e32 v99, v76, v72
	s_delay_alu instid0(VALU_DEP_3)
	v_fma_f32 v95, v67, v71, -v95
	v_mul_f32_e32 v72, v75, v72
	v_fmac_f32_e32 v96, v68, v71
	v_fma_f32 v67, v67, v73, -v97
	v_mul_f32_e32 v100, v76, v74
	v_mul_f32_e32 v74, v75, v74
	v_fmac_f32_e32 v98, v68, v73
	v_fma_f32 v68, v75, v71, -v99
	v_add_f32_e32 v65, v65, v95
	s_delay_alu instid0(VALU_DEP_4)
	v_dual_add_f32 v67, v63, v67 :: v_dual_fmac_f32 v74, v76, v73
	v_fmac_f32_e32 v72, v76, v71
	v_fma_f32 v71, v75, v73, -v100
	s_wait_dscnt 0x1
	v_mul_f32_e32 v75, v70, v88
	v_mul_f32_e32 v73, v69, v88
	v_add_f32_e32 v66, v66, v96
	v_add_f32_e32 v64, v64, v98
	;; [unrolled: 1-line block ×3, first 2 shown]
	v_fma_f32 v75, v69, v87, -v75
	v_dual_add_f32 v29, v29, v74 :: v_dual_add_f32 v72, v62, v72
	v_dual_fmac_f32 v73, v70, v87 :: v_dual_add_f32 v68, v61, v68
	ds_load_2addr_b64 v[60:63], v51 offset0:64 offset1:80
	v_mul_f32_e32 v76, v70, v90
	v_mul_f32_e32 v74, v69, v90
	v_add_f32_e32 v75, v65, v75
	v_dual_add_f32 v73, v66, v73 :: v_dual_mul_f32 v66, v77, v88
	s_delay_alu instid0(VALU_DEP_4)
	v_fma_f32 v65, v69, v89, -v76
	v_mul_f32_e32 v69, v78, v88
	v_fmac_f32_e32 v74, v70, v89
	s_wait_alu 0xfffe
	s_sub_co_i32 s5, s22, 32
	v_add_f32_e32 v70, v67, v65
	v_fma_f32 v65, v77, v87, -v69
	v_mul_f32_e32 v67, v78, v90
	v_add_f32_e32 v69, v64, v74
	v_mul_f32_e32 v74, v77, v90
	s_wait_alu 0xfffe
	s_cmp_ge_i32 s5, s27
	v_fma_f32 v64, v77, v89, -v67
	s_wait_dscnt 0x0
	v_mul_f32_e32 v76, v79, v61
	s_delay_alu instid0(VALU_DEP_2) | instskip(NEXT) | instid1(VALU_DEP_2)
	v_add_f32_e32 v71, v71, v64
	v_fmac_f32_e32 v76, v80, v60
	v_add_f32_e32 v68, v68, v65
	v_mul_f32_e32 v65, v80, v61
	s_delay_alu instid0(VALU_DEP_3) | instskip(NEXT) | instid1(VALU_DEP_2)
	v_dual_add_f32 v73, v73, v76 :: v_dual_mul_f32 v76, v92, v61
	v_fma_f32 v77, v79, v60, -v65
	v_mul_f32_e32 v61, v91, v61
	v_fmac_f32_e32 v74, v78, v89
	s_delay_alu instid0(VALU_DEP_2) | instskip(NEXT) | instid1(VALU_DEP_2)
	v_dual_fmac_f32 v66, v78, v87 :: v_dual_fmac_f32 v61, v92, v60
	v_dual_add_f32 v29, v29, v74 :: v_dual_add_f32 v74, v75, v77
	v_mul_f32_e32 v75, v79, v63
	s_delay_alu instid0(VALU_DEP_1) | instskip(NEXT) | instid1(VALU_DEP_4)
	v_fmac_f32_e32 v75, v80, v62
	v_add_f32_e32 v72, v72, v66
	ds_load_2addr_b64 v[64:67], v51 offset0:96 offset1:112
	v_mul_f32_e32 v78, v80, v63
	v_add_f32_e32 v69, v69, v75
	s_delay_alu instid0(VALU_DEP_2) | instskip(SKIP_1) | instid1(VALU_DEP_1)
	v_fma_f32 v77, v79, v62, -v78
	v_mul_f32_e32 v78, v91, v63
	v_fmac_f32_e32 v78, v92, v62
	s_delay_alu instid0(VALU_DEP_1) | instskip(SKIP_3) | instid1(VALU_DEP_2)
	v_add_f32_e32 v29, v29, v78
	v_fma_f32 v76, v91, v60, -v76
	v_dual_add_f32 v70, v70, v77 :: v_dual_mul_f32 v77, v92, v63
	s_wait_dscnt 0x0
	v_dual_add_f32 v75, v68, v76 :: v_dual_mul_f32 v68, v82, v65
	s_delay_alu instid0(VALU_DEP_2) | instskip(SKIP_1) | instid1(VALU_DEP_3)
	v_fma_f32 v60, v91, v62, -v77
	v_mul_f32_e32 v77, v82, v67
	v_fma_f32 v68, v81, v64, -v68
	s_delay_alu instid0(VALU_DEP_3) | instskip(NEXT) | instid1(VALU_DEP_3)
	v_dual_add_f32 v76, v71, v60 :: v_dual_mul_f32 v71, v81, v65
	v_fma_f32 v77, v81, v66, -v77
	s_delay_alu instid0(VALU_DEP_3) | instskip(SKIP_1) | instid1(VALU_DEP_4)
	v_add_f32_e32 v74, v74, v68
	v_mul_f32_e32 v68, v94, v65
	v_dual_fmac_f32 v71, v82, v64 :: v_dual_add_f32 v72, v72, v61
	ds_load_2addr_b64 v[60:63], v51 offset0:128 offset1:144
	v_mul_f32_e32 v65, v93, v65
	v_mul_f32_e32 v78, v81, v67
	v_fma_f32 v79, v93, v64, -v68
	v_mul_f32_e32 v80, v94, v67
	v_add_f32_e32 v73, v73, v71
	v_fmac_f32_e32 v65, v94, v64
	s_delay_alu instid0(VALU_DEP_4) | instskip(SKIP_3) | instid1(VALU_DEP_3)
	v_dual_fmac_f32 v78, v82, v66 :: v_dual_add_f32 v79, v75, v79
	v_mul_f32_e32 v75, v93, v67
	v_add_f32_e32 v77, v70, v77
	v_fma_f32 v64, v93, v66, -v80
	v_dual_add_f32 v80, v72, v65 :: v_dual_fmac_f32 v75, v94, v66
	s_delay_alu instid0(VALU_DEP_1) | instskip(SKIP_4) | instid1(VALU_DEP_3)
	v_dual_add_f32 v76, v76, v64 :: v_dual_add_f32 v29, v29, v75
	s_wait_dscnt 0x0
	v_mul_f32_e32 v67, v84, v61
	v_mul_f32_e32 v87, v83, v63
	;; [unrolled: 1-line block ×3, first 2 shown]
	v_fma_f32 v81, v83, v60, -v67
	v_add_f32_e32 v78, v69, v78
	ds_load_b128 v[68:71], v50 offset:4128
	ds_load_2addr_b64 v[64:67], v51 offset0:160 offset1:176
	v_mul_f32_e32 v82, v84, v63
	v_fmac_f32_e32 v87, v84, v62
	v_add_f32_e32 v81, v74, v81
	s_delay_alu instid0(VALU_DEP_3) | instskip(NEXT) | instid1(VALU_DEP_1)
	v_fma_f32 v82, v83, v62, -v82
	v_dual_fmac_f32 v72, v84, v60 :: v_dual_add_f32 v77, v77, v82
	s_delay_alu instid0(VALU_DEP_1)
	v_add_f32_e32 v88, v73, v72
	ds_load_b128 v[72:75], v50 offset:4144
	s_wait_dscnt 0x2
	v_mul_f32_e32 v83, v69, v61
	v_dual_mul_f32 v61, v68, v61 :: v_dual_mul_f32 v82, v69, v63
	s_wait_dscnt 0x1
	v_dual_mul_f32 v84, v68, v63 :: v_dual_mul_f32 v63, v86, v65
	s_delay_alu instid0(VALU_DEP_3) | instskip(NEXT) | instid1(VALU_DEP_3)
	v_fma_f32 v83, v68, v60, -v83
	v_fmac_f32_e32 v61, v69, v60
	v_fma_f32 v60, v68, v62, -v82
	v_add_f32_e32 v78, v78, v87
	s_delay_alu instid0(VALU_DEP_3)
	v_dual_add_f32 v68, v79, v83 :: v_dual_add_f32 v79, v80, v61
	v_fma_f32 v80, v85, v64, -v63
	v_dual_mul_f32 v83, v71, v65 :: v_dual_fmac_f32 v84, v69, v62
	v_add_f32_e32 v69, v76, v60
	ds_load_2addr_b64 v[60:63], v51 offset0:192 offset1:208
	v_add_f32_e32 v80, v81, v80
	v_mul_f32_e32 v81, v85, v67
	v_mul_f32_e32 v76, v85, v65
	;; [unrolled: 1-line block ×3, first 2 shown]
	v_dual_mul_f32 v82, v86, v67 :: v_dual_add_f32 v29, v29, v84
	s_delay_alu instid0(VALU_DEP_4) | instskip(NEXT) | instid1(VALU_DEP_3)
	v_fmac_f32_e32 v81, v86, v66
	v_fmac_f32_e32 v65, v71, v64
	s_delay_alu instid0(VALU_DEP_3) | instskip(SKIP_1) | instid1(VALU_DEP_4)
	v_fma_f32 v82, v85, v66, -v82
	v_fmac_f32_e32 v76, v86, v64
	v_add_f32_e32 v78, v78, v81
	v_mul_f32_e32 v81, v70, v67
	v_add_f32_e32 v79, v79, v65
	v_add_f32_e32 v77, v77, v82
	v_fma_f32 v82, v70, v64, -v83
	v_mul_f32_e32 v64, v71, v67
	v_dual_fmac_f32 v81, v71, v66 :: v_dual_add_f32 v76, v88, v76
	s_wait_dscnt 0x0
	v_mul_f32_e32 v71, v0, v61
	v_add_f32_e32 v68, v68, v82
	v_fma_f32 v70, v70, v66, -v64
	v_mul_f32_e32 v82, v1, v61
	ds_load_2addr_b64 v[64:67], v51 offset0:224 offset1:240
	v_fmac_f32_e32 v71, v1, v60
	v_mul_f32_e32 v83, v0, v63
	v_add_f32_e32 v69, v69, v70
	v_fma_f32 v70, v0, v60, -v82
	v_mul_f32_e32 v82, v1, v63
	v_add_f32_e32 v29, v29, v81
	v_fmac_f32_e32 v83, v1, v62
	v_mul_f32_e32 v1, v73, v61
	v_mul_f32_e32 v61, v72, v61
	v_fma_f32 v0, v0, v62, -v82
	v_add_f32_e32 v80, v80, v70
	v_mul_f32_e32 v70, v73, v63
	s_delay_alu instid0(VALU_DEP_4) | instskip(NEXT) | instid1(VALU_DEP_4)
	v_dual_add_f32 v76, v76, v71 :: v_dual_fmac_f32 v61, v73, v60
	v_dual_add_f32 v0, v77, v0 :: v_dual_add_f32 v77, v78, v83
	s_wait_dscnt 0x0
	v_dual_mul_f32 v78, v72, v63 :: v_dual_mul_f32 v63, v3, v65
	v_mul_f32_e32 v82, v3, v67
	v_fma_f32 v1, v72, v60, -v1
	v_fma_f32 v60, v72, v62, -v70
	s_delay_alu instid0(VALU_DEP_4) | instskip(NEXT) | instid1(VALU_DEP_3)
	v_fmac_f32_e32 v78, v73, v62
	v_add_f32_e32 v72, v68, v1
	v_fma_f32 v1, v2, v64, -v63
	s_delay_alu instid0(VALU_DEP_4) | instskip(NEXT) | instid1(VALU_DEP_4)
	v_add_f32_e32 v73, v69, v60
	v_dual_add_f32 v29, v29, v78 :: v_dual_mul_f32 v78, v2, v67
	v_add_f32_e32 v81, v79, v61
	v_mul_f32_e32 v79, v2, v65
	ds_load_b128 v[60:63], v50 offset:64
	ds_load_2addr_b64 v[68:71], v57 offset1:16
	v_add_f32_e32 v80, v80, v1
	v_fma_f32 v1, v2, v66, -v82
	v_mul_f32_e32 v2, v75, v65
	v_fmac_f32_e32 v78, v3, v66
	v_fmac_f32_e32 v79, v3, v64
	s_delay_alu instid0(VALU_DEP_2) | instskip(NEXT) | instid1(VALU_DEP_2)
	v_dual_add_f32 v83, v0, v1 :: v_dual_add_f32 v84, v77, v78
	v_add_f32_e32 v82, v76, v79
	v_fma_f32 v76, v74, v64, -v2
	v_mul_f32_e32 v79, v75, v67
	ds_load_b128 v[0:3], v50 offset:4160
	v_dual_add_f32 v85, v72, v76 :: v_dual_mul_f32 v72, v74, v67
	v_mul_f32_e32 v65, v74, v65
	s_wait_dscnt 0x1
	v_mul_f32_e32 v67, v61, v69
	s_delay_alu instid0(VALU_DEP_3) | instskip(NEXT) | instid1(VALU_DEP_3)
	v_dual_mul_f32 v87, v60, v71 :: v_dual_fmac_f32 v72, v75, v66
	v_fmac_f32_e32 v65, v75, v64
	v_fma_f32 v64, v74, v66, -v79
	s_delay_alu instid0(VALU_DEP_3)
	v_dual_mul_f32 v74, v60, v69 :: v_dual_fmac_f32 v87, v61, v70
	ds_load_b128 v[76:79], v50 offset:80
	v_add_f32_e32 v86, v73, v64
	v_fma_f32 v73, v60, v68, -v67
	v_fmac_f32_e32 v74, v61, v68
	v_add_f32_e32 v84, v84, v87
	s_wait_dscnt 0x1
	v_dual_mul_f32 v88, v1, v69 :: v_dual_mul_f32 v87, v0, v71
	v_add_f32_e32 v80, v80, v73
	v_add_f32_e32 v81, v81, v65
	ds_load_2addr_b64 v[64:67], v57 offset0:32 offset1:48
	v_mul_f32_e32 v75, v61, v71
	v_mul_f32_e32 v61, v0, v69
	;; [unrolled: 1-line block ×3, first 2 shown]
	v_fmac_f32_e32 v87, v1, v70
	v_add_f32_e32 v29, v29, v72
	v_fma_f32 v60, v60, v70, -v75
	v_add_f32_e32 v82, v82, v74
	ds_load_b128 v[72:75], v50 offset:4176
	v_add_f32_e32 v60, v83, v60
	v_fma_f32 v83, v0, v68, -v88
	v_fmac_f32_e32 v61, v1, v68
	s_delay_alu instid0(VALU_DEP_1) | instskip(SKIP_2) | instid1(VALU_DEP_1)
	v_add_f32_e32 v61, v81, v61
	s_wait_dscnt 0x1
	v_mul_f32_e32 v68, v63, v65
	v_fma_f32 v1, v62, v64, -v68
	s_delay_alu instid0(VALU_DEP_1) | instskip(SKIP_4) | instid1(VALU_DEP_1)
	v_add_f32_e32 v80, v80, v1
	v_fma_f32 v0, v0, v70, -v69
	ds_load_2addr_b64 v[68:71], v57 offset0:64 offset1:80
	v_add_f32_e32 v81, v86, v0
	v_mul_f32_e32 v0, v62, v65
	v_dual_mul_f32 v1, v62, v67 :: v_dual_fmac_f32 v0, v63, v64
	v_add_f32_e32 v83, v85, v83
	s_delay_alu instid0(VALU_DEP_2) | instskip(NEXT) | instid1(VALU_DEP_1)
	v_dual_mul_f32 v85, v63, v67 :: v_dual_add_f32 v82, v82, v0
	v_fma_f32 v62, v62, v66, -v85
	v_mul_f32_e32 v85, v3, v65
	s_delay_alu instid0(VALU_DEP_2) | instskip(SKIP_1) | instid1(VALU_DEP_3)
	v_dual_mul_f32 v65, v2, v65 :: v_dual_add_f32 v60, v60, v62
	v_mul_f32_e32 v62, v3, v67
	v_fma_f32 v0, v2, v64, -v85
	s_delay_alu instid0(VALU_DEP_3) | instskip(NEXT) | instid1(VALU_DEP_3)
	v_dual_fmac_f32 v65, v3, v64 :: v_dual_mul_f32 v64, v2, v67
	v_fma_f32 v62, v2, v66, -v62
	s_delay_alu instid0(VALU_DEP_3) | instskip(NEXT) | instid1(VALU_DEP_3)
	v_add_f32_e32 v67, v83, v0
	v_add_f32_e32 v61, v61, v65
	s_wait_dscnt 0x0
	v_dual_mul_f32 v65, v77, v69 :: v_dual_fmac_f32 v64, v3, v66
	v_add_f32_e32 v62, v81, v62
	v_dual_fmac_f32 v1, v63, v66 :: v_dual_mul_f32 v66, v76, v69
	s_delay_alu instid0(VALU_DEP_3) | instskip(SKIP_2) | instid1(VALU_DEP_4)
	v_fma_f32 v65, v76, v68, -v65
	v_add_f32_e32 v29, v29, v87
	v_mul_f32_e32 v81, v77, v71
	v_dual_mul_f32 v83, v76, v71 :: v_dual_fmac_f32 v66, v77, v68
	s_delay_alu instid0(VALU_DEP_3) | instskip(NEXT) | instid1(VALU_DEP_3)
	v_dual_add_f32 v80, v80, v65 :: v_dual_add_f32 v29, v29, v64
	v_fma_f32 v64, v76, v70, -v81
	s_delay_alu instid0(VALU_DEP_3) | instskip(SKIP_4) | instid1(VALU_DEP_1)
	v_dual_mul_f32 v65, v73, v69 :: v_dual_add_f32 v76, v82, v66
	v_mul_f32_e32 v66, v72, v69
	v_add_f32_e32 v63, v84, v1
	ds_load_2addr_b64 v[0:3], v57 offset0:96 offset1:112
	v_fmac_f32_e32 v83, v77, v70
	v_dual_fmac_f32 v66, v73, v68 :: v_dual_add_f32 v77, v63, v83
	v_fma_f32 v63, v72, v68, -v65
	v_mul_f32_e32 v68, v72, v71
	s_delay_alu instid0(VALU_DEP_1) | instskip(SKIP_1) | instid1(VALU_DEP_1)
	v_fmac_f32_e32 v68, v73, v70
	s_wait_dscnt 0x0
	v_dual_add_f32 v29, v29, v68 :: v_dual_mul_f32 v68, v78, v3
	v_dual_add_f32 v69, v60, v64 :: v_dual_mul_f32 v60, v73, v71
	v_mul_f32_e32 v64, v79, v1
	v_mul_f32_e32 v82, v79, v3
	s_delay_alu instid0(VALU_DEP_4) | instskip(NEXT) | instid1(VALU_DEP_4)
	v_dual_fmac_f32 v68, v79, v2 :: v_dual_mul_f32 v71, v78, v1
	v_fma_f32 v60, v72, v70, -v60
	s_delay_alu instid0(VALU_DEP_4) | instskip(NEXT) | instid1(VALU_DEP_2)
	v_fma_f32 v70, v78, v0, -v64
	v_dual_add_f32 v72, v67, v63 :: v_dual_add_f32 v73, v62, v60
	s_delay_alu instid0(VALU_DEP_2)
	v_dual_add_f32 v80, v80, v70 :: v_dual_fmac_f32 v71, v79, v0
	v_add_f32_e32 v81, v61, v66
	ds_load_b128 v[60:63], v50 offset:96
	ds_load_2addr_b64 v[64:67], v57 offset0:128 offset1:144
	v_fma_f32 v70, v78, v2, -v82
	v_mul_f32_e32 v78, v75, v1
	v_add_f32_e32 v82, v76, v71
	s_delay_alu instid0(VALU_DEP_2) | instskip(NEXT) | instid1(VALU_DEP_1)
	v_fma_f32 v76, v74, v0, -v78
	v_dual_mul_f32 v78, v75, v3 :: v_dual_add_f32 v85, v72, v76
	v_mul_f32_e32 v72, v74, v3
	s_delay_alu instid0(VALU_DEP_1) | instskip(NEXT) | instid1(VALU_DEP_1)
	v_dual_mul_f32 v1, v74, v1 :: v_dual_fmac_f32 v72, v75, v2
	v_fmac_f32_e32 v1, v75, v0
	s_delay_alu instid0(VALU_DEP_4)
	v_fma_f32 v0, v74, v2, -v78
	s_wait_dscnt 0x0
	v_mul_f32_e32 v87, v60, v67
	v_mul_f32_e32 v74, v60, v65
	v_add_f32_e32 v84, v77, v68
	ds_load_b128 v[76:79], v50 offset:112
	v_add_f32_e32 v86, v73, v0
	v_fmac_f32_e32 v87, v61, v66
	v_add_f32_e32 v83, v69, v70
	ds_load_b128 v[68:71], v50 offset:4192
	v_fmac_f32_e32 v74, v61, v64
	v_mul_f32_e32 v75, v61, v67
	v_dual_add_f32 v84, v84, v87 :: v_dual_mul_f32 v3, v61, v65
	s_delay_alu instid0(VALU_DEP_1) | instskip(NEXT) | instid1(VALU_DEP_3)
	v_fma_f32 v73, v60, v64, -v3
	v_fma_f32 v60, v60, v66, -v75
	s_delay_alu instid0(VALU_DEP_2) | instskip(SKIP_1) | instid1(VALU_DEP_2)
	v_add_f32_e32 v80, v80, v73
	s_wait_dscnt 0x0
	v_dual_add_f32 v60, v83, v60 :: v_dual_mul_f32 v61, v68, v65
	v_dual_add_f32 v82, v82, v74 :: v_dual_add_f32 v81, v81, v1
	ds_load_2addr_b64 v[0:3], v57 offset0:160 offset1:176
	v_mul_f32_e32 v88, v69, v65
	v_mul_f32_e32 v65, v69, v67
	v_fmac_f32_e32 v61, v69, v64
	v_mul_f32_e32 v87, v68, v67
	v_add_f32_e32 v29, v29, v72
	v_fma_f32 v83, v68, v64, -v88
	v_fma_f32 v64, v68, v66, -v65
	ds_load_b128 v[72:75], v50 offset:4208
	v_fmac_f32_e32 v87, v69, v66
	v_dual_add_f32 v68, v85, v83 :: v_dual_add_f32 v69, v86, v64
	s_wait_dscnt 0x1
	v_mul_f32_e32 v65, v63, v1
	s_delay_alu instid0(VALU_DEP_1)
	v_fma_f32 v83, v62, v0, -v65
	ds_load_2addr_b64 v[64:67], v57 offset0:192 offset1:208
	v_mul_f32_e32 v85, v63, v3
	v_dual_add_f32 v80, v80, v83 :: v_dual_add_f32 v61, v81, v61
	v_mul_f32_e32 v81, v62, v1
	v_mul_f32_e32 v83, v62, v3
	s_delay_alu instid0(VALU_DEP_4)
	v_fma_f32 v62, v62, v2, -v85
	v_mul_f32_e32 v85, v71, v1
	v_mul_f32_e32 v1, v70, v1
	v_fmac_f32_e32 v81, v63, v0
	v_fmac_f32_e32 v83, v63, v2
	v_add_f32_e32 v60, v60, v62
	v_fma_f32 v62, v70, v0, -v85
	v_fmac_f32_e32 v1, v71, v0
	v_dual_mul_f32 v0, v71, v3 :: v_dual_add_f32 v81, v82, v81
	v_mul_f32_e32 v82, v70, v3
	s_delay_alu instid0(VALU_DEP_4) | instskip(NEXT) | instid1(VALU_DEP_3)
	v_add_f32_e32 v62, v68, v62
	v_fma_f32 v68, v70, v2, -v0
	s_wait_dscnt 0x0
	v_mul_f32_e32 v70, v77, v65
	v_dual_fmac_f32 v82, v71, v2 :: v_dual_mul_f32 v71, v76, v65
	s_delay_alu instid0(VALU_DEP_3) | instskip(NEXT) | instid1(VALU_DEP_3)
	v_add_f32_e32 v68, v69, v68
	v_fma_f32 v69, v76, v64, -v70
	v_mul_f32_e32 v70, v77, v67
	s_delay_alu instid0(VALU_DEP_4) | instskip(NEXT) | instid1(VALU_DEP_2)
	v_fmac_f32_e32 v71, v77, v64
	v_fma_f32 v70, v76, v66, -v70
	s_delay_alu instid0(VALU_DEP_1) | instskip(SKIP_4) | instid1(VALU_DEP_2)
	v_dual_add_f32 v70, v60, v70 :: v_dual_add_f32 v61, v61, v1
	ds_load_2addr_b64 v[0:3], v57 offset0:224 offset1:240
	v_add_f32_e32 v63, v84, v83
	v_dual_mul_f32 v83, v76, v67 :: v_dual_mul_f32 v76, v73, v65
	v_dual_mul_f32 v65, v72, v65 :: v_dual_mul_f32 v60, v73, v67
	v_fmac_f32_e32 v83, v77, v66
	s_delay_alu instid0(VALU_DEP_2) | instskip(NEXT) | instid1(VALU_DEP_3)
	v_fmac_f32_e32 v65, v73, v64
	v_fma_f32 v60, v72, v66, -v60
	s_delay_alu instid0(VALU_DEP_3) | instskip(SKIP_3) | instid1(VALU_DEP_3)
	v_add_f32_e32 v77, v63, v83
	v_fma_f32 v63, v72, v64, -v76
	v_mul_f32_e32 v76, v72, v67
	v_add_f32_e32 v29, v29, v87
	v_add_f32_e32 v72, v62, v63
	s_delay_alu instid0(VALU_DEP_3) | instskip(SKIP_1) | instid1(VALU_DEP_3)
	v_fmac_f32_e32 v76, v73, v66
	s_wait_dscnt 0x0
	v_dual_mul_f32 v64, v79, v1 :: v_dual_add_f32 v29, v29, v82
	v_add_f32_e32 v73, v68, v60
	v_dual_add_f32 v69, v80, v69 :: v_dual_mul_f32 v82, v79, v3
	s_delay_alu instid0(VALU_DEP_3) | instskip(NEXT) | instid1(VALU_DEP_4)
	v_fma_f32 v68, v78, v0, -v64
	v_dual_add_f32 v29, v29, v76 :: v_dual_mul_f32 v76, v78, v3
	s_delay_alu instid0(VALU_DEP_2) | instskip(NEXT) | instid1(VALU_DEP_4)
	v_add_f32_e32 v83, v69, v68
	v_fma_f32 v68, v78, v2, -v82
	v_mul_f32_e32 v69, v75, v1
	s_delay_alu instid0(VALU_DEP_4) | instskip(NEXT) | instid1(VALU_DEP_3)
	v_fmac_f32_e32 v76, v79, v2
	v_add_f32_e32 v82, v70, v68
	v_add_f32_e32 v80, v61, v65
	ds_load_b128 v[60:63], v50 offset:128
	ds_load_2addr_b64 v[64:67], v58 offset1:16
	v_add_f32_e32 v71, v81, v71
	v_mul_f32_e32 v81, v78, v1
	v_fma_f32 v78, v74, v0, -v69
	v_dual_mul_f32 v1, v74, v1 :: v_dual_add_f32 v84, v77, v76
	s_delay_alu instid0(VALU_DEP_3) | instskip(SKIP_1) | instid1(VALU_DEP_4)
	v_fmac_f32_e32 v81, v79, v0
	v_mul_f32_e32 v79, v75, v3
	v_dual_add_f32 v85, v72, v78 :: v_dual_mul_f32 v72, v74, v3
	s_delay_alu instid0(VALU_DEP_4) | instskip(NEXT) | instid1(VALU_DEP_3)
	v_fmac_f32_e32 v1, v75, v0
	v_fma_f32 v0, v74, v2, -v79
	ds_load_b128 v[76:79], v50 offset:144
	v_fmac_f32_e32 v72, v75, v2
	v_add_f32_e32 v80, v80, v1
	v_add_f32_e32 v86, v73, v0
	s_wait_dscnt 0x1
	v_mul_f32_e32 v3, v61, v65
	v_dual_mul_f32 v75, v61, v67 :: v_dual_mul_f32 v74, v60, v65
	v_mul_f32_e32 v87, v60, v67
	s_delay_alu instid0(VALU_DEP_3) | instskip(NEXT) | instid1(VALU_DEP_3)
	v_fma_f32 v73, v60, v64, -v3
	v_fma_f32 v60, v60, v66, -v75
	ds_load_2addr_b64 v[0:3], v58 offset0:32 offset1:48
	v_fmac_f32_e32 v74, v61, v64
	v_dual_fmac_f32 v87, v61, v66 :: v_dual_add_f32 v60, v82, v60
	v_add_f32_e32 v81, v71, v81
	ds_load_b128 v[68:71], v50 offset:4224
	v_add_f32_e32 v84, v84, v87
	s_wait_dscnt 0x0
	v_mul_f32_e32 v88, v69, v65
	v_mul_f32_e32 v61, v68, v65
	;; [unrolled: 1-line block ×4, first 2 shown]
	s_delay_alu instid0(VALU_DEP_4) | instskip(NEXT) | instid1(VALU_DEP_4)
	v_fma_f32 v82, v68, v64, -v88
	v_fmac_f32_e32 v61, v69, v64
	s_delay_alu instid0(VALU_DEP_4) | instskip(SKIP_3) | instid1(VALU_DEP_4)
	v_fma_f32 v64, v68, v66, -v65
	v_mul_f32_e32 v65, v63, v1
	v_fmac_f32_e32 v87, v69, v66
	v_dual_add_f32 v68, v85, v82 :: v_dual_mul_f32 v85, v63, v3
	v_add_f32_e32 v69, v86, v64
	s_delay_alu instid0(VALU_DEP_4) | instskip(SKIP_4) | instid1(VALU_DEP_3)
	v_fma_f32 v82, v62, v0, -v65
	ds_load_2addr_b64 v[64:67], v58 offset0:64 offset1:80
	v_add_f32_e32 v83, v83, v73
	v_add_f32_e32 v61, v80, v61
	v_mul_f32_e32 v80, v62, v1
	v_dual_add_f32 v82, v83, v82 :: v_dual_mul_f32 v83, v62, v3
	v_fma_f32 v62, v62, v2, -v85
	v_mul_f32_e32 v85, v71, v1
	s_delay_alu instid0(VALU_DEP_4) | instskip(NEXT) | instid1(VALU_DEP_3)
	v_dual_fmac_f32 v80, v63, v0 :: v_dual_mul_f32 v1, v70, v1
	v_dual_add_f32 v29, v29, v72 :: v_dual_add_f32 v60, v60, v62
	s_delay_alu instid0(VALU_DEP_3) | instskip(SKIP_1) | instid1(VALU_DEP_4)
	v_fma_f32 v62, v70, v0, -v85
	v_fmac_f32_e32 v83, v63, v2
	v_fmac_f32_e32 v1, v71, v0
	v_mul_f32_e32 v0, v71, v3
	s_delay_alu instid0(VALU_DEP_4)
	v_add_f32_e32 v62, v68, v62
	v_add_f32_e32 v81, v81, v74
	ds_load_b128 v[72:75], v50 offset:4240
	v_add_f32_e32 v61, v61, v1
	v_fma_f32 v68, v70, v2, -v0
	v_dual_add_f32 v63, v84, v83 :: v_dual_add_f32 v80, v81, v80
	s_wait_dscnt 0x1
	v_dual_mul_f32 v81, v70, v3 :: v_dual_mul_f32 v70, v77, v65
	s_delay_alu instid0(VALU_DEP_3) | instskip(NEXT) | instid1(VALU_DEP_2)
	v_dual_add_f32 v68, v69, v68 :: v_dual_mul_f32 v83, v76, v67
	v_fmac_f32_e32 v81, v71, v2
	ds_load_2addr_b64 v[0:3], v58 offset0:96 offset1:112
	v_fma_f32 v69, v76, v64, -v70
	v_dual_mul_f32 v70, v77, v67 :: v_dual_mul_f32 v71, v76, v65
	v_fmac_f32_e32 v83, v77, v66
	s_delay_alu instid0(VALU_DEP_3) | instskip(NEXT) | instid1(VALU_DEP_3)
	v_add_f32_e32 v69, v82, v69
	v_fma_f32 v70, v76, v66, -v70
	s_delay_alu instid0(VALU_DEP_4)
	v_fmac_f32_e32 v71, v77, v64
	s_wait_dscnt 0x1
	v_mul_f32_e32 v76, v73, v65
	v_mul_f32_e32 v65, v72, v65
	v_dual_add_f32 v77, v63, v83 :: v_dual_add_f32 v70, v60, v70
	v_mul_f32_e32 v60, v73, v67
	s_delay_alu instid0(VALU_DEP_4) | instskip(NEXT) | instid1(VALU_DEP_4)
	v_fma_f32 v63, v72, v64, -v76
	v_dual_fmac_f32 v65, v73, v64 :: v_dual_mul_f32 v76, v72, v67
	v_add_f32_e32 v29, v29, v87
	s_delay_alu instid0(VALU_DEP_4)
	v_fma_f32 v60, v72, v66, -v60
	s_wait_dscnt 0x0
	v_dual_add_f32 v71, v80, v71 :: v_dual_mul_f32 v64, v79, v1
	v_add_f32_e32 v72, v62, v63
	v_add_f32_e32 v80, v61, v65
	v_dual_fmac_f32 v76, v73, v66 :: v_dual_add_f32 v73, v68, v60
	s_delay_alu instid0(VALU_DEP_4)
	v_fma_f32 v68, v78, v0, -v64
	ds_load_b128 v[60:63], v50 offset:160
	ds_load_2addr_b64 v[64:67], v58 offset0:128 offset1:144
	v_add_f32_e32 v29, v29, v81
	v_dual_mul_f32 v81, v78, v1 :: v_dual_mul_f32 v82, v79, v3
	v_add_f32_e32 v83, v69, v68
	v_mul_f32_e32 v69, v75, v1
	s_delay_alu instid0(VALU_DEP_4) | instskip(NEXT) | instid1(VALU_DEP_4)
	v_dual_add_f32 v29, v29, v76 :: v_dual_mul_f32 v76, v78, v3
	v_fmac_f32_e32 v81, v79, v0
	v_fma_f32 v68, v78, v2, -v82
	v_mul_f32_e32 v1, v74, v1
	v_fma_f32 v78, v74, v0, -v69
	v_fmac_f32_e32 v76, v79, v2
	v_mul_f32_e32 v79, v75, v3
	v_dual_add_f32 v81, v71, v81 :: v_dual_add_f32 v82, v70, v68
	v_fmac_f32_e32 v1, v75, v0
	ds_load_b128 v[68:71], v50 offset:4256
	v_add_f32_e32 v85, v72, v78
	v_fma_f32 v0, v74, v2, -v79
	s_wait_dscnt 0x1
	v_dual_mul_f32 v72, v74, v3 :: v_dual_mul_f32 v3, v61, v65
	v_add_f32_e32 v80, v80, v1
	v_mul_f32_e32 v74, v60, v65
	v_add_f32_e32 v86, v73, v0
	s_delay_alu instid0(VALU_DEP_4)
	v_fmac_f32_e32 v72, v75, v2
	v_fma_f32 v73, v60, v64, -v3
	ds_load_2addr_b64 v[0:3], v58 offset0:160 offset1:176
	v_mul_f32_e32 v75, v61, v67
	v_dual_mul_f32 v87, v60, v67 :: v_dual_add_f32 v84, v77, v76
	ds_load_b128 v[76:79], v50 offset:176
	v_fmac_f32_e32 v74, v61, v64
	v_fma_f32 v60, v60, v66, -v75
	v_fmac_f32_e32 v87, v61, v66
	v_add_f32_e32 v83, v83, v73
	s_wait_dscnt 0x2
	v_mul_f32_e32 v88, v69, v65
	v_mul_f32_e32 v61, v68, v65
	v_dual_mul_f32 v65, v69, v67 :: v_dual_add_f32 v60, v82, v60
	v_add_f32_e32 v84, v84, v87
	s_delay_alu instid0(VALU_DEP_4) | instskip(NEXT) | instid1(VALU_DEP_4)
	v_fma_f32 v82, v68, v64, -v88
	v_fmac_f32_e32 v61, v69, v64
	s_delay_alu instid0(VALU_DEP_4)
	v_fma_f32 v64, v68, v66, -v65
	v_mul_f32_e32 v87, v68, v67
	v_add_f32_e32 v81, v81, v74
	s_wait_dscnt 0x1
	v_dual_mul_f32 v65, v63, v1 :: v_dual_add_f32 v68, v85, v82
	v_add_f32_e32 v61, v80, v61
	v_dual_mul_f32 v80, v62, v1 :: v_dual_mul_f32 v85, v63, v3
	s_delay_alu instid0(VALU_DEP_3)
	v_fma_f32 v82, v62, v0, -v65
	v_fmac_f32_e32 v87, v69, v66
	v_add_f32_e32 v69, v86, v64
	ds_load_2addr_b64 v[64:67], v58 offset0:192 offset1:208
	v_fmac_f32_e32 v80, v63, v0
	v_dual_add_f32 v82, v83, v82 :: v_dual_mul_f32 v83, v62, v3
	v_fma_f32 v62, v62, v2, -v85
	v_mul_f32_e32 v85, v71, v1
	s_delay_alu instid0(VALU_DEP_4) | instskip(NEXT) | instid1(VALU_DEP_3)
	v_dual_mul_f32 v1, v70, v1 :: v_dual_add_f32 v80, v81, v80
	v_dual_mul_f32 v81, v70, v3 :: v_dual_add_f32 v60, v60, v62
	s_delay_alu instid0(VALU_DEP_3) | instskip(NEXT) | instid1(VALU_DEP_3)
	v_fma_f32 v62, v70, v0, -v85
	v_fmac_f32_e32 v1, v71, v0
	v_mul_f32_e32 v0, v71, v3
	v_fmac_f32_e32 v83, v63, v2
	v_fmac_f32_e32 v81, v71, v2
	s_delay_alu instid0(VALU_DEP_4) | instskip(NEXT) | instid1(VALU_DEP_4)
	v_dual_add_f32 v62, v68, v62 :: v_dual_add_f32 v61, v61, v1
	v_fma_f32 v68, v70, v2, -v0
	ds_load_2addr_b64 v[0:3], v58 offset0:224 offset1:240
	s_wait_dscnt 0x1
	v_dual_add_f32 v63, v84, v83 :: v_dual_mul_f32 v70, v77, v65
	v_dual_mul_f32 v83, v76, v67 :: v_dual_add_f32 v68, v69, v68
	v_mul_f32_e32 v71, v76, v65
	s_delay_alu instid0(VALU_DEP_3) | instskip(SKIP_1) | instid1(VALU_DEP_4)
	v_fma_f32 v69, v76, v64, -v70
	v_mul_f32_e32 v70, v77, v67
	v_fmac_f32_e32 v83, v77, v66
	s_delay_alu instid0(VALU_DEP_4) | instskip(NEXT) | instid1(VALU_DEP_4)
	v_fmac_f32_e32 v71, v77, v64
	v_add_f32_e32 v69, v82, v69
	s_delay_alu instid0(VALU_DEP_4) | instskip(NEXT) | instid1(VALU_DEP_4)
	v_fma_f32 v70, v76, v66, -v70
	v_add_f32_e32 v77, v63, v83
	s_delay_alu instid0(VALU_DEP_4) | instskip(NEXT) | instid1(VALU_DEP_3)
	v_add_f32_e32 v71, v80, v71
	v_add_f32_e32 v70, v60, v70
	s_wait_dscnt 0x0
	v_dual_mul_f32 v82, v79, v3 :: v_dual_add_f32 v29, v29, v72
	ds_load_b128 v[72:75], v50 offset:4272
	v_add_f32_e32 v29, v29, v87
	s_delay_alu instid0(VALU_DEP_1) | instskip(SKIP_2) | instid1(VALU_DEP_1)
	v_add_f32_e32 v29, v29, v81
	v_mul_f32_e32 v81, v78, v1
	s_wait_dscnt 0x0
	v_dual_fmac_f32 v81, v79, v0 :: v_dual_mul_f32 v76, v73, v65
	v_dual_mul_f32 v65, v72, v65 :: v_dual_mul_f32 v60, v73, v67
	s_delay_alu instid0(VALU_DEP_2) | instskip(NEXT) | instid1(VALU_DEP_3)
	v_add_f32_e32 v81, v71, v81
	v_fma_f32 v63, v72, v64, -v76
	s_delay_alu instid0(VALU_DEP_3) | instskip(NEXT) | instid1(VALU_DEP_4)
	v_dual_fmac_f32 v65, v73, v64 :: v_dual_mul_f32 v76, v72, v67
	v_fma_f32 v60, v72, v66, -v60
	v_mul_f32_e32 v64, v79, v1
	s_delay_alu instid0(VALU_DEP_4) | instskip(NEXT) | instid1(VALU_DEP_4)
	v_add_f32_e32 v72, v62, v63
	v_add_f32_e32 v80, v61, v65
	s_delay_alu instid0(VALU_DEP_4) | instskip(NEXT) | instid1(VALU_DEP_4)
	v_dual_fmac_f32 v76, v73, v66 :: v_dual_add_f32 v73, v68, v60
	v_fma_f32 v68, v78, v0, -v64
	ds_load_b128 v[60:63], v50 offset:192
	ds_load_2addr_b64 v[64:67], v59 offset1:16
	v_dual_add_f32 v29, v29, v76 :: v_dual_mul_f32 v76, v78, v3
	v_add_f32_e32 v83, v69, v68
	v_mul_f32_e32 v69, v75, v1
	v_fma_f32 v68, v78, v2, -v82
	s_delay_alu instid0(VALU_DEP_4) | instskip(SKIP_1) | instid1(VALU_DEP_4)
	v_dual_mul_f32 v1, v74, v1 :: v_dual_fmac_f32 v76, v79, v2
	v_mul_f32_e32 v79, v75, v3
	v_fma_f32 v78, v74, v0, -v69
	s_delay_alu instid0(VALU_DEP_4) | instskip(NEXT) | instid1(VALU_DEP_4)
	v_add_f32_e32 v82, v70, v68
	v_fmac_f32_e32 v1, v75, v0
	ds_load_b128 v[68:71], v50 offset:4288
	v_fma_f32 v0, v74, v2, -v79
	v_dual_add_f32 v85, v72, v78 :: v_dual_mul_f32 v72, v74, v3
	v_add_f32_e32 v80, v80, v1
	v_add_f32_e32 v84, v77, v76
	s_delay_alu instid0(VALU_DEP_4) | instskip(SKIP_4) | instid1(VALU_DEP_3)
	v_add_f32_e32 v86, v73, v0
	s_wait_dscnt 0x1
	v_dual_mul_f32 v3, v61, v65 :: v_dual_fmac_f32 v72, v75, v2
	v_dual_mul_f32 v74, v60, v65 :: v_dual_mul_f32 v75, v61, v67
	v_mul_f32_e32 v87, v60, v67
	v_fma_f32 v73, v60, v64, -v3
	ds_load_2addr_b64 v[0:3], v59 offset0:32 offset1:48
	ds_load_b128 v[76:79], v50 offset:208
	v_fmac_f32_e32 v74, v61, v64
	v_fma_f32 v60, v60, v66, -v75
	v_fmac_f32_e32 v87, v61, v66
	v_add_f32_e32 v83, v83, v73
	v_add_f32_e32 v29, v29, v72
	s_wait_dscnt 0x2
	v_mul_f32_e32 v88, v69, v65
	v_mul_f32_e32 v61, v68, v65
	v_dual_mul_f32 v65, v69, v67 :: v_dual_add_f32 v60, v82, v60
	v_add_f32_e32 v84, v84, v87
	s_delay_alu instid0(VALU_DEP_4) | instskip(NEXT) | instid1(VALU_DEP_4)
	v_fma_f32 v82, v68, v64, -v88
	v_fmac_f32_e32 v61, v69, v64
	v_mul_f32_e32 v87, v68, v67
	v_fma_f32 v64, v68, v66, -v65
	v_add_f32_e32 v81, v81, v74
	s_delay_alu instid0(VALU_DEP_4) | instskip(NEXT) | instid1(VALU_DEP_4)
	v_dual_add_f32 v68, v85, v82 :: v_dual_add_f32 v61, v80, v61
	v_fmac_f32_e32 v87, v69, v66
	s_wait_dscnt 0x1
	v_mul_f32_e32 v65, v63, v1
	v_add_f32_e32 v69, v86, v64
	v_dual_mul_f32 v80, v62, v1 :: v_dual_mul_f32 v85, v63, v3
	ds_load_b128 v[72:75], v50 offset:4304
	v_fma_f32 v82, v62, v0, -v65
	ds_load_2addr_b64 v[64:67], v59 offset0:64 offset1:80
	v_dual_fmac_f32 v80, v63, v0 :: v_dual_add_f32 v29, v29, v87
	v_dual_add_f32 v82, v83, v82 :: v_dual_mul_f32 v83, v62, v3
	v_fma_f32 v62, v62, v2, -v85
	v_mul_f32_e32 v85, v71, v1
	s_delay_alu instid0(VALU_DEP_4) | instskip(NEXT) | instid1(VALU_DEP_3)
	v_dual_mul_f32 v1, v70, v1 :: v_dual_add_f32 v80, v81, v80
	v_dual_mul_f32 v81, v70, v3 :: v_dual_add_f32 v60, v60, v62
	s_delay_alu instid0(VALU_DEP_3) | instskip(NEXT) | instid1(VALU_DEP_3)
	v_fma_f32 v62, v70, v0, -v85
	v_fmac_f32_e32 v1, v71, v0
	v_mul_f32_e32 v0, v71, v3
	v_fmac_f32_e32 v83, v63, v2
	v_fmac_f32_e32 v81, v71, v2
	s_delay_alu instid0(VALU_DEP_4) | instskip(NEXT) | instid1(VALU_DEP_4)
	v_dual_add_f32 v62, v68, v62 :: v_dual_add_f32 v61, v61, v1
	v_fma_f32 v68, v70, v2, -v0
	s_wait_dscnt 0x0
	v_mul_f32_e32 v70, v77, v65
	ds_load_2addr_b64 v[0:3], v59 offset0:96 offset1:112
	v_add_f32_e32 v63, v84, v83
	v_dual_mul_f32 v83, v76, v67 :: v_dual_add_f32 v68, v69, v68
	v_fma_f32 v69, v76, v64, -v70
	v_dual_mul_f32 v70, v77, v67 :: v_dual_mul_f32 v71, v76, v65
	s_delay_alu instid0(VALU_DEP_3) | instskip(SKIP_1) | instid1(VALU_DEP_4)
	v_fmac_f32_e32 v83, v77, v66
	v_add_f32_e32 v29, v29, v81
	v_add_f32_e32 v69, v82, v69
	s_delay_alu instid0(VALU_DEP_4) | instskip(SKIP_3) | instid1(VALU_DEP_4)
	v_fma_f32 v70, v76, v66, -v70
	v_mul_f32_e32 v76, v73, v65
	v_mul_f32_e32 v65, v72, v65
	v_fmac_f32_e32 v71, v77, v64
	v_dual_add_f32 v77, v63, v83 :: v_dual_add_f32 v70, v60, v70
	v_mul_f32_e32 v60, v73, v67
	v_fma_f32 v63, v72, v64, -v76
	v_dual_fmac_f32 v65, v73, v64 :: v_dual_mul_f32 v76, v72, v67
	s_wait_dscnt 0x0
	v_mul_f32_e32 v64, v79, v1
	v_fma_f32 v60, v72, v66, -v60
	v_add_f32_e32 v71, v80, v71
	v_add_f32_e32 v72, v62, v63
	;; [unrolled: 1-line block ×3, first 2 shown]
	s_delay_alu instid0(VALU_DEP_4)
	v_dual_fmac_f32 v76, v73, v66 :: v_dual_add_f32 v73, v68, v60
	v_fma_f32 v68, v78, v0, -v64
	ds_load_b128 v[60:63], v50 offset:224
	ds_load_2addr_b64 v[64:67], v59 offset0:128 offset1:144
	v_dual_mul_f32 v81, v78, v1 :: v_dual_mul_f32 v82, v79, v3
	v_dual_add_f32 v29, v29, v76 :: v_dual_mul_f32 v76, v78, v3
	s_delay_alu instid0(VALU_DEP_2) | instskip(NEXT) | instid1(VALU_DEP_3)
	v_fmac_f32_e32 v81, v79, v0
	v_fma_f32 v78, v78, v2, -v82
	v_add_f32_e32 v82, v69, v68
	v_mul_f32_e32 v68, v75, v1
	v_fmac_f32_e32 v76, v79, v2
	v_add_f32_e32 v81, v71, v81
	v_add_f32_e32 v83, v70, v78
	v_mul_f32_e32 v1, v74, v1
	v_fma_f32 v78, v74, v0, -v68
	v_add_f32_e32 v84, v77, v76
	v_mul_f32_e32 v76, v75, v3
	ds_load_b128 v[68:71], v50 offset:4320
	v_fmac_f32_e32 v1, v75, v0
	v_dual_add_f32 v85, v72, v78 :: v_dual_mul_f32 v72, v74, v3
	v_fma_f32 v0, v74, v2, -v76
	s_wait_dscnt 0x1
	v_mul_f32_e32 v3, v61, v65
	v_add_f32_e32 v80, v80, v1
	v_mul_f32_e32 v74, v61, v67
	v_fmac_f32_e32 v72, v75, v2
	v_add_f32_e32 v86, v73, v0
	v_fma_f32 v73, v60, v64, -v3
	ds_load_2addr_b64 v[0:3], v59 offset0:160 offset1:176
	ds_load_b128 v[76:79], v50 offset:240
	v_mul_f32_e32 v87, v60, v65
	v_mul_f32_e32 v88, v60, v67
	v_fma_f32 v60, v60, v66, -v74
	v_dual_add_f32 v82, v82, v73 :: v_dual_add_f32 v29, v29, v72
	s_delay_alu instid0(VALU_DEP_4) | instskip(NEXT) | instid1(VALU_DEP_4)
	v_fmac_f32_e32 v87, v61, v64
	v_fmac_f32_e32 v88, v61, v66
	s_wait_dscnt 0x2
	v_mul_f32_e32 v89, v69, v65
	v_dual_mul_f32 v61, v68, v65 :: v_dual_add_f32 v60, v83, v60
	v_mul_f32_e32 v83, v69, v67
	v_add_f32_e32 v81, v81, v87
	s_delay_alu instid0(VALU_DEP_4) | instskip(NEXT) | instid1(VALU_DEP_4)
	v_fma_f32 v65, v68, v64, -v89
	v_fmac_f32_e32 v61, v69, v64
	v_mul_f32_e32 v87, v68, v67
	v_fma_f32 v64, v68, v66, -v83
	ds_load_b128 v[72:75], v50 offset:4336
	v_add_f32_e32 v85, v85, v65
	s_wait_dscnt 0x2
	v_mul_f32_e32 v65, v63, v1
	v_add_f32_e32 v61, v80, v61
	v_dual_fmac_f32 v87, v69, v66 :: v_dual_mul_f32 v68, v62, v1
	v_add_f32_e32 v69, v86, v64
	s_delay_alu instid0(VALU_DEP_4)
	v_fma_f32 v80, v62, v0, -v65
	ds_load_2addr_b64 v[64:67], v59 offset0:192 offset1:208
	v_mul_f32_e32 v83, v63, v3
	v_fmac_f32_e32 v68, v63, v0
	v_add_f32_e32 v84, v84, v88
	v_add_f32_e32 v80, v82, v80
	v_mul_f32_e32 v82, v62, v3
	v_fma_f32 v62, v62, v2, -v83
	v_dual_add_f32 v68, v81, v68 :: v_dual_mul_f32 v81, v71, v1
	s_delay_alu instid0(VALU_DEP_3) | instskip(NEXT) | instid1(VALU_DEP_3)
	v_dual_mul_f32 v1, v70, v1 :: v_dual_fmac_f32 v82, v63, v2
	v_add_f32_e32 v60, v60, v62
	v_mul_f32_e32 v62, v71, v3
	s_delay_alu instid0(VALU_DEP_4) | instskip(NEXT) | instid1(VALU_DEP_4)
	v_fma_f32 v63, v70, v0, -v81
	v_fmac_f32_e32 v1, v71, v0
	v_dual_add_f32 v81, v84, v82 :: v_dual_mul_f32 v82, v70, v3
	s_delay_alu instid0(VALU_DEP_4) | instskip(NEXT) | instid1(VALU_DEP_4)
	v_fma_f32 v0, v70, v2, -v62
	v_add_f32_e32 v62, v85, v63
	s_delay_alu instid0(VALU_DEP_4)
	v_add_f32_e32 v61, v61, v1
	s_wait_dscnt 0x0
	v_dual_mul_f32 v63, v77, v65 :: v_dual_fmac_f32 v82, v71, v2
	v_add_f32_e32 v69, v69, v0
	ds_load_2addr_b64 v[0:3], v59 offset0:224 offset1:240
	v_mul_f32_e32 v70, v76, v65
	v_fma_f32 v63, v76, v64, -v63
	v_mul_f32_e32 v71, v77, v67
	v_add_f32_e32 v29, v29, v87
	s_wait_loadcnt_dscnt 0x0
	s_delay_alu instid0(VALU_DEP_3) | instskip(SKIP_3) | instid1(VALU_DEP_4)
	v_dual_fmac_f32 v70, v77, v64 :: v_dual_add_f32 v63, v80, v63
	v_mul_f32_e32 v80, v73, v65
	v_fma_f32 v71, v76, v66, -v71
	v_mul_f32_e32 v65, v72, v65
	v_add_f32_e32 v68, v68, v70
	v_add_f32_e32 v29, v29, v82
	v_fma_f32 v70, v72, v64, -v80
	v_add_f32_e32 v60, v60, v71
	v_mul_f32_e32 v71, v73, v67
	v_dual_mul_f32 v82, v76, v67 :: v_dual_fmac_f32 v65, v73, v64
	s_delay_alu instid0(VALU_DEP_4) | instskip(SKIP_1) | instid1(VALU_DEP_4)
	v_add_f32_e32 v62, v62, v70
	v_mul_f32_e32 v64, v72, v67
	v_fma_f32 v67, v72, v66, -v71
	v_mul_f32_e32 v70, v79, v1
	v_mul_f32_e32 v71, v78, v1
	v_add_f32_e32 v72, v61, v65
	v_fmac_f32_e32 v64, v73, v66
	v_add_f32_e32 v67, v69, v67
	v_fma_f32 v61, v78, v0, -v70
	v_fmac_f32_e32 v71, v79, v0
	v_dual_mul_f32 v69, v79, v3 :: v_dual_fmac_f32 v82, v77, v66
	v_dual_mul_f32 v70, v78, v3 :: v_dual_add_f32 v29, v29, v64
	s_delay_alu instid0(VALU_DEP_3) | instskip(NEXT) | instid1(VALU_DEP_3)
	v_dual_add_f32 v65, v63, v61 :: v_dual_add_f32 v66, v68, v71
	v_fma_f32 v61, v78, v2, -v69
	v_mul_f32_e32 v64, v75, v1
	v_dual_mul_f32 v1, v74, v1 :: v_dual_mul_f32 v68, v75, v3
	v_dual_mul_f32 v3, v74, v3 :: v_dual_add_f32 v76, v81, v82
	s_delay_alu instid0(VALU_DEP_4) | instskip(NEXT) | instid1(VALU_DEP_4)
	v_dual_fmac_f32 v70, v79, v2 :: v_dual_add_f32 v63, v60, v61
	v_fma_f32 v60, v74, v0, -v64
	s_delay_alu instid0(VALU_DEP_4) | instskip(SKIP_2) | instid1(VALU_DEP_4)
	v_fmac_f32_e32 v1, v75, v0
	v_fma_f32 v0, v74, v2, -v68
	v_fmac_f32_e32 v3, v75, v2
	v_dual_add_f32 v64, v76, v70 :: v_dual_add_f32 v61, v62, v60
	s_delay_alu instid0(VALU_DEP_4) | instskip(NEXT) | instid1(VALU_DEP_3)
	v_add_f32_e32 v62, v72, v1
	v_dual_add_f32 v60, v67, v0 :: v_dual_add_f32 v29, v29, v3
	s_barrier_signal -1
	s_barrier_wait -1
	global_inv scope:SCOPE_SE
	s_cbranch_scc1 .LBB88_59
.LBB88_11:                              ;   Parent Loop BB88_4 Depth=1
                                        ;     Parent Loop BB88_8 Depth=2
                                        ; =>    This Inner Loop Header: Depth=3
	s_wait_alu 0xfffe
	v_add_co_u32 v0, s5, v48, s22
	s_wait_alu 0xf1ff
	v_add_co_ci_u32_e64 v1, null, 0, s23, s5
	v_cmp_eq_u64_e64 s7, s[22:23], v[34:35]
	s_delay_alu instid0(VALU_DEP_2)
	v_cmp_gt_i64_e64 s5, v[0:1], v[30:31]
	v_cmp_le_i64_e64 s6, s[10:11], v[0:1]
	s_and_b32 s52, s36, s7
	v_add_co_u32 v2, s7, v42, v36
	s_or_b32 s8, vcc_lo, s5
	v_add_co_ci_u32_e64 v3, null, v43, v37, s7
	s_wait_alu 0xfffe
	s_or_b32 s7, s8, s52
	s_wait_alu 0xfffe
	s_nor_b32 s7, s6, s7
	s_wait_alu 0xfffe
	s_and_saveexec_b32 s8, s7
	s_wait_alu 0xfffe
	s_xor_b32 s7, exec_lo, s8
	s_cbranch_execz .LBB88_13
; %bb.12:                               ;   in Loop: Header=BB88_11 Depth=3
	global_load_b64 v[67:68], v[2:3], off
	s_wait_loadcnt 0x0
	ds_store_b64 v52, v[67:68]
.LBB88_13:                              ;   in Loop: Header=BB88_11 Depth=3
	s_wait_alu 0xfffe
	s_or_saveexec_b32 s7, s7
	s_xor_b32 s37, s52, -1
	s_wait_alu 0xfffe
	s_xor_b32 exec_lo, exec_lo, s7
	s_cbranch_execz .LBB88_19
; %bb.14:                               ;   in Loop: Header=BB88_11 Depth=3
	s_and_saveexec_b32 s8, s37
	s_wait_alu 0xfffe
	s_xor_b32 s8, exec_lo, s8
; %bb.15:                               ;   in Loop: Header=BB88_11 Depth=3
	v_dual_mov_b32 v67, v5 :: v_dual_mov_b32 v68, v5
	ds_store_b64 v52, v[67:68]
; %bb.16:                               ;   in Loop: Header=BB88_11 Depth=3
	s_wait_alu 0xfffe
	s_and_not1_saveexec_b32 s8, s8
; %bb.17:                               ;   in Loop: Header=BB88_11 Depth=3
	ds_store_b64 v52, v[4:5]
; %bb.18:                               ;   in Loop: Header=BB88_11 Depth=3
	s_wait_alu 0xfffe
	s_or_b32 exec_lo, exec_lo, s8
.LBB88_19:                              ;   in Loop: Header=BB88_11 Depth=3
	s_delay_alu instid0(SALU_CYCLE_1) | instskip(SKIP_4) | instid1(VALU_DEP_2)
	s_or_b32 exec_lo, exec_lo, s7
	v_add_co_u32 v67, s7, v0, 16
	s_wait_alu 0xf1ff
	v_add_co_ci_u32_e64 v68, null, 0, v1, s7
	v_cmp_eq_u64_e64 s8, s[22:23], v[40:41]
	v_cmp_gt_i64_e64 s9, v[67:68], v[30:31]
	v_cmp_le_i64_e64 s7, s[10:11], v[67:68]
	s_and_b32 s53, s36, s8
	s_or_b32 s8, vcc_lo, s9
	s_wait_alu 0xfffe
	s_or_b32 s8, s8, s53
	s_wait_alu 0xfffe
	s_nor_b32 s8, s7, s8
	s_wait_alu 0xfffe
	s_and_saveexec_b32 s9, s8
	s_wait_alu 0xfffe
	s_xor_b32 s9, exec_lo, s9
	s_cbranch_execz .LBB88_21
; %bb.20:                               ;   in Loop: Header=BB88_11 Depth=3
	v_add_co_u32 v67, s8, v44, v36
	s_wait_alu 0xf1ff
	v_add_co_ci_u32_e64 v68, null, v45, v37, s8
	global_load_b64 v[67:68], v[67:68], off
	s_wait_loadcnt 0x0
	ds_store_b64 v52, v[67:68] offset:128
.LBB88_21:                              ;   in Loop: Header=BB88_11 Depth=3
	s_wait_alu 0xfffe
	s_and_not1_saveexec_b32 s8, s9
	s_cbranch_execz .LBB88_27
; %bb.22:                               ;   in Loop: Header=BB88_11 Depth=3
	s_xor_b32 s9, s53, -1
	s_wait_alu 0xfffe
	s_and_saveexec_b32 s53, s9
	s_delay_alu instid0(SALU_CYCLE_1)
	s_xor_b32 s9, exec_lo, s53
; %bb.23:                               ;   in Loop: Header=BB88_11 Depth=3
	v_dual_mov_b32 v67, v5 :: v_dual_mov_b32 v68, v5
	ds_store_b64 v52, v[67:68] offset:128
; %bb.24:                               ;   in Loop: Header=BB88_11 Depth=3
	s_wait_alu 0xfffe
	s_and_not1_saveexec_b32 s9, s9
; %bb.25:                               ;   in Loop: Header=BB88_11 Depth=3
	ds_store_b64 v52, v[4:5] offset:128
; %bb.26:                               ;   in Loop: Header=BB88_11 Depth=3
	s_wait_alu 0xfffe
	s_or_b32 exec_lo, exec_lo, s9
.LBB88_27:                              ;   in Loop: Header=BB88_11 Depth=3
	s_wait_alu 0xfffe
	s_or_b32 exec_lo, exec_lo, s8
	v_cmp_eq_u64_e64 s8, s[22:23], v[38:39]
	v_cmp_gt_i64_e64 s9, v[0:1], v[32:33]
	s_and_b32 s8, s36, s8
	s_or_b32 s9, s4, s9
	s_wait_alu 0xfffe
	s_or_b32 s9, s9, s8
	s_wait_alu 0xfffe
	s_nor_b32 s6, s6, s9
	s_wait_alu 0xfffe
	s_and_saveexec_b32 s9, s6
	s_wait_alu 0xfffe
	s_xor_b32 s6, exec_lo, s9
	s_cbranch_execz .LBB88_29
; %bb.28:                               ;   in Loop: Header=BB88_11 Depth=3
	global_load_b64 v[0:1], v[2:3], off offset:128
	s_wait_loadcnt 0x0
	ds_store_b64 v52, v[0:1] offset:4096
.LBB88_29:                              ;   in Loop: Header=BB88_11 Depth=3
	s_wait_alu 0xfffe
	s_and_not1_saveexec_b32 s6, s6
	s_cbranch_execz .LBB88_35
; %bb.30:                               ;   in Loop: Header=BB88_11 Depth=3
	s_xor_b32 s8, s8, -1
	s_wait_alu 0xfffe
	s_and_saveexec_b32 s9, s8
	s_wait_alu 0xfffe
	s_xor_b32 s8, exec_lo, s9
; %bb.31:                               ;   in Loop: Header=BB88_11 Depth=3
	v_dual_mov_b32 v0, v5 :: v_dual_mov_b32 v1, v5
	ds_store_b64 v52, v[0:1] offset:4096
; %bb.32:                               ;   in Loop: Header=BB88_11 Depth=3
	s_wait_alu 0xfffe
	s_and_not1_saveexec_b32 s8, s8
; %bb.33:                               ;   in Loop: Header=BB88_11 Depth=3
	ds_store_b64 v52, v[4:5] offset:4096
; %bb.34:                               ;   in Loop: Header=BB88_11 Depth=3
	s_wait_alu 0xfffe
	s_or_b32 exec_lo, exec_lo, s8
.LBB88_35:                              ;   in Loop: Header=BB88_11 Depth=3
	s_wait_alu 0xfffe
	s_or_b32 exec_lo, exec_lo, s6
	s_or_b32 s5, s4, s5
	s_wait_alu 0xfffe
	s_or_b32 s5, s5, s52
	s_wait_alu 0xfffe
	s_nor_b32 s5, s7, s5
	s_wait_alu 0xfffe
	s_and_saveexec_b32 s6, s5
	s_wait_alu 0xfffe
	s_xor_b32 s6, exec_lo, s6
	s_cbranch_execz .LBB88_37
; %bb.36:                               ;   in Loop: Header=BB88_11 Depth=3
	v_add_co_u32 v0, s5, v44, v36
	s_wait_alu 0xf1ff
	v_add_co_ci_u32_e64 v1, null, v45, v37, s5
	global_load_b64 v[0:1], v[0:1], off offset:128
	s_wait_loadcnt 0x0
	ds_store_b64 v52, v[0:1] offset:4224
.LBB88_37:                              ;   in Loop: Header=BB88_11 Depth=3
	s_wait_alu 0xfffe
	s_and_not1_saveexec_b32 s5, s6
	s_cbranch_execz .LBB88_43
; %bb.38:                               ;   in Loop: Header=BB88_11 Depth=3
	s_and_saveexec_b32 s6, s37
	s_wait_alu 0xfffe
	s_xor_b32 s6, exec_lo, s6
; %bb.39:                               ;   in Loop: Header=BB88_11 Depth=3
	v_dual_mov_b32 v0, v5 :: v_dual_mov_b32 v1, v5
	ds_store_b64 v52, v[0:1] offset:4224
; %bb.40:                               ;   in Loop: Header=BB88_11 Depth=3
	s_wait_alu 0xfffe
	s_and_not1_saveexec_b32 s6, s6
; %bb.41:                               ;   in Loop: Header=BB88_11 Depth=3
	ds_store_b64 v52, v[4:5] offset:4224
; %bb.42:                               ;   in Loop: Header=BB88_11 Depth=3
	s_wait_alu 0xfffe
	s_or_b32 exec_lo, exec_lo, s6
.LBB88_43:                              ;   in Loop: Header=BB88_11 Depth=3
	s_wait_alu 0xfffe
	s_or_b32 exec_lo, exec_lo, s5
	v_add_co_u32 v0, s5, v49, s22
	s_wait_alu 0xf1ff
	v_add_co_ci_u32_e64 v1, null, 0, s23, s5
	v_add_co_u32 v2, s6, v46, v10
	s_wait_alu 0xf1ff
	v_add_co_ci_u32_e64 v3, null, v47, v11, s6
	s_delay_alu instid0(VALU_DEP_3)
	v_cmp_le_i64_e64 s5, s[10:11], v[0:1]
	s_nor_b32 s6, s5, s0
	s_wait_alu 0xfffe
	s_and_saveexec_b32 s7, s6
	s_wait_alu 0xfffe
	s_xor_b32 s6, exec_lo, s7
	s_cbranch_execz .LBB88_45
; %bb.44:                               ;   in Loop: Header=BB88_11 Depth=3
	global_load_b64 v[67:68], v[2:3], off offset:-128
	s_wait_loadcnt 0x0
	ds_store_b64 v53, v[67:68]
.LBB88_45:                              ;   in Loop: Header=BB88_11 Depth=3
	s_wait_alu 0xfffe
	s_and_not1_saveexec_b32 s6, s6
; %bb.46:                               ;   in Loop: Header=BB88_11 Depth=3
	v_dual_mov_b32 v67, v5 :: v_dual_mov_b32 v68, v5
	ds_store_b64 v53, v[67:68]
; %bb.47:                               ;   in Loop: Header=BB88_11 Depth=3
	s_wait_alu 0xfffe
	s_or_b32 exec_lo, exec_lo, s6
	s_nor_b32 s5, s5, s1
	s_wait_alu 0xfffe
	s_and_saveexec_b32 s6, s5
	s_wait_alu 0xfffe
	s_xor_b32 s5, exec_lo, s6
	s_cbranch_execz .LBB88_49
; %bb.48:                               ;   in Loop: Header=BB88_11 Depth=3
	global_load_b64 v[2:3], v[2:3], off
	s_wait_loadcnt 0x0
	ds_store_b64 v53, v[2:3] offset:128
.LBB88_49:                              ;   in Loop: Header=BB88_11 Depth=3
	s_wait_alu 0xfffe
	s_and_not1_saveexec_b32 s5, s5
; %bb.50:                               ;   in Loop: Header=BB88_11 Depth=3
	v_dual_mov_b32 v2, v5 :: v_dual_mov_b32 v3, v5
	ds_store_b64 v53, v[2:3] offset:128
; %bb.51:                               ;   in Loop: Header=BB88_11 Depth=3
	s_wait_alu 0xfffe
	s_or_b32 exec_lo, exec_lo, s5
	v_cmp_le_i64_e64 s5, s[48:49], v[0:1]
	v_add_co_u32 v0, s6, v46, v6
	s_wait_alu 0xf1ff
	v_add_co_ci_u32_e64 v1, null, v47, v7, s6
	s_nor_b32 s6, s5, s0
	s_wait_alu 0xfffe
	s_and_saveexec_b32 s7, s6
	s_wait_alu 0xfffe
	s_xor_b32 s6, exec_lo, s7
	s_cbranch_execz .LBB88_53
; %bb.52:                               ;   in Loop: Header=BB88_11 Depth=3
	global_load_b64 v[2:3], v[0:1], off offset:-128
	s_wait_loadcnt 0x0
	ds_store_b64 v53, v[2:3] offset:4096
.LBB88_53:                              ;   in Loop: Header=BB88_11 Depth=3
	s_wait_alu 0xfffe
	s_and_not1_saveexec_b32 s6, s6
; %bb.54:                               ;   in Loop: Header=BB88_11 Depth=3
	v_dual_mov_b32 v2, v5 :: v_dual_mov_b32 v3, v5
	ds_store_b64 v53, v[2:3] offset:4096
; %bb.55:                               ;   in Loop: Header=BB88_11 Depth=3
	s_wait_alu 0xfffe
	s_or_b32 exec_lo, exec_lo, s6
	s_nor_b32 s5, s5, s1
	s_wait_alu 0xfffe
	s_and_saveexec_b32 s6, s5
	s_wait_alu 0xfffe
	s_xor_b32 s5, exec_lo, s6
	s_cbranch_execz .LBB88_57
; %bb.56:                               ;   in Loop: Header=BB88_11 Depth=3
	global_load_b64 v[0:1], v[0:1], off
	s_wait_loadcnt 0x0
	ds_store_b64 v53, v[0:1] offset:4224
.LBB88_57:                              ;   in Loop: Header=BB88_11 Depth=3
	s_wait_alu 0xfffe
	s_and_not1_saveexec_b32 s5, s5
	s_cbranch_execz .LBB88_10
; %bb.58:                               ;   in Loop: Header=BB88_11 Depth=3
	v_dual_mov_b32 v0, v5 :: v_dual_mov_b32 v1, v5
	ds_store_b64 v53, v[0:1] offset:4224
	s_branch .LBB88_10
.LBB88_59:                              ;   in Loop: Header=BB88_8 Depth=2
	v_mul_lo_u32 v2, s29, v30
	v_mul_lo_u32 v3, s28, v31
	v_mad_co_u64_u32 v[0:1], null, s28, v30, 0
	v_cmp_gt_i32_e32 vcc_lo, s38, v30
	s_delay_alu instid0(VALU_DEP_2) | instskip(NEXT) | instid1(VALU_DEP_1)
	v_add3_u32 v1, v1, v3, v2
	v_lshlrev_b64_e32 v[0:1], 3, v[0:1]
	s_wait_alu 0xfffe
	s_delay_alu instid0(VALU_DEP_1) | instskip(SKIP_1) | instid1(VALU_DEP_2)
	v_add_co_u32 v0, s4, s20, v0
	s_wait_alu 0xf1ff
	v_add_co_ci_u32_e64 v1, null, s21, v1, s4
	s_and_b32 s4, s2, vcc_lo
	s_wait_alu 0xfffe
	s_and_saveexec_b32 s5, s4
	s_cbranch_execz .LBB88_61
; %bb.60:                               ;   in Loop: Header=BB88_8 Depth=2
	v_add_co_u32 v2, s4, v0, v12
	s_wait_alu 0xf1ff
	v_add_co_ci_u32_e64 v3, null, v1, v13, s4
	v_mul_f32_e32 v33, v66, v21
	global_load_b64 v[31:32], v[2:3], off
	v_fma_f32 v33, v65, v20, -v33
	s_wait_loadcnt 0x0
	s_delay_alu instid0(VALU_DEP_1) | instskip(NEXT) | instid1(VALU_DEP_1)
	v_dual_mul_f32 v34, v66, v20 :: v_dual_add_f32 v31, v31, v33
	v_fmac_f32_e32 v34, v65, v21
	s_delay_alu instid0(VALU_DEP_1)
	v_add_f32_e32 v32, v34, v32
	global_store_b64 v[2:3], v[31:32], off
.LBB88_61:                              ;   in Loop: Header=BB88_8 Depth=2
	s_wait_alu 0xfffe
	s_or_b32 exec_lo, exec_lo, s5
	s_and_b32 s5, s3, vcc_lo
	s_wait_alu 0xfffe
	s_and_saveexec_b32 s4, s5
	s_cbranch_execz .LBB88_63
; %bb.62:                               ;   in Loop: Header=BB88_8 Depth=2
	v_add_co_u32 v0, vcc_lo, v0, v18
	s_wait_alu 0xfffd
	v_add_co_ci_u32_e64 v1, null, v1, v19, vcc_lo
	v_mul_f32_e32 v31, v64, v21
	v_mul_f32_e32 v32, v64, v20
	global_load_b64 v[2:3], v[0:1], off
	v_fma_f32 v31, v63, v20, -v31
	v_fmac_f32_e32 v32, v63, v21
	s_wait_loadcnt 0x0
	s_delay_alu instid0(VALU_DEP_2) | instskip(NEXT) | instid1(VALU_DEP_2)
	v_add_f32_e32 v2, v2, v31
	v_add_f32_e32 v3, v32, v3
	global_store_b64 v[0:1], v[2:3], off
.LBB88_63:                              ;   in Loop: Header=BB88_8 Depth=2
	s_wait_alu 0xfffe
	s_or_b32 exec_lo, exec_lo, s4
	v_add_nc_u32_e32 v2, 16, v30
	s_delay_alu instid0(VALU_DEP_1) | instskip(SKIP_3) | instid1(VALU_DEP_4)
	v_ashrrev_i32_e32 v3, 31, v2
	v_mul_lo_u32 v30, s29, v2
	v_mad_co_u64_u32 v[0:1], null, s28, v2, 0
	v_cmp_gt_i32_e32 vcc_lo, s38, v2
	v_mul_lo_u32 v3, s28, v3
	s_delay_alu instid0(VALU_DEP_1) | instskip(NEXT) | instid1(VALU_DEP_1)
	v_add3_u32 v1, v1, v3, v30
	v_lshlrev_b64_e32 v[0:1], 3, v[0:1]
	s_delay_alu instid0(VALU_DEP_1) | instskip(SKIP_1) | instid1(VALU_DEP_2)
	v_add_co_u32 v0, s4, s20, v0
	s_wait_alu 0xf1ff
	v_add_co_ci_u32_e64 v1, null, s21, v1, s4
	s_and_b32 s4, s2, vcc_lo
	s_wait_alu 0xfffe
	s_and_saveexec_b32 s5, s4
	s_cbranch_execz .LBB88_65
; %bb.64:                               ;   in Loop: Header=BB88_8 Depth=2
	v_add_co_u32 v2, s4, v0, v12
	s_wait_alu 0xf1ff
	v_add_co_ci_u32_e64 v3, null, v1, v13, s4
	v_mul_f32_e32 v33, v62, v20
	global_load_b64 v[30:31], v[2:3], off
	v_fmac_f32_e32 v33, v61, v21
	s_wait_loadcnt 0x0
	s_delay_alu instid0(VALU_DEP_1) | instskip(NEXT) | instid1(VALU_DEP_1)
	v_dual_mul_f32 v32, v62, v21 :: v_dual_add_f32 v31, v33, v31
	v_fma_f32 v32, v61, v20, -v32
	s_delay_alu instid0(VALU_DEP_1)
	v_add_f32_e32 v30, v30, v32
	global_store_b64 v[2:3], v[30:31], off
.LBB88_65:                              ;   in Loop: Header=BB88_8 Depth=2
	s_wait_alu 0xfffe
	s_or_b32 exec_lo, exec_lo, s5
	s_and_b32 s5, s3, vcc_lo
	s_wait_alu 0xfffe
	s_and_saveexec_b32 s4, s5
	s_cbranch_execz .LBB88_7
; %bb.66:                               ;   in Loop: Header=BB88_8 Depth=2
	v_add_co_u32 v0, vcc_lo, v0, v18
	s_wait_alu 0xfffd
	v_add_co_ci_u32_e64 v1, null, v1, v19, vcc_lo
	v_mul_f32_e32 v30, v29, v21
	global_load_b64 v[2:3], v[0:1], off
	v_fma_f32 v30, v60, v20, -v30
	s_wait_loadcnt 0x0
	s_delay_alu instid0(VALU_DEP_1) | instskip(NEXT) | instid1(VALU_DEP_1)
	v_dual_mul_f32 v29, v29, v20 :: v_dual_add_f32 v2, v2, v30
	v_fmac_f32_e32 v29, v60, v21
	s_delay_alu instid0(VALU_DEP_1)
	v_add_f32_e32 v3, v29, v3
	global_store_b64 v[0:1], v[2:3], off
	s_branch .LBB88_7
.LBB88_67:
	s_nop 0
	s_sendmsg sendmsg(MSG_DEALLOC_VGPRS)
	s_endpgm
	.section	.rodata,"a",@progbits
	.p2align	6, 0x0
	.amdhsa_kernel _ZL30rocblas_trmm_outofplace_kernelI19rocblas_complex_numIfELi32ELi2ELb0ELb0ELb1ELb0EPKS1_S2_S1_Ev17rocblas_diagonal_iiT6_lPT7_lllS7_lllPT8_llli
		.amdhsa_group_segment_fixed_size 16384
		.amdhsa_private_segment_fixed_size 0
		.amdhsa_kernarg_size 392
		.amdhsa_user_sgpr_count 2
		.amdhsa_user_sgpr_dispatch_ptr 0
		.amdhsa_user_sgpr_queue_ptr 0
		.amdhsa_user_sgpr_kernarg_segment_ptr 1
		.amdhsa_user_sgpr_dispatch_id 0
		.amdhsa_user_sgpr_private_segment_size 0
		.amdhsa_wavefront_size32 1
		.amdhsa_uses_dynamic_stack 0
		.amdhsa_enable_private_segment 0
		.amdhsa_system_sgpr_workgroup_id_x 1
		.amdhsa_system_sgpr_workgroup_id_y 1
		.amdhsa_system_sgpr_workgroup_id_z 1
		.amdhsa_system_sgpr_workgroup_info 0
		.amdhsa_system_vgpr_workitem_id 1
		.amdhsa_next_free_vgpr 101
		.amdhsa_next_free_sgpr 54
		.amdhsa_reserve_vcc 1
		.amdhsa_float_round_mode_32 0
		.amdhsa_float_round_mode_16_64 0
		.amdhsa_float_denorm_mode_32 3
		.amdhsa_float_denorm_mode_16_64 3
		.amdhsa_fp16_overflow 0
		.amdhsa_workgroup_processor_mode 1
		.amdhsa_memory_ordered 1
		.amdhsa_forward_progress 1
		.amdhsa_inst_pref_size 60
		.amdhsa_round_robin_scheduling 0
		.amdhsa_exception_fp_ieee_invalid_op 0
		.amdhsa_exception_fp_denorm_src 0
		.amdhsa_exception_fp_ieee_div_zero 0
		.amdhsa_exception_fp_ieee_overflow 0
		.amdhsa_exception_fp_ieee_underflow 0
		.amdhsa_exception_fp_ieee_inexact 0
		.amdhsa_exception_int_div_zero 0
	.end_amdhsa_kernel
	.section	.text._ZL30rocblas_trmm_outofplace_kernelI19rocblas_complex_numIfELi32ELi2ELb0ELb0ELb1ELb0EPKS1_S2_S1_Ev17rocblas_diagonal_iiT6_lPT7_lllS7_lllPT8_llli,"axG",@progbits,_ZL30rocblas_trmm_outofplace_kernelI19rocblas_complex_numIfELi32ELi2ELb0ELb0ELb1ELb0EPKS1_S2_S1_Ev17rocblas_diagonal_iiT6_lPT7_lllS7_lllPT8_llli,comdat
.Lfunc_end88:
	.size	_ZL30rocblas_trmm_outofplace_kernelI19rocblas_complex_numIfELi32ELi2ELb0ELb0ELb1ELb0EPKS1_S2_S1_Ev17rocblas_diagonal_iiT6_lPT7_lllS7_lllPT8_llli, .Lfunc_end88-_ZL30rocblas_trmm_outofplace_kernelI19rocblas_complex_numIfELi32ELi2ELb0ELb0ELb1ELb0EPKS1_S2_S1_Ev17rocblas_diagonal_iiT6_lPT7_lllS7_lllPT8_llli
                                        ; -- End function
	.set _ZL30rocblas_trmm_outofplace_kernelI19rocblas_complex_numIfELi32ELi2ELb0ELb0ELb1ELb0EPKS1_S2_S1_Ev17rocblas_diagonal_iiT6_lPT7_lllS7_lllPT8_llli.num_vgpr, 101
	.set _ZL30rocblas_trmm_outofplace_kernelI19rocblas_complex_numIfELi32ELi2ELb0ELb0ELb1ELb0EPKS1_S2_S1_Ev17rocblas_diagonal_iiT6_lPT7_lllS7_lllPT8_llli.num_agpr, 0
	.set _ZL30rocblas_trmm_outofplace_kernelI19rocblas_complex_numIfELi32ELi2ELb0ELb0ELb1ELb0EPKS1_S2_S1_Ev17rocblas_diagonal_iiT6_lPT7_lllS7_lllPT8_llli.numbered_sgpr, 54
	.set _ZL30rocblas_trmm_outofplace_kernelI19rocblas_complex_numIfELi32ELi2ELb0ELb0ELb1ELb0EPKS1_S2_S1_Ev17rocblas_diagonal_iiT6_lPT7_lllS7_lllPT8_llli.num_named_barrier, 0
	.set _ZL30rocblas_trmm_outofplace_kernelI19rocblas_complex_numIfELi32ELi2ELb0ELb0ELb1ELb0EPKS1_S2_S1_Ev17rocblas_diagonal_iiT6_lPT7_lllS7_lllPT8_llli.private_seg_size, 0
	.set _ZL30rocblas_trmm_outofplace_kernelI19rocblas_complex_numIfELi32ELi2ELb0ELb0ELb1ELb0EPKS1_S2_S1_Ev17rocblas_diagonal_iiT6_lPT7_lllS7_lllPT8_llli.uses_vcc, 1
	.set _ZL30rocblas_trmm_outofplace_kernelI19rocblas_complex_numIfELi32ELi2ELb0ELb0ELb1ELb0EPKS1_S2_S1_Ev17rocblas_diagonal_iiT6_lPT7_lllS7_lllPT8_llli.uses_flat_scratch, 0
	.set _ZL30rocblas_trmm_outofplace_kernelI19rocblas_complex_numIfELi32ELi2ELb0ELb0ELb1ELb0EPKS1_S2_S1_Ev17rocblas_diagonal_iiT6_lPT7_lllS7_lllPT8_llli.has_dyn_sized_stack, 0
	.set _ZL30rocblas_trmm_outofplace_kernelI19rocblas_complex_numIfELi32ELi2ELb0ELb0ELb1ELb0EPKS1_S2_S1_Ev17rocblas_diagonal_iiT6_lPT7_lllS7_lllPT8_llli.has_recursion, 0
	.set _ZL30rocblas_trmm_outofplace_kernelI19rocblas_complex_numIfELi32ELi2ELb0ELb0ELb1ELb0EPKS1_S2_S1_Ev17rocblas_diagonal_iiT6_lPT7_lllS7_lllPT8_llli.has_indirect_call, 0
	.section	.AMDGPU.csdata,"",@progbits
; Kernel info:
; codeLenInByte = 7644
; TotalNumSgprs: 56
; NumVgprs: 101
; ScratchSize: 0
; MemoryBound: 1
; FloatMode: 240
; IeeeMode: 1
; LDSByteSize: 16384 bytes/workgroup (compile time only)
; SGPRBlocks: 0
; VGPRBlocks: 12
; NumSGPRsForWavesPerEU: 56
; NumVGPRsForWavesPerEU: 101
; Occupancy: 12
; WaveLimiterHint : 0
; COMPUTE_PGM_RSRC2:SCRATCH_EN: 0
; COMPUTE_PGM_RSRC2:USER_SGPR: 2
; COMPUTE_PGM_RSRC2:TRAP_HANDLER: 0
; COMPUTE_PGM_RSRC2:TGID_X_EN: 1
; COMPUTE_PGM_RSRC2:TGID_Y_EN: 1
; COMPUTE_PGM_RSRC2:TGID_Z_EN: 1
; COMPUTE_PGM_RSRC2:TIDIG_COMP_CNT: 1
	.section	.text._ZL30rocblas_trmm_outofplace_kernelI19rocblas_complex_numIfELi32ELi2ELb0ELb0ELb1ELb0ES1_KS1_S1_Ev17rocblas_diagonal_iiT6_lPT7_lllS6_lllPT8_llli,"axG",@progbits,_ZL30rocblas_trmm_outofplace_kernelI19rocblas_complex_numIfELi32ELi2ELb0ELb0ELb1ELb0ES1_KS1_S1_Ev17rocblas_diagonal_iiT6_lPT7_lllS6_lllPT8_llli,comdat
	.globl	_ZL30rocblas_trmm_outofplace_kernelI19rocblas_complex_numIfELi32ELi2ELb0ELb0ELb1ELb0ES1_KS1_S1_Ev17rocblas_diagonal_iiT6_lPT7_lllS6_lllPT8_llli ; -- Begin function _ZL30rocblas_trmm_outofplace_kernelI19rocblas_complex_numIfELi32ELi2ELb0ELb0ELb1ELb0ES1_KS1_S1_Ev17rocblas_diagonal_iiT6_lPT7_lllS6_lllPT8_llli
	.p2align	8
	.type	_ZL30rocblas_trmm_outofplace_kernelI19rocblas_complex_numIfELi32ELi2ELb0ELb0ELb1ELb0ES1_KS1_S1_Ev17rocblas_diagonal_iiT6_lPT7_lllS6_lllPT8_llli,@function
_ZL30rocblas_trmm_outofplace_kernelI19rocblas_complex_numIfELi32ELi2ELb0ELb0ELb1ELb0ES1_KS1_S1_Ev17rocblas_diagonal_iiT6_lPT7_lllS6_lllPT8_llli: ; @_ZL30rocblas_trmm_outofplace_kernelI19rocblas_complex_numIfELi32ELi2ELb0ELb0ELb1ELb0ES1_KS1_S1_Ev17rocblas_diagonal_iiT6_lPT7_lllS6_lllPT8_llli
; %bb.0:
	s_load_b32 s31, s[0:1], 0x80
	s_lshr_b32 s34, ttmp7, 16
	s_wait_kmcnt 0x0
	s_cmp_ge_u32 s34, s31
	s_cbranch_scc1 .LBB89_66
; %bb.1:
	s_load_b64 s[36:37], s[0:1], 0xc
	s_mov_b32 s35, 0
	s_wait_kmcnt 0x0
	s_or_b32 s2, s36, s37
	s_delay_alu instid0(SALU_CYCLE_1) | instskip(NEXT) | instid1(SALU_CYCLE_1)
	s_bitset0_b32 s2, 31
	s_cmp_eq_u32 s2, 0
	s_cbranch_scc1 .LBB89_66
; %bb.2:
	s_clause 0x2
	s_load_b96 s[28:30], s[0:1], 0x0
	s_load_b512 s[4:19], s[0:1], 0x20
	s_load_b256 s[20:27], s[0:1], 0x60
	s_add_nc_u64 s[38:39], s[0:1], 0x88
	v_dual_mov_b32 v5, 0 :: v_dual_and_b32 v46, 0x3ff, v0
	v_bfe_u32 v47, v0, 10, 10
	s_and_b32 s33, ttmp7, 0xffff
	s_delay_alu instid0(VALU_DEP_2) | instskip(SKIP_1) | instid1(VALU_DEP_3)
	v_lshl_add_u32 v0, ttmp9, 5, v46
	v_sub_co_u32 v52, s45, 0, v46
	v_lshl_add_u32 v17, v47, 3, 0x80
	v_sub_co_ci_u32_e64 v53, null, 0, 0, s45
	s_delay_alu instid0(VALU_DEP_4)
	v_ashrrev_i32_e32 v1, 31, v0
	v_add_nc_u32_e32 v2, 16, v0
	v_lshl_add_u32 v54, s33, 5, v47
	s_wait_kmcnt 0x0
	s_add_co_i32 s0, s30, -1
	v_mad_co_u64_u32 v[10:11], null, s16, v47, 0
	s_wait_alu 0xfffe
	s_ashr_i32 s1, s0, 31
	v_sub_co_u32 v3, vcc_lo, s29, v0
	s_wait_alu 0xfffe
	s_lshr_b32 s1, s1, 27
	v_mad_co_u64_u32 v[14:15], null, s8, v46, 0
	s_wait_alu 0xfffe
	s_add_co_i32 s0, s0, s1
	v_mad_co_u64_u32 v[6:7], null, s16, v17, 0
	s_wait_alu 0xfffe
	s_ashr_i32 s42, s0, 5
	v_cmp_gt_i32_e64 s0, s29, v0
	s_cmp_le_i32 s33, s42
	s_mov_b32 s40, s30
	s_cselect_b32 s43, -1, 0
	s_cmp_eq_u32 s28, 0x84
	s_cselect_b32 s44, -1, 0
	s_ashr_i32 s2, s29, 31
	s_lshl_b64 s[6:7], s[6:7], 3
	v_sub_co_ci_u32_e64 v4, null, s2, v1, vcc_lo
	s_lshl_b64 s[2:3], s[22:23], 3
	s_add_nc_u64 s[4:5], s[4:5], s[6:7]
	s_wait_alu 0xfffe
	s_add_nc_u64 s[20:21], s[20:21], s[2:3]
	v_cmp_gt_i64_e64 s2, 1, v[3:4]
	v_cmp_gt_i64_e64 s3, 17, v[3:4]
	v_mov_b32_e32 v4, v11
	s_lshl_b64 s[6:7], s[14:15], 3
	s_ashr_i32 s41, s30, 31
	s_add_nc_u64 s[6:7], s[12:13], s[6:7]
	s_lshl_b64 s[22:23], s[16:17], 8
	v_mad_co_u64_u32 v[8:9], null, s17, v47, v[4:5]
	v_lshlrev_b32_e32 v12, 3, v46
	s_add_nc_u64 s[12:13], s[40:41], -16
	s_lshl_b64 s[14:15], s[18:19], 3
	s_lshl_b64 s[10:11], s[10:11], 3
	s_delay_alu instid0(VALU_DEP_1) | instskip(SKIP_2) | instid1(VALU_DEP_3)
	v_dual_mov_b32 v11, v8 :: v_dual_add_nc_u32 v18, 0x80, v12
	v_or_b32_e32 v49, 0x2000, v12
	v_mov_b32_e32 v4, v15
	v_lshlrev_b64_e32 v[10:11], 3, v[10:11]
	s_delay_alu instid0(VALU_DEP_4) | instskip(NEXT) | instid1(VALU_DEP_4)
	v_mad_co_u64_u32 v[8:9], null, s8, v18, s[4:5]
	v_add_nc_u32_e32 v57, 0x1800, v49
	s_delay_alu instid0(VALU_DEP_4) | instskip(SKIP_3) | instid1(VALU_DEP_1)
	v_mad_co_u64_u32 v[15:16], null, s9, v46, v[4:5]
	v_add_nc_u32_e32 v55, 0x800, v49
	v_add_nc_u32_e32 v56, 0x1000, v49
	v_mad_co_u64_u32 v[16:17], null, s17, v17, v[7:8]
	v_dual_mov_b32 v7, v16 :: v_dual_lshlrev_b32 v48, 8, v47
	s_delay_alu instid0(VALU_DEP_1) | instskip(SKIP_3) | instid1(VALU_DEP_2)
	v_add_nc_u32_e32 v50, v48, v12
	v_lshlrev_b64_e32 v[12:13], 3, v[0:1]
	v_mov_b32_e32 v0, v9
	v_add_nc_u32_e32 v51, v49, v48
	v_mad_co_u64_u32 v[0:1], null, s9, v18, v[0:1]
	s_delay_alu instid0(VALU_DEP_4) | instskip(SKIP_3) | instid1(VALU_DEP_3)
	v_add_co_u32 v1, vcc_lo, s6, v12
	v_lshlrev_b64_e32 v[17:18], 3, v[14:15]
	s_wait_alu 0xfffd
	v_add_co_ci_u32_e64 v4, null, s7, v13, vcc_lo
	v_add_co_u32 v14, vcc_lo, 0x80, v1
	v_mov_b32_e32 v9, v0
	v_ashrrev_i32_e32 v3, 31, v2
	s_wait_alu 0xfffd
	v_add_co_ci_u32_e64 v15, null, 0, v4, vcc_lo
	v_add_co_u32 v16, vcc_lo, s4, v17
	s_wait_alu 0xfffd
	v_add_co_ci_u32_e64 v17, null, s5, v18, vcc_lo
	v_lshlrev_b64_e32 v[18:19], 3, v[2:3]
	v_cmp_gt_i32_e64 s1, s29, v2
	v_mov_b32_e32 v4, 1.0
	s_lshl_b64 s[28:29], s[8:9], 8
	s_branch .LBB89_4
.LBB89_3:                               ;   in Loop: Header=BB89_4 Depth=1
	s_add_co_i32 s34, s34, 0x10000
	s_wait_alu 0xfffe
	s_cmp_ge_u32 s34, s31
	s_cbranch_scc1 .LBB89_66
.LBB89_4:                               ; =>This Loop Header: Depth=1
                                        ;     Child Loop BB89_7 Depth 2
                                        ;       Child Loop BB89_10 Depth 3
	s_and_not1_b32 vcc_lo, exec_lo, s43
	s_wait_alu 0xfffe
	s_cbranch_vccnz .LBB89_3
; %bb.5:                                ;   in Loop: Header=BB89_4 Depth=1
	v_mad_co_u64_u32 v[20:21], null, s14, s34, v[14:15]
	s_load_b32 s45, s[38:39], 0x4
	v_mad_co_u64_u32 v[22:23], null, s10, s34, v[8:9]
	s_mul_i32 s6, s11, s34
	v_mad_co_u64_u32 v[24:25], null, s10, s34, v[16:17]
	v_mov_b32_e32 v0, v21
	s_mul_u64 s[4:5], s[26:27], s[34:35]
	s_wait_alu 0xfffe
	v_dual_mov_b32 v26, v54 :: v_dual_add_nc_u32 v23, s6, v23
	s_lshl_b64 s[4:5], s[4:5], 3
	v_mad_co_u64_u32 v[0:1], null, s15, s34, v[0:1]
	s_delay_alu instid0(VALU_DEP_4) | instskip(SKIP_3) | instid1(VALU_DEP_2)
	v_add_nc_u32_e32 v25, s6, v25
	s_wait_alu 0xfffe
	s_add_nc_u64 s[16:17], s[20:21], s[4:5]
	s_mov_b32 s47, s33
	v_mov_b32_e32 v21, v0
	s_wait_kmcnt 0x0
	s_lshl_b32 s46, s45, 5
	s_branch .LBB89_7
.LBB89_6:                               ;   in Loop: Header=BB89_7 Depth=2
	s_wait_alu 0xfffe
	s_or_b32 exec_lo, exec_lo, s4
	v_add_nc_u32_e32 v26, s46, v26
	s_add_co_i32 s47, s45, s47
	s_wait_alu 0xfffe
	s_cmp_gt_i32 s47, s42
	s_cbranch_scc1 .LBB89_3
.LBB89_7:                               ;   Parent Loop BB89_4 Depth=1
                                        ; =>  This Loop Header: Depth=2
                                        ;       Child Loop BB89_10 Depth 3
	s_wait_alu 0xfffe
	s_lshl_b32 s48, s47, 5
	s_wait_alu 0xfffe
	v_dual_mov_b32 v63, 0 :: v_dual_add_nc_u32 v28, s48, v47
	v_dual_mov_b32 v64, 0 :: v_dual_mov_b32 v61, 0
	v_dual_mov_b32 v62, 0 :: v_dual_mov_b32 v59, 0
	s_delay_alu instid0(VALU_DEP_3)
	v_ashrrev_i32_e32 v29, 31, v28
	v_dual_mov_b32 v60, 0 :: v_dual_mov_b32 v27, 0
	v_mov_b32_e32 v58, 0
	s_cmp_lt_i32 s47, 0
	s_cbranch_scc1 .LBB89_58
; %bb.8:                                ;   in Loop: Header=BB89_7 Depth=2
	v_ashrrev_i32_e32 v27, 31, v26
	v_add_co_u32 v30, vcc_lo, v28, 16
	s_wait_alu 0xfffd
	v_add_co_ci_u32_e64 v31, null, 0, v29, vcc_lo
	v_add_co_u32 v32, vcc_lo, v52, v26
	s_wait_alu 0xfffd
	v_add_co_ci_u32_e64 v33, null, v53, v27, vcc_lo
	v_lshlrev_b64_e32 v[34:35], 3, v[26:27]
	s_delay_alu instid0(VALU_DEP_3) | instskip(SKIP_1) | instid1(VALU_DEP_3)
	v_add_co_u32 v36, s5, v32, 16
	s_wait_alu 0xf1ff
	v_add_co_ci_u32_e64 v37, null, 0, v33, s5
	v_add_co_u32 v38, s5, v32, -16
	v_cmp_le_i64_e64 s4, s[40:41], v[30:31]
	v_mov_b32_e32 v41, v25
	v_mov_b32_e32 v43, v23
	v_dual_mov_b32 v45, v21 :: v_dual_mov_b32 v58, 0
	s_wait_alu 0xf1ff
	v_add_co_ci_u32_e64 v39, null, -1, v33, s5
	v_dual_mov_b32 v27, 0 :: v_dual_mov_b32 v40, v24
	v_mov_b32_e32 v42, v22
	v_mov_b32_e32 v44, v20
	v_dual_mov_b32 v60, 0 :: v_dual_mov_b32 v59, 0
	v_dual_mov_b32 v62, 0 :: v_dual_mov_b32 v61, 0
	;; [unrolled: 1-line block ×3, first 2 shown]
	s_mov_b64 s[18:19], 0
	v_cmp_le_i32_e32 vcc_lo, s30, v28
	s_branch .LBB89_10
.LBB89_9:                               ;   in Loop: Header=BB89_10 Depth=3
	s_wait_alu 0xfffe
	s_or_b32 exec_lo, exec_lo, s5
	s_wait_dscnt 0x0
	s_barrier_signal -1
	s_barrier_wait -1
	global_inv scope:SCOPE_SE
	ds_load_b128 v[65:68], v48
	ds_load_2addr_b64 v[69:72], v49 offset1:16
	ds_load_b128 v[73:76], v48 offset:4096
	ds_load_b128 v[77:80], v48 offset:16
	;; [unrolled: 1-line block ×4, first 2 shown]
	ds_load_2addr_b64 v[85:88], v49 offset0:32 offset1:48
	ds_load_b128 v[89:92], v48 offset:4112
	v_add_co_u32 v44, s5, v44, s22
	s_wait_alu 0xf1ff
	v_add_co_ci_u32_e64 v45, null, s23, v45, s5
	v_add_co_u32 v42, s5, v42, s28
	s_wait_alu 0xf1ff
	v_add_co_ci_u32_e64 v43, null, s29, v43, s5
	v_add_co_u32 v40, s5, v40, s28
	s_add_nc_u64 s[18:19], s[18:19], 32
	v_add_co_ci_u32_e64 v41, null, s29, v41, s5
	s_wait_dscnt 0x6
	v_dual_mul_f32 v93, v66, v70 :: v_dual_mul_f32 v96, v65, v72
	v_dual_mul_f32 v94, v65, v70 :: v_dual_mul_f32 v95, v66, v72
	s_wait_dscnt 0x5
	v_mul_f32_e32 v97, v74, v70
	s_delay_alu instid0(VALU_DEP_3)
	v_fma_f32 v93, v65, v69, -v93
	v_mul_f32_e32 v70, v73, v70
	v_fmac_f32_e32 v94, v66, v69
	v_fma_f32 v65, v65, v71, -v95
	v_mul_f32_e32 v98, v74, v72
	v_mul_f32_e32 v72, v73, v72
	v_fmac_f32_e32 v96, v66, v71
	v_fma_f32 v66, v73, v69, -v97
	v_add_f32_e32 v63, v63, v93
	s_delay_alu instid0(VALU_DEP_4)
	v_dual_add_f32 v65, v61, v65 :: v_dual_fmac_f32 v72, v74, v71
	v_fmac_f32_e32 v70, v74, v69
	v_fma_f32 v69, v73, v71, -v98
	s_wait_dscnt 0x1
	v_mul_f32_e32 v73, v68, v86
	v_mul_f32_e32 v71, v67, v86
	v_add_f32_e32 v64, v64, v94
	v_add_f32_e32 v62, v62, v96
	;; [unrolled: 1-line block ×3, first 2 shown]
	v_fma_f32 v73, v67, v85, -v73
	v_dual_add_f32 v27, v27, v72 :: v_dual_add_f32 v70, v60, v70
	v_dual_fmac_f32 v71, v68, v85 :: v_dual_add_f32 v66, v59, v66
	ds_load_2addr_b64 v[58:61], v49 offset0:64 offset1:80
	v_mul_f32_e32 v74, v68, v88
	v_mul_f32_e32 v72, v67, v88
	v_add_f32_e32 v73, v63, v73
	v_dual_add_f32 v71, v64, v71 :: v_dual_mul_f32 v64, v75, v86
	s_delay_alu instid0(VALU_DEP_4)
	v_fma_f32 v63, v67, v87, -v74
	v_mul_f32_e32 v67, v76, v86
	v_fmac_f32_e32 v72, v68, v87
	s_wait_alu 0xfffe
	s_sub_co_i32 s5, s18, 32
	v_add_f32_e32 v68, v65, v63
	v_fma_f32 v63, v75, v85, -v67
	v_mul_f32_e32 v65, v76, v88
	v_add_f32_e32 v67, v62, v72
	v_mul_f32_e32 v72, v75, v88
	s_wait_alu 0xfffe
	s_cmp_ge_i32 s5, s48
	v_fma_f32 v62, v75, v87, -v65
	s_wait_dscnt 0x0
	v_mul_f32_e32 v74, v77, v59
	s_delay_alu instid0(VALU_DEP_2) | instskip(NEXT) | instid1(VALU_DEP_2)
	v_add_f32_e32 v69, v69, v62
	v_fmac_f32_e32 v74, v78, v58
	v_add_f32_e32 v66, v66, v63
	v_mul_f32_e32 v63, v78, v59
	s_delay_alu instid0(VALU_DEP_3) | instskip(NEXT) | instid1(VALU_DEP_2)
	v_dual_add_f32 v71, v71, v74 :: v_dual_mul_f32 v74, v90, v59
	v_fma_f32 v75, v77, v58, -v63
	v_mul_f32_e32 v59, v89, v59
	v_fmac_f32_e32 v72, v76, v87
	s_delay_alu instid0(VALU_DEP_2) | instskip(NEXT) | instid1(VALU_DEP_2)
	v_dual_fmac_f32 v64, v76, v85 :: v_dual_fmac_f32 v59, v90, v58
	v_dual_add_f32 v27, v27, v72 :: v_dual_add_f32 v72, v73, v75
	v_mul_f32_e32 v73, v77, v61
	s_delay_alu instid0(VALU_DEP_1) | instskip(NEXT) | instid1(VALU_DEP_4)
	v_fmac_f32_e32 v73, v78, v60
	v_add_f32_e32 v70, v70, v64
	ds_load_2addr_b64 v[62:65], v49 offset0:96 offset1:112
	v_mul_f32_e32 v76, v78, v61
	v_add_f32_e32 v67, v67, v73
	s_delay_alu instid0(VALU_DEP_2) | instskip(SKIP_1) | instid1(VALU_DEP_1)
	v_fma_f32 v75, v77, v60, -v76
	v_mul_f32_e32 v76, v89, v61
	v_fmac_f32_e32 v76, v90, v60
	s_delay_alu instid0(VALU_DEP_1) | instskip(SKIP_3) | instid1(VALU_DEP_2)
	v_add_f32_e32 v27, v27, v76
	v_fma_f32 v74, v89, v58, -v74
	v_dual_add_f32 v68, v68, v75 :: v_dual_mul_f32 v75, v90, v61
	s_wait_dscnt 0x0
	v_dual_add_f32 v73, v66, v74 :: v_dual_mul_f32 v66, v80, v63
	s_delay_alu instid0(VALU_DEP_2) | instskip(SKIP_1) | instid1(VALU_DEP_3)
	v_fma_f32 v58, v89, v60, -v75
	v_mul_f32_e32 v75, v80, v65
	v_fma_f32 v66, v79, v62, -v66
	s_delay_alu instid0(VALU_DEP_3) | instskip(NEXT) | instid1(VALU_DEP_3)
	v_dual_add_f32 v74, v69, v58 :: v_dual_mul_f32 v69, v79, v63
	v_fma_f32 v75, v79, v64, -v75
	s_delay_alu instid0(VALU_DEP_3) | instskip(SKIP_1) | instid1(VALU_DEP_4)
	v_add_f32_e32 v72, v72, v66
	v_mul_f32_e32 v66, v92, v63
	v_dual_fmac_f32 v69, v80, v62 :: v_dual_add_f32 v70, v70, v59
	ds_load_2addr_b64 v[58:61], v49 offset0:128 offset1:144
	v_mul_f32_e32 v63, v91, v63
	v_mul_f32_e32 v76, v79, v65
	v_fma_f32 v77, v91, v62, -v66
	v_mul_f32_e32 v78, v92, v65
	v_add_f32_e32 v71, v71, v69
	v_fmac_f32_e32 v63, v92, v62
	s_delay_alu instid0(VALU_DEP_4) | instskip(SKIP_3) | instid1(VALU_DEP_3)
	v_dual_fmac_f32 v76, v80, v64 :: v_dual_add_f32 v77, v73, v77
	v_mul_f32_e32 v73, v91, v65
	v_add_f32_e32 v75, v68, v75
	v_fma_f32 v62, v91, v64, -v78
	v_dual_add_f32 v78, v70, v63 :: v_dual_fmac_f32 v73, v92, v64
	s_delay_alu instid0(VALU_DEP_1) | instskip(SKIP_4) | instid1(VALU_DEP_3)
	v_dual_add_f32 v74, v74, v62 :: v_dual_add_f32 v27, v27, v73
	s_wait_dscnt 0x0
	v_mul_f32_e32 v65, v82, v59
	v_mul_f32_e32 v85, v81, v61
	v_mul_f32_e32 v70, v81, v59
	v_fma_f32 v79, v81, v58, -v65
	v_add_f32_e32 v76, v67, v76
	ds_load_b128 v[66:69], v48 offset:4128
	ds_load_2addr_b64 v[62:65], v49 offset0:160 offset1:176
	v_mul_f32_e32 v80, v82, v61
	v_fmac_f32_e32 v85, v82, v60
	v_add_f32_e32 v79, v72, v79
	s_delay_alu instid0(VALU_DEP_3) | instskip(NEXT) | instid1(VALU_DEP_1)
	v_fma_f32 v80, v81, v60, -v80
	v_dual_fmac_f32 v70, v82, v58 :: v_dual_add_f32 v75, v75, v80
	s_delay_alu instid0(VALU_DEP_1)
	v_add_f32_e32 v86, v71, v70
	ds_load_b128 v[70:73], v48 offset:4144
	s_wait_dscnt 0x2
	v_mul_f32_e32 v81, v67, v59
	v_dual_mul_f32 v59, v66, v59 :: v_dual_mul_f32 v80, v67, v61
	s_wait_dscnt 0x1
	v_dual_mul_f32 v82, v66, v61 :: v_dual_mul_f32 v61, v84, v63
	s_delay_alu instid0(VALU_DEP_3) | instskip(NEXT) | instid1(VALU_DEP_3)
	v_fma_f32 v81, v66, v58, -v81
	v_fmac_f32_e32 v59, v67, v58
	v_fma_f32 v58, v66, v60, -v80
	v_add_f32_e32 v76, v76, v85
	s_delay_alu instid0(VALU_DEP_3)
	v_dual_add_f32 v66, v77, v81 :: v_dual_add_f32 v77, v78, v59
	v_fma_f32 v78, v83, v62, -v61
	v_dual_mul_f32 v81, v69, v63 :: v_dual_fmac_f32 v82, v67, v60
	v_add_f32_e32 v67, v74, v58
	ds_load_2addr_b64 v[58:61], v49 offset0:192 offset1:208
	v_add_f32_e32 v78, v79, v78
	v_mul_f32_e32 v79, v83, v65
	v_mul_f32_e32 v74, v83, v63
	;; [unrolled: 1-line block ×3, first 2 shown]
	v_dual_mul_f32 v80, v84, v65 :: v_dual_add_f32 v27, v27, v82
	s_delay_alu instid0(VALU_DEP_4) | instskip(NEXT) | instid1(VALU_DEP_3)
	v_fmac_f32_e32 v79, v84, v64
	v_fmac_f32_e32 v63, v69, v62
	s_delay_alu instid0(VALU_DEP_3) | instskip(SKIP_1) | instid1(VALU_DEP_4)
	v_fma_f32 v80, v83, v64, -v80
	v_fmac_f32_e32 v74, v84, v62
	v_add_f32_e32 v76, v76, v79
	v_mul_f32_e32 v79, v68, v65
	v_add_f32_e32 v77, v77, v63
	v_add_f32_e32 v75, v75, v80
	v_fma_f32 v80, v68, v62, -v81
	v_mul_f32_e32 v62, v69, v65
	v_dual_add_f32 v74, v86, v74 :: v_dual_fmac_f32 v79, v69, v64
	s_wait_dscnt 0x0
	s_delay_alu instid0(VALU_DEP_3) | instskip(NEXT) | instid1(VALU_DEP_3)
	v_dual_mul_f32 v69, v0, v59 :: v_dual_add_f32 v66, v66, v80
	v_fma_f32 v68, v68, v64, -v62
	v_mul_f32_e32 v80, v1, v59
	ds_load_2addr_b64 v[62:65], v49 offset0:224 offset1:240
	v_mul_f32_e32 v81, v0, v61
	v_add_f32_e32 v67, v67, v68
	v_fma_f32 v68, v0, v58, -v80
	s_delay_alu instid0(VALU_DEP_1) | instskip(NEXT) | instid1(VALU_DEP_1)
	v_dual_fmac_f32 v69, v1, v58 :: v_dual_add_f32 v78, v78, v68
	v_add_f32_e32 v74, v74, v69
	v_dual_mul_f32 v80, v1, v61 :: v_dual_add_f32 v27, v27, v79
	v_mul_f32_e32 v68, v71, v61
	s_delay_alu instid0(VALU_DEP_2) | instskip(SKIP_2) | instid1(VALU_DEP_2)
	v_fma_f32 v0, v0, v60, -v80
	s_wait_dscnt 0x0
	v_mul_f32_e32 v80, v3, v65
	v_add_f32_e32 v0, v75, v0
	v_fmac_f32_e32 v81, v1, v60
	v_mul_f32_e32 v1, v71, v59
	s_delay_alu instid0(VALU_DEP_2) | instskip(SKIP_2) | instid1(VALU_DEP_4)
	v_add_f32_e32 v75, v76, v81
	v_mul_f32_e32 v76, v70, v61
	v_mul_f32_e32 v59, v70, v59
	v_fma_f32 v1, v70, v58, -v1
	v_mul_f32_e32 v61, v3, v63
	s_delay_alu instid0(VALU_DEP_4) | instskip(NEXT) | instid1(VALU_DEP_4)
	v_fmac_f32_e32 v76, v71, v60
	v_fmac_f32_e32 v59, v71, v58
	v_fma_f32 v58, v70, v60, -v68
	s_delay_alu instid0(VALU_DEP_3) | instskip(NEXT) | instid1(VALU_DEP_3)
	v_dual_add_f32 v70, v66, v1 :: v_dual_add_f32 v27, v27, v76
	v_dual_add_f32 v79, v77, v59 :: v_dual_mul_f32 v76, v2, v65
	v_fma_f32 v1, v2, v62, -v61
	s_delay_alu instid0(VALU_DEP_4)
	v_add_f32_e32 v71, v67, v58
	ds_load_b128 v[58:61], v48 offset:64
	ds_load_2addr_b64 v[66:69], v55 offset1:16
	v_dual_mul_f32 v77, v2, v63 :: v_dual_fmac_f32 v76, v3, v64
	v_add_f32_e32 v78, v78, v1
	v_fma_f32 v1, v2, v64, -v80
	s_delay_alu instid0(VALU_DEP_3) | instskip(NEXT) | instid1(VALU_DEP_4)
	v_dual_mul_f32 v2, v73, v63 :: v_dual_fmac_f32 v77, v3, v62
	v_dual_mul_f32 v63, v72, v63 :: v_dual_add_f32 v82, v75, v76
	s_delay_alu instid0(VALU_DEP_3) | instskip(NEXT) | instid1(VALU_DEP_3)
	v_add_f32_e32 v81, v0, v1
	v_add_f32_e32 v80, v74, v77
	s_delay_alu instid0(VALU_DEP_4)
	v_fma_f32 v74, v72, v62, -v2
	v_mul_f32_e32 v77, v73, v65
	ds_load_b128 v[0:3], v48 offset:4160
	v_fmac_f32_e32 v63, v73, v62
	v_add_f32_e32 v83, v70, v74
	v_fma_f32 v62, v72, v64, -v77
	v_mul_f32_e32 v70, v72, v65
	s_wait_dscnt 0x1
	v_mul_f32_e32 v72, v58, v67
	v_mul_f32_e32 v85, v58, v69
	ds_load_b128 v[74:77], v48 offset:80
	v_add_f32_e32 v84, v71, v62
	v_fmac_f32_e32 v70, v73, v64
	v_fmac_f32_e32 v72, v59, v66
	v_mul_f32_e32 v65, v59, v67
	s_delay_alu instid0(VALU_DEP_2) | instskip(NEXT) | instid1(VALU_DEP_2)
	v_dual_mul_f32 v73, v59, v69 :: v_dual_add_f32 v80, v80, v72
	v_fma_f32 v71, v58, v66, -v65
	s_wait_dscnt 0x1
	v_mul_f32_e32 v86, v1, v67
	s_delay_alu instid0(VALU_DEP_3) | instskip(NEXT) | instid1(VALU_DEP_3)
	v_fma_f32 v58, v58, v68, -v73
	v_add_f32_e32 v78, v78, v71
	v_add_f32_e32 v79, v79, v63
	ds_load_2addr_b64 v[62:65], v55 offset0:32 offset1:48
	v_fmac_f32_e32 v85, v59, v68
	v_dual_mul_f32 v59, v0, v67 :: v_dual_add_f32 v58, v81, v58
	v_mul_f32_e32 v67, v1, v69
	v_fma_f32 v81, v0, v66, -v86
	s_delay_alu instid0(VALU_DEP_3)
	v_fmac_f32_e32 v59, v1, v66
	s_wait_dscnt 0x0
	v_dual_mul_f32 v66, v61, v63 :: v_dual_add_f32 v27, v27, v70
	v_add_f32_e32 v82, v82, v85
	v_mul_f32_e32 v85, v0, v69
	v_fma_f32 v0, v0, v68, -v67
	ds_load_b128 v[70:73], v48 offset:4176
	v_fmac_f32_e32 v85, v1, v68
	v_fma_f32 v1, v60, v62, -v66
	ds_load_2addr_b64 v[66:69], v55 offset0:64 offset1:80
	v_dual_add_f32 v78, v78, v1 :: v_dual_add_f32 v59, v79, v59
	v_add_f32_e32 v79, v84, v0
	v_mul_f32_e32 v0, v60, v63
	s_delay_alu instid0(VALU_DEP_1) | instskip(SKIP_2) | instid1(VALU_DEP_3)
	v_dual_mul_f32 v1, v60, v65 :: v_dual_fmac_f32 v0, v61, v62
	v_add_f32_e32 v81, v83, v81
	v_mul_f32_e32 v83, v61, v65
	v_fmac_f32_e32 v1, v61, v64
	s_delay_alu instid0(VALU_DEP_4) | instskip(NEXT) | instid1(VALU_DEP_3)
	v_add_f32_e32 v80, v80, v0
	v_fma_f32 v60, v60, v64, -v83
	v_mul_f32_e32 v83, v3, v63
	v_mul_f32_e32 v63, v2, v63
	s_delay_alu instid0(VALU_DEP_3) | instskip(NEXT) | instid1(VALU_DEP_3)
	v_add_f32_e32 v58, v58, v60
	v_fma_f32 v0, v2, v62, -v83
	s_delay_alu instid0(VALU_DEP_3) | instskip(SKIP_1) | instid1(VALU_DEP_3)
	v_fmac_f32_e32 v63, v3, v62
	v_mul_f32_e32 v60, v3, v65
	v_dual_mul_f32 v62, v2, v65 :: v_dual_add_f32 v65, v81, v0
	s_delay_alu instid0(VALU_DEP_3) | instskip(NEXT) | instid1(VALU_DEP_3)
	v_add_f32_e32 v59, v59, v63
	v_fma_f32 v60, v2, v64, -v60
	s_wait_dscnt 0x0
	v_mul_f32_e32 v63, v75, v67
	v_fmac_f32_e32 v62, v3, v64
	v_mul_f32_e32 v64, v74, v67
	v_dual_mul_f32 v81, v74, v69 :: v_dual_add_f32 v60, v79, v60
	s_delay_alu instid0(VALU_DEP_4) | instskip(SKIP_3) | instid1(VALU_DEP_3)
	v_fma_f32 v63, v74, v66, -v63
	v_add_f32_e32 v27, v27, v85
	v_mul_f32_e32 v79, v75, v69
	v_fmac_f32_e32 v64, v75, v66
	v_dual_add_f32 v78, v78, v63 :: v_dual_add_f32 v27, v27, v62
	s_delay_alu instid0(VALU_DEP_3) | instskip(NEXT) | instid1(VALU_DEP_3)
	v_fma_f32 v62, v74, v68, -v79
	v_add_f32_e32 v74, v80, v64
	v_mul_f32_e32 v64, v70, v67
	v_add_f32_e32 v61, v82, v1
	ds_load_2addr_b64 v[0:3], v55 offset0:96 offset1:112
	v_fmac_f32_e32 v81, v75, v68
	v_mul_f32_e32 v63, v71, v67
	v_dual_add_f32 v67, v58, v62 :: v_dual_mul_f32 v58, v71, v69
	s_delay_alu instid0(VALU_DEP_3) | instskip(NEXT) | instid1(VALU_DEP_3)
	v_dual_fmac_f32 v64, v71, v66 :: v_dual_add_f32 v75, v61, v81
	v_fma_f32 v61, v70, v66, -v63
	v_mul_f32_e32 v66, v70, v69
	s_delay_alu instid0(VALU_DEP_4) | instskip(NEXT) | instid1(VALU_DEP_3)
	v_fma_f32 v58, v70, v68, -v58
	v_add_f32_e32 v70, v65, v61
	s_delay_alu instid0(VALU_DEP_2) | instskip(SKIP_3) | instid1(VALU_DEP_2)
	v_dual_fmac_f32 v66, v71, v68 :: v_dual_add_f32 v71, v60, v58
	s_wait_dscnt 0x0
	v_mul_f32_e32 v62, v77, v1
	v_mul_f32_e32 v80, v77, v3
	v_fma_f32 v68, v76, v0, -v62
	s_delay_alu instid0(VALU_DEP_1) | instskip(SKIP_4) | instid1(VALU_DEP_4)
	v_dual_add_f32 v78, v78, v68 :: v_dual_add_f32 v27, v27, v66
	v_mul_f32_e32 v66, v76, v3
	v_mul_f32_e32 v69, v76, v1
	v_fma_f32 v68, v76, v2, -v80
	v_mul_f32_e32 v76, v73, v1
	v_fmac_f32_e32 v66, v77, v2
	s_delay_alu instid0(VALU_DEP_4)
	v_fmac_f32_e32 v69, v77, v0
	v_add_f32_e32 v79, v59, v64
	ds_load_b128 v[58:61], v48 offset:96
	ds_load_2addr_b64 v[62:65], v55 offset0:128 offset1:144
	v_add_f32_e32 v80, v74, v69
	v_fma_f32 v74, v72, v0, -v76
	s_delay_alu instid0(VALU_DEP_1) | instskip(SKIP_2) | instid1(VALU_DEP_2)
	v_dual_mul_f32 v76, v73, v3 :: v_dual_add_f32 v83, v70, v74
	v_mul_f32_e32 v70, v72, v3
	v_dual_mul_f32 v1, v72, v1 :: v_dual_add_f32 v82, v75, v66
	v_fmac_f32_e32 v70, v73, v2
	s_delay_alu instid0(VALU_DEP_2)
	v_fmac_f32_e32 v1, v73, v0
	v_fma_f32 v0, v72, v2, -v76
	ds_load_b128 v[74:77], v48 offset:112
	s_wait_dscnt 0x1
	v_mul_f32_e32 v85, v58, v65
	v_dual_mul_f32 v72, v58, v63 :: v_dual_mul_f32 v73, v59, v65
	v_add_f32_e32 v84, v71, v0
	s_delay_alu instid0(VALU_DEP_3) | instskip(SKIP_4) | instid1(VALU_DEP_2)
	v_fmac_f32_e32 v85, v59, v64
	v_add_f32_e32 v81, v67, v68
	ds_load_b128 v[66:69], v48 offset:4192
	v_fmac_f32_e32 v72, v59, v62
	v_dual_mul_f32 v3, v59, v63 :: v_dual_add_f32 v82, v82, v85
	v_add_f32_e32 v80, v80, v72
	s_delay_alu instid0(VALU_DEP_2)
	v_fma_f32 v71, v58, v62, -v3
	v_fma_f32 v58, v58, v64, -v73
	v_add_f32_e32 v79, v79, v1
	ds_load_2addr_b64 v[0:3], v55 offset0:160 offset1:176
	v_add_f32_e32 v78, v78, v71
	v_add_f32_e32 v58, v81, v58
	s_wait_dscnt 0x1
	v_dual_mul_f32 v86, v67, v63 :: v_dual_mul_f32 v85, v66, v65
	s_delay_alu instid0(VALU_DEP_1) | instskip(SKIP_2) | instid1(VALU_DEP_4)
	v_fma_f32 v81, v66, v62, -v86
	v_mul_f32_e32 v59, v66, v63
	v_mul_f32_e32 v63, v67, v65
	v_fmac_f32_e32 v85, v67, v64
	s_delay_alu instid0(VALU_DEP_3) | instskip(NEXT) | instid1(VALU_DEP_1)
	v_fmac_f32_e32 v59, v67, v62
	v_add_f32_e32 v59, v79, v59
	s_wait_dscnt 0x0
	v_mul_f32_e32 v79, v60, v1
	s_delay_alu instid0(VALU_DEP_1) | instskip(NEXT) | instid1(VALU_DEP_1)
	v_fmac_f32_e32 v79, v61, v0
	v_add_f32_e32 v79, v80, v79
	v_mul_f32_e32 v80, v68, v3
	v_fma_f32 v62, v66, v64, -v63
	v_dual_add_f32 v66, v83, v81 :: v_dual_mul_f32 v83, v61, v3
	s_delay_alu instid0(VALU_DEP_3) | instskip(NEXT) | instid1(VALU_DEP_3)
	v_fmac_f32_e32 v80, v69, v2
	v_add_f32_e32 v67, v84, v62
	v_mul_f32_e32 v63, v61, v1
	s_delay_alu instid0(VALU_DEP_1)
	v_fma_f32 v81, v60, v0, -v63
	ds_load_2addr_b64 v[62:65], v55 offset0:192 offset1:208
	v_add_f32_e32 v27, v27, v70
	ds_load_b128 v[70:73], v48 offset:4208
	v_dual_add_f32 v78, v78, v81 :: v_dual_mul_f32 v81, v60, v3
	v_fma_f32 v60, v60, v2, -v83
	v_mul_f32_e32 v83, v69, v1
	s_delay_alu instid0(VALU_DEP_2) | instskip(NEXT) | instid1(VALU_DEP_2)
	v_dual_mul_f32 v1, v68, v1 :: v_dual_add_f32 v58, v58, v60
	v_fma_f32 v60, v68, v0, -v83
	s_delay_alu instid0(VALU_DEP_2) | instskip(SKIP_1) | instid1(VALU_DEP_3)
	v_fmac_f32_e32 v1, v69, v0
	v_mul_f32_e32 v0, v69, v3
	v_dual_add_f32 v60, v66, v60 :: v_dual_fmac_f32 v81, v61, v2
	s_delay_alu instid0(VALU_DEP_2)
	v_fma_f32 v66, v68, v2, -v0
	s_wait_dscnt 0x1
	v_mul_f32_e32 v68, v75, v63
	v_add_f32_e32 v59, v59, v1
	ds_load_2addr_b64 v[0:3], v55 offset0:224 offset1:240
	v_dual_mul_f32 v69, v74, v63 :: v_dual_add_f32 v66, v67, v66
	v_fma_f32 v67, v74, v62, -v68
	v_mul_f32_e32 v68, v75, v65
	s_delay_alu instid0(VALU_DEP_3) | instskip(NEXT) | instid1(VALU_DEP_2)
	v_fmac_f32_e32 v69, v75, v62
	v_fma_f32 v68, v74, v64, -v68
	s_delay_alu instid0(VALU_DEP_1) | instskip(SKIP_4) | instid1(VALU_DEP_2)
	v_add_f32_e32 v68, v58, v68
	v_add_f32_e32 v61, v82, v81
	s_wait_dscnt 0x1
	v_dual_mul_f32 v81, v74, v65 :: v_dual_mul_f32 v74, v71, v63
	v_dual_mul_f32 v63, v70, v63 :: v_dual_mul_f32 v58, v71, v65
	v_fmac_f32_e32 v81, v75, v64
	s_delay_alu instid0(VALU_DEP_2) | instskip(NEXT) | instid1(VALU_DEP_3)
	v_fmac_f32_e32 v63, v71, v62
	v_fma_f32 v58, v70, v64, -v58
	s_delay_alu instid0(VALU_DEP_3)
	v_add_f32_e32 v75, v61, v81
	v_fma_f32 v61, v70, v62, -v74
	v_mul_f32_e32 v74, v70, v65
	v_add_f32_e32 v27, v27, v85
	s_wait_dscnt 0x0
	v_mul_f32_e32 v62, v77, v1
	v_add_f32_e32 v70, v60, v61
	v_fmac_f32_e32 v74, v71, v64
	v_add_f32_e32 v27, v27, v80
	v_add_f32_e32 v71, v66, v58
	;; [unrolled: 1-line block ×3, first 2 shown]
	v_fma_f32 v66, v76, v0, -v62
	s_delay_alu instid0(VALU_DEP_4) | instskip(NEXT) | instid1(VALU_DEP_2)
	v_dual_mul_f32 v80, v77, v3 :: v_dual_add_f32 v27, v27, v74
	v_dual_mul_f32 v74, v76, v3 :: v_dual_add_f32 v81, v67, v66
	s_delay_alu instid0(VALU_DEP_2) | instskip(SKIP_1) | instid1(VALU_DEP_3)
	v_fma_f32 v66, v76, v2, -v80
	v_mul_f32_e32 v67, v73, v1
	v_fmac_f32_e32 v74, v77, v2
	s_delay_alu instid0(VALU_DEP_3) | instskip(SKIP_1) | instid1(VALU_DEP_4)
	v_dual_add_f32 v80, v68, v66 :: v_dual_add_f32 v69, v79, v69
	v_mul_f32_e32 v79, v76, v1
	v_fma_f32 v76, v72, v0, -v67
	s_delay_alu instid0(VALU_DEP_4) | instskip(NEXT) | instid1(VALU_DEP_3)
	v_dual_mul_f32 v1, v72, v1 :: v_dual_add_f32 v82, v75, v74
	v_fmac_f32_e32 v79, v77, v0
	s_delay_alu instid0(VALU_DEP_3)
	v_dual_add_f32 v83, v70, v76 :: v_dual_mul_f32 v70, v72, v3
	v_add_f32_e32 v78, v59, v63
	ds_load_b128 v[58:61], v48 offset:128
	ds_load_2addr_b64 v[62:65], v56 offset1:16
	v_mul_f32_e32 v77, v73, v3
	v_fmac_f32_e32 v1, v73, v0
	v_fmac_f32_e32 v70, v73, v2
	s_delay_alu instid0(VALU_DEP_3) | instskip(NEXT) | instid1(VALU_DEP_3)
	v_fma_f32 v0, v72, v2, -v77
	v_add_f32_e32 v78, v78, v1
	ds_load_b128 v[74:77], v48 offset:144
	v_add_f32_e32 v84, v71, v0
	s_wait_dscnt 0x1
	v_mul_f32_e32 v3, v59, v63
	v_dual_mul_f32 v73, v59, v65 :: v_dual_mul_f32 v72, v58, v63
	v_mul_f32_e32 v85, v58, v65
	s_delay_alu instid0(VALU_DEP_3) | instskip(NEXT) | instid1(VALU_DEP_3)
	v_fma_f32 v71, v58, v62, -v3
	v_fma_f32 v58, v58, v64, -v73
	ds_load_2addr_b64 v[0:3], v56 offset0:32 offset1:48
	v_fmac_f32_e32 v72, v59, v62
	v_dual_fmac_f32 v85, v59, v64 :: v_dual_add_f32 v58, v80, v58
	v_add_f32_e32 v79, v69, v79
	ds_load_b128 v[66:69], v48 offset:4224
	v_add_f32_e32 v82, v82, v85
	s_wait_dscnt 0x0
	v_mul_f32_e32 v86, v67, v63
	v_mul_f32_e32 v59, v66, v63
	;; [unrolled: 1-line block ×4, first 2 shown]
	s_delay_alu instid0(VALU_DEP_4) | instskip(NEXT) | instid1(VALU_DEP_4)
	v_fma_f32 v80, v66, v62, -v86
	v_fmac_f32_e32 v59, v67, v62
	s_delay_alu instid0(VALU_DEP_4) | instskip(SKIP_3) | instid1(VALU_DEP_4)
	v_fma_f32 v62, v66, v64, -v63
	v_mul_f32_e32 v63, v61, v1
	v_fmac_f32_e32 v85, v67, v64
	v_dual_add_f32 v66, v83, v80 :: v_dual_mul_f32 v83, v61, v3
	v_add_f32_e32 v67, v84, v62
	s_delay_alu instid0(VALU_DEP_4) | instskip(SKIP_3) | instid1(VALU_DEP_2)
	v_fma_f32 v80, v60, v0, -v63
	ds_load_2addr_b64 v[62:65], v56 offset0:64 offset1:80
	v_add_f32_e32 v81, v81, v71
	v_dual_add_f32 v59, v78, v59 :: v_dual_mul_f32 v78, v60, v1
	v_dual_add_f32 v80, v81, v80 :: v_dual_mul_f32 v81, v60, v3
	v_fma_f32 v60, v60, v2, -v83
	v_mul_f32_e32 v83, v69, v1
	s_delay_alu instid0(VALU_DEP_4) | instskip(NEXT) | instid1(VALU_DEP_3)
	v_dual_fmac_f32 v78, v61, v0 :: v_dual_mul_f32 v1, v68, v1
	v_dual_add_f32 v27, v27, v70 :: v_dual_add_f32 v58, v58, v60
	s_delay_alu instid0(VALU_DEP_3) | instskip(SKIP_1) | instid1(VALU_DEP_4)
	v_fma_f32 v60, v68, v0, -v83
	v_fmac_f32_e32 v81, v61, v2
	v_fmac_f32_e32 v1, v69, v0
	v_mul_f32_e32 v0, v69, v3
	s_delay_alu instid0(VALU_DEP_4)
	v_add_f32_e32 v60, v66, v60
	v_add_f32_e32 v79, v79, v72
	ds_load_b128 v[70:73], v48 offset:4240
	v_add_f32_e32 v59, v59, v1
	v_fma_f32 v66, v68, v2, -v0
	v_dual_add_f32 v61, v82, v81 :: v_dual_add_f32 v78, v79, v78
	v_mul_f32_e32 v79, v68, v3
	s_wait_dscnt 0x1
	v_mul_f32_e32 v68, v75, v63
	v_dual_add_f32 v66, v67, v66 :: v_dual_mul_f32 v81, v74, v65
	s_delay_alu instid0(VALU_DEP_3) | instskip(SKIP_4) | instid1(VALU_DEP_3)
	v_fmac_f32_e32 v79, v69, v2
	ds_load_2addr_b64 v[0:3], v56 offset0:96 offset1:112
	v_fma_f32 v67, v74, v62, -v68
	v_dual_mul_f32 v68, v75, v65 :: v_dual_mul_f32 v69, v74, v63
	v_fmac_f32_e32 v81, v75, v64
	v_add_f32_e32 v67, v80, v67
	s_delay_alu instid0(VALU_DEP_3) | instskip(NEXT) | instid1(VALU_DEP_4)
	v_fma_f32 v68, v74, v64, -v68
	v_fmac_f32_e32 v69, v75, v62
	s_wait_dscnt 0x1
	v_mul_f32_e32 v74, v71, v63
	v_mul_f32_e32 v63, v70, v63
	v_dual_add_f32 v75, v61, v81 :: v_dual_add_f32 v68, v58, v68
	v_mul_f32_e32 v58, v71, v65
	s_delay_alu instid0(VALU_DEP_4) | instskip(NEXT) | instid1(VALU_DEP_4)
	v_fma_f32 v61, v70, v62, -v74
	v_dual_fmac_f32 v63, v71, v62 :: v_dual_mul_f32 v74, v70, v65
	v_add_f32_e32 v27, v27, v85
	s_delay_alu instid0(VALU_DEP_4)
	v_fma_f32 v58, v70, v64, -v58
	v_add_f32_e32 v69, v78, v69
	s_wait_dscnt 0x0
	v_mul_f32_e32 v62, v77, v1
	v_add_f32_e32 v70, v60, v61
	v_add_f32_e32 v78, v59, v63
	v_dual_fmac_f32 v74, v71, v64 :: v_dual_add_f32 v71, v66, v58
	s_delay_alu instid0(VALU_DEP_4)
	v_fma_f32 v66, v76, v0, -v62
	ds_load_b128 v[58:61], v48 offset:160
	ds_load_2addr_b64 v[62:65], v56 offset0:128 offset1:144
	v_add_f32_e32 v27, v27, v79
	v_dual_mul_f32 v79, v76, v1 :: v_dual_mul_f32 v80, v77, v3
	v_add_f32_e32 v81, v67, v66
	v_mul_f32_e32 v67, v73, v1
	s_delay_alu instid0(VALU_DEP_4) | instskip(NEXT) | instid1(VALU_DEP_4)
	v_dual_add_f32 v27, v27, v74 :: v_dual_mul_f32 v74, v76, v3
	v_fmac_f32_e32 v79, v77, v0
	v_fma_f32 v66, v76, v2, -v80
	v_mul_f32_e32 v1, v72, v1
	v_fma_f32 v76, v72, v0, -v67
	v_fmac_f32_e32 v74, v77, v2
	v_mul_f32_e32 v77, v73, v3
	v_dual_add_f32 v79, v69, v79 :: v_dual_add_f32 v80, v68, v66
	v_fmac_f32_e32 v1, v73, v0
	ds_load_b128 v[66:69], v48 offset:4256
	v_add_f32_e32 v83, v70, v76
	v_fma_f32 v0, v72, v2, -v77
	v_mul_f32_e32 v70, v72, v3
	s_wait_dscnt 0x1
	v_dual_mul_f32 v3, v59, v63 :: v_dual_add_f32 v78, v78, v1
	v_mul_f32_e32 v72, v58, v63
	v_add_f32_e32 v84, v71, v0
	v_fmac_f32_e32 v70, v73, v2
	s_delay_alu instid0(VALU_DEP_4)
	v_fma_f32 v71, v58, v62, -v3
	ds_load_2addr_b64 v[0:3], v56 offset0:160 offset1:176
	v_mul_f32_e32 v73, v59, v65
	v_dual_mul_f32 v85, v58, v65 :: v_dual_add_f32 v82, v75, v74
	ds_load_b128 v[74:77], v48 offset:176
	v_fmac_f32_e32 v72, v59, v62
	v_fma_f32 v58, v58, v64, -v73
	v_fmac_f32_e32 v85, v59, v64
	v_add_f32_e32 v81, v81, v71
	s_wait_dscnt 0x2
	v_mul_f32_e32 v86, v67, v63
	v_mul_f32_e32 v59, v66, v63
	v_dual_mul_f32 v63, v67, v65 :: v_dual_add_f32 v58, v80, v58
	v_add_f32_e32 v82, v82, v85
	s_delay_alu instid0(VALU_DEP_4) | instskip(NEXT) | instid1(VALU_DEP_4)
	v_fma_f32 v80, v66, v62, -v86
	v_fmac_f32_e32 v59, v67, v62
	s_delay_alu instid0(VALU_DEP_4)
	v_fma_f32 v62, v66, v64, -v63
	v_mul_f32_e32 v85, v66, v65
	v_add_f32_e32 v79, v79, v72
	s_wait_dscnt 0x1
	v_dual_mul_f32 v63, v61, v1 :: v_dual_add_f32 v66, v83, v80
	v_dual_add_f32 v59, v78, v59 :: v_dual_mul_f32 v78, v60, v1
	v_mul_f32_e32 v83, v61, v3
	s_delay_alu instid0(VALU_DEP_3)
	v_fma_f32 v80, v60, v0, -v63
	v_fmac_f32_e32 v85, v67, v64
	v_add_f32_e32 v67, v84, v62
	ds_load_2addr_b64 v[62:65], v56 offset0:192 offset1:208
	v_fmac_f32_e32 v78, v61, v0
	v_dual_add_f32 v80, v81, v80 :: v_dual_mul_f32 v81, v60, v3
	v_fma_f32 v60, v60, v2, -v83
	v_mul_f32_e32 v83, v69, v1
	s_delay_alu instid0(VALU_DEP_4) | instskip(NEXT) | instid1(VALU_DEP_3)
	v_dual_mul_f32 v1, v68, v1 :: v_dual_add_f32 v78, v79, v78
	v_dual_mul_f32 v79, v68, v3 :: v_dual_add_f32 v58, v58, v60
	s_delay_alu instid0(VALU_DEP_3) | instskip(NEXT) | instid1(VALU_DEP_3)
	v_fma_f32 v60, v68, v0, -v83
	v_fmac_f32_e32 v1, v69, v0
	v_mul_f32_e32 v0, v69, v3
	v_fmac_f32_e32 v81, v61, v2
	s_delay_alu instid0(VALU_DEP_4) | instskip(NEXT) | instid1(VALU_DEP_4)
	v_dual_fmac_f32 v79, v69, v2 :: v_dual_add_f32 v60, v66, v60
	v_add_f32_e32 v59, v59, v1
	s_delay_alu instid0(VALU_DEP_4)
	v_fma_f32 v66, v68, v2, -v0
	ds_load_2addr_b64 v[0:3], v56 offset0:224 offset1:240
	s_wait_dscnt 0x1
	v_dual_add_f32 v61, v82, v81 :: v_dual_mul_f32 v68, v75, v63
	v_dual_mul_f32 v81, v74, v65 :: v_dual_add_f32 v66, v67, v66
	v_mul_f32_e32 v69, v74, v63
	s_delay_alu instid0(VALU_DEP_3) | instskip(SKIP_1) | instid1(VALU_DEP_4)
	v_fma_f32 v67, v74, v62, -v68
	v_mul_f32_e32 v68, v75, v65
	v_fmac_f32_e32 v81, v75, v64
	s_delay_alu instid0(VALU_DEP_4) | instskip(NEXT) | instid1(VALU_DEP_4)
	v_fmac_f32_e32 v69, v75, v62
	v_add_f32_e32 v67, v80, v67
	s_delay_alu instid0(VALU_DEP_4) | instskip(NEXT) | instid1(VALU_DEP_4)
	v_fma_f32 v68, v74, v64, -v68
	v_add_f32_e32 v75, v61, v81
	s_delay_alu instid0(VALU_DEP_4) | instskip(NEXT) | instid1(VALU_DEP_3)
	v_add_f32_e32 v69, v78, v69
	v_add_f32_e32 v68, v58, v68
	s_wait_dscnt 0x0
	v_dual_mul_f32 v80, v77, v3 :: v_dual_add_f32 v27, v27, v70
	ds_load_b128 v[70:73], v48 offset:4272
	v_add_f32_e32 v27, v27, v85
	s_delay_alu instid0(VALU_DEP_1) | instskip(SKIP_2) | instid1(VALU_DEP_1)
	v_add_f32_e32 v27, v27, v79
	v_mul_f32_e32 v79, v76, v1
	s_wait_dscnt 0x0
	v_dual_fmac_f32 v79, v77, v0 :: v_dual_mul_f32 v74, v71, v63
	v_dual_mul_f32 v63, v70, v63 :: v_dual_mul_f32 v58, v71, v65
	s_delay_alu instid0(VALU_DEP_2) | instskip(NEXT) | instid1(VALU_DEP_3)
	v_add_f32_e32 v79, v69, v79
	v_fma_f32 v61, v70, v62, -v74
	s_delay_alu instid0(VALU_DEP_3) | instskip(NEXT) | instid1(VALU_DEP_4)
	v_dual_fmac_f32 v63, v71, v62 :: v_dual_mul_f32 v74, v70, v65
	v_fma_f32 v58, v70, v64, -v58
	v_mul_f32_e32 v62, v77, v1
	s_delay_alu instid0(VALU_DEP_4) | instskip(NEXT) | instid1(VALU_DEP_4)
	v_add_f32_e32 v70, v60, v61
	v_add_f32_e32 v78, v59, v63
	s_delay_alu instid0(VALU_DEP_4) | instskip(NEXT) | instid1(VALU_DEP_4)
	v_dual_fmac_f32 v74, v71, v64 :: v_dual_add_f32 v71, v66, v58
	v_fma_f32 v66, v76, v0, -v62
	ds_load_b128 v[58:61], v48 offset:192
	ds_load_2addr_b64 v[62:65], v57 offset1:16
	v_dual_add_f32 v27, v27, v74 :: v_dual_mul_f32 v74, v76, v3
	v_add_f32_e32 v81, v67, v66
	v_mul_f32_e32 v67, v73, v1
	v_fma_f32 v66, v76, v2, -v80
	s_delay_alu instid0(VALU_DEP_4) | instskip(SKIP_1) | instid1(VALU_DEP_4)
	v_dual_mul_f32 v1, v72, v1 :: v_dual_fmac_f32 v74, v77, v2
	v_mul_f32_e32 v77, v73, v3
	v_fma_f32 v76, v72, v0, -v67
	s_delay_alu instid0(VALU_DEP_3)
	v_dual_add_f32 v80, v68, v66 :: v_dual_fmac_f32 v1, v73, v0
	ds_load_b128 v[66:69], v48 offset:4288
	v_fma_f32 v0, v72, v2, -v77
	v_dual_add_f32 v83, v70, v76 :: v_dual_mul_f32 v70, v72, v3
	v_add_f32_e32 v78, v78, v1
	v_add_f32_e32 v82, v75, v74
	s_delay_alu instid0(VALU_DEP_4) | instskip(SKIP_4) | instid1(VALU_DEP_3)
	v_add_f32_e32 v84, v71, v0
	s_wait_dscnt 0x1
	v_dual_mul_f32 v3, v59, v63 :: v_dual_fmac_f32 v70, v73, v2
	v_dual_mul_f32 v72, v58, v63 :: v_dual_mul_f32 v73, v59, v65
	v_mul_f32_e32 v85, v58, v65
	v_fma_f32 v71, v58, v62, -v3
	ds_load_2addr_b64 v[0:3], v57 offset0:32 offset1:48
	ds_load_b128 v[74:77], v48 offset:208
	v_fmac_f32_e32 v72, v59, v62
	v_fma_f32 v58, v58, v64, -v73
	v_fmac_f32_e32 v85, v59, v64
	v_add_f32_e32 v81, v81, v71
	v_add_f32_e32 v27, v27, v70
	s_wait_dscnt 0x2
	v_mul_f32_e32 v86, v67, v63
	v_mul_f32_e32 v59, v66, v63
	v_dual_mul_f32 v63, v67, v65 :: v_dual_add_f32 v58, v80, v58
	v_add_f32_e32 v82, v82, v85
	s_delay_alu instid0(VALU_DEP_4) | instskip(NEXT) | instid1(VALU_DEP_4)
	v_fma_f32 v80, v66, v62, -v86
	v_fmac_f32_e32 v59, v67, v62
	v_mul_f32_e32 v85, v66, v65
	v_fma_f32 v62, v66, v64, -v63
	v_add_f32_e32 v79, v79, v72
	s_delay_alu instid0(VALU_DEP_4) | instskip(NEXT) | instid1(VALU_DEP_4)
	v_dual_add_f32 v66, v83, v80 :: v_dual_add_f32 v59, v78, v59
	v_fmac_f32_e32 v85, v67, v64
	s_wait_dscnt 0x1
	v_mul_f32_e32 v63, v61, v1
	v_add_f32_e32 v67, v84, v62
	v_dual_mul_f32 v78, v60, v1 :: v_dual_mul_f32 v83, v61, v3
	ds_load_b128 v[70:73], v48 offset:4304
	v_fma_f32 v80, v60, v0, -v63
	ds_load_2addr_b64 v[62:65], v57 offset0:64 offset1:80
	v_dual_fmac_f32 v78, v61, v0 :: v_dual_add_f32 v27, v27, v85
	v_dual_add_f32 v80, v81, v80 :: v_dual_mul_f32 v81, v60, v3
	v_fma_f32 v60, v60, v2, -v83
	v_mul_f32_e32 v83, v69, v1
	s_delay_alu instid0(VALU_DEP_4) | instskip(NEXT) | instid1(VALU_DEP_3)
	v_dual_mul_f32 v1, v68, v1 :: v_dual_add_f32 v78, v79, v78
	v_dual_mul_f32 v79, v68, v3 :: v_dual_add_f32 v58, v58, v60
	s_delay_alu instid0(VALU_DEP_3) | instskip(NEXT) | instid1(VALU_DEP_3)
	v_fma_f32 v60, v68, v0, -v83
	v_fmac_f32_e32 v1, v69, v0
	v_mul_f32_e32 v0, v69, v3
	v_fmac_f32_e32 v81, v61, v2
	s_delay_alu instid0(VALU_DEP_4) | instskip(NEXT) | instid1(VALU_DEP_4)
	v_dual_fmac_f32 v79, v69, v2 :: v_dual_add_f32 v60, v66, v60
	v_add_f32_e32 v59, v59, v1
	s_delay_alu instid0(VALU_DEP_4)
	v_fma_f32 v66, v68, v2, -v0
	s_wait_dscnt 0x0
	v_mul_f32_e32 v68, v75, v63
	ds_load_2addr_b64 v[0:3], v57 offset0:96 offset1:112
	v_add_f32_e32 v61, v82, v81
	v_dual_mul_f32 v81, v74, v65 :: v_dual_add_f32 v66, v67, v66
	v_fma_f32 v67, v74, v62, -v68
	v_dual_mul_f32 v68, v75, v65 :: v_dual_mul_f32 v69, v74, v63
	s_delay_alu instid0(VALU_DEP_3) | instskip(SKIP_1) | instid1(VALU_DEP_4)
	v_fmac_f32_e32 v81, v75, v64
	v_add_f32_e32 v27, v27, v79
	v_add_f32_e32 v67, v80, v67
	s_delay_alu instid0(VALU_DEP_4) | instskip(SKIP_3) | instid1(VALU_DEP_4)
	v_fma_f32 v68, v74, v64, -v68
	v_mul_f32_e32 v74, v71, v63
	v_mul_f32_e32 v63, v70, v63
	v_fmac_f32_e32 v69, v75, v62
	v_dual_add_f32 v75, v61, v81 :: v_dual_add_f32 v68, v58, v68
	v_mul_f32_e32 v58, v71, v65
	v_fma_f32 v61, v70, v62, -v74
	v_dual_fmac_f32 v63, v71, v62 :: v_dual_mul_f32 v74, v70, v65
	s_wait_dscnt 0x0
	v_mul_f32_e32 v62, v77, v1
	v_fma_f32 v58, v70, v64, -v58
	v_add_f32_e32 v69, v78, v69
	v_add_f32_e32 v70, v60, v61
	;; [unrolled: 1-line block ×3, first 2 shown]
	s_delay_alu instid0(VALU_DEP_4)
	v_dual_fmac_f32 v74, v71, v64 :: v_dual_add_f32 v71, v66, v58
	v_fma_f32 v66, v76, v0, -v62
	ds_load_b128 v[58:61], v48 offset:224
	ds_load_2addr_b64 v[62:65], v57 offset0:128 offset1:144
	v_dual_mul_f32 v79, v76, v1 :: v_dual_mul_f32 v80, v77, v3
	v_dual_add_f32 v27, v27, v74 :: v_dual_mul_f32 v74, v76, v3
	s_delay_alu instid0(VALU_DEP_2) | instskip(NEXT) | instid1(VALU_DEP_3)
	v_fmac_f32_e32 v79, v77, v0
	v_fma_f32 v76, v76, v2, -v80
	v_add_f32_e32 v80, v67, v66
	v_mul_f32_e32 v66, v73, v1
	v_fmac_f32_e32 v74, v77, v2
	v_add_f32_e32 v79, v69, v79
	v_add_f32_e32 v81, v68, v76
	v_mul_f32_e32 v1, v72, v1
	v_fma_f32 v76, v72, v0, -v66
	v_add_f32_e32 v82, v75, v74
	v_mul_f32_e32 v74, v73, v3
	ds_load_b128 v[66:69], v48 offset:4320
	v_fmac_f32_e32 v1, v73, v0
	v_dual_add_f32 v83, v70, v76 :: v_dual_mul_f32 v70, v72, v3
	v_fma_f32 v0, v72, v2, -v74
	s_wait_dscnt 0x1
	s_delay_alu instid0(VALU_DEP_3) | instskip(SKIP_3) | instid1(VALU_DEP_4)
	v_dual_mul_f32 v3, v59, v63 :: v_dual_add_f32 v78, v78, v1
	v_mul_f32_e32 v72, v59, v65
	v_fmac_f32_e32 v70, v73, v2
	v_add_f32_e32 v84, v71, v0
	v_fma_f32 v71, v58, v62, -v3
	ds_load_2addr_b64 v[0:3], v57 offset0:160 offset1:176
	ds_load_b128 v[74:77], v48 offset:240
	v_mul_f32_e32 v85, v58, v63
	v_mul_f32_e32 v86, v58, v65
	v_fma_f32 v58, v58, v64, -v72
	v_dual_add_f32 v80, v80, v71 :: v_dual_add_f32 v27, v27, v70
	s_delay_alu instid0(VALU_DEP_4) | instskip(NEXT) | instid1(VALU_DEP_4)
	v_fmac_f32_e32 v85, v59, v62
	v_fmac_f32_e32 v86, v59, v64
	s_wait_dscnt 0x2
	v_mul_f32_e32 v87, v67, v63
	v_dual_mul_f32 v59, v66, v63 :: v_dual_add_f32 v58, v81, v58
	v_mul_f32_e32 v81, v67, v65
	v_add_f32_e32 v79, v79, v85
	s_delay_alu instid0(VALU_DEP_4) | instskip(NEXT) | instid1(VALU_DEP_4)
	v_fma_f32 v63, v66, v62, -v87
	v_fmac_f32_e32 v59, v67, v62
	v_mul_f32_e32 v85, v66, v65
	v_fma_f32 v62, v66, v64, -v81
	ds_load_b128 v[70:73], v48 offset:4336
	v_add_f32_e32 v83, v83, v63
	s_wait_dscnt 0x2
	v_mul_f32_e32 v63, v61, v1
	v_add_f32_e32 v59, v78, v59
	v_dual_fmac_f32 v85, v67, v64 :: v_dual_mul_f32 v66, v60, v1
	v_add_f32_e32 v67, v84, v62
	s_delay_alu instid0(VALU_DEP_4)
	v_fma_f32 v78, v60, v0, -v63
	ds_load_2addr_b64 v[62:65], v57 offset0:192 offset1:208
	v_mul_f32_e32 v81, v61, v3
	v_fmac_f32_e32 v66, v61, v0
	v_add_f32_e32 v82, v82, v86
	v_add_f32_e32 v78, v80, v78
	v_mul_f32_e32 v80, v60, v3
	v_fma_f32 v60, v60, v2, -v81
	v_dual_add_f32 v66, v79, v66 :: v_dual_mul_f32 v79, v69, v1
	s_delay_alu instid0(VALU_DEP_3) | instskip(NEXT) | instid1(VALU_DEP_3)
	v_dual_mul_f32 v1, v68, v1 :: v_dual_fmac_f32 v80, v61, v2
	v_add_f32_e32 v58, v58, v60
	v_mul_f32_e32 v60, v69, v3
	s_delay_alu instid0(VALU_DEP_4) | instskip(NEXT) | instid1(VALU_DEP_4)
	v_fma_f32 v61, v68, v0, -v79
	v_fmac_f32_e32 v1, v69, v0
	v_dual_add_f32 v79, v82, v80 :: v_dual_mul_f32 v80, v68, v3
	s_delay_alu instid0(VALU_DEP_4) | instskip(NEXT) | instid1(VALU_DEP_4)
	v_fma_f32 v0, v68, v2, -v60
	v_add_f32_e32 v60, v83, v61
	s_delay_alu instid0(VALU_DEP_4)
	v_add_f32_e32 v59, v59, v1
	s_wait_dscnt 0x0
	v_dual_mul_f32 v61, v75, v63 :: v_dual_fmac_f32 v80, v69, v2
	v_add_f32_e32 v67, v67, v0
	ds_load_2addr_b64 v[0:3], v57 offset0:224 offset1:240
	v_mul_f32_e32 v68, v74, v63
	v_fma_f32 v61, v74, v62, -v61
	v_mul_f32_e32 v69, v75, v65
	v_add_f32_e32 v27, v27, v85
	s_wait_loadcnt_dscnt 0x0
	s_delay_alu instid0(VALU_DEP_3) | instskip(SKIP_3) | instid1(VALU_DEP_4)
	v_dual_fmac_f32 v68, v75, v62 :: v_dual_add_f32 v61, v78, v61
	v_mul_f32_e32 v78, v71, v63
	v_fma_f32 v69, v74, v64, -v69
	v_mul_f32_e32 v63, v70, v63
	v_add_f32_e32 v66, v66, v68
	v_add_f32_e32 v27, v27, v80
	v_fma_f32 v68, v70, v62, -v78
	v_add_f32_e32 v58, v58, v69
	v_mul_f32_e32 v69, v71, v65
	v_dual_mul_f32 v80, v74, v65 :: v_dual_fmac_f32 v63, v71, v62
	s_delay_alu instid0(VALU_DEP_4) | instskip(SKIP_1) | instid1(VALU_DEP_4)
	v_add_f32_e32 v60, v60, v68
	v_mul_f32_e32 v62, v70, v65
	v_fma_f32 v65, v70, v64, -v69
	v_mul_f32_e32 v68, v77, v1
	v_dual_mul_f32 v69, v76, v1 :: v_dual_add_f32 v70, v59, v63
	s_delay_alu instid0(VALU_DEP_4) | instskip(NEXT) | instid1(VALU_DEP_4)
	v_fmac_f32_e32 v62, v71, v64
	v_add_f32_e32 v65, v67, v65
	s_delay_alu instid0(VALU_DEP_4) | instskip(NEXT) | instid1(VALU_DEP_4)
	v_fma_f32 v59, v76, v0, -v68
	v_fmac_f32_e32 v69, v77, v0
	v_dual_mul_f32 v67, v77, v3 :: v_dual_fmac_f32 v80, v75, v64
	v_dual_mul_f32 v68, v76, v3 :: v_dual_add_f32 v27, v27, v62
	s_delay_alu instid0(VALU_DEP_3) | instskip(NEXT) | instid1(VALU_DEP_3)
	v_dual_add_f32 v63, v61, v59 :: v_dual_add_f32 v64, v66, v69
	v_fma_f32 v59, v76, v2, -v67
	v_mul_f32_e32 v62, v73, v1
	v_dual_mul_f32 v1, v72, v1 :: v_dual_mul_f32 v66, v73, v3
	v_dual_mul_f32 v3, v72, v3 :: v_dual_add_f32 v74, v79, v80
	s_delay_alu instid0(VALU_DEP_4) | instskip(NEXT) | instid1(VALU_DEP_4)
	v_dual_fmac_f32 v68, v77, v2 :: v_dual_add_f32 v61, v58, v59
	v_fma_f32 v58, v72, v0, -v62
	s_delay_alu instid0(VALU_DEP_4) | instskip(SKIP_1) | instid1(VALU_DEP_4)
	v_fmac_f32_e32 v1, v73, v0
	v_fma_f32 v0, v72, v2, -v66
	v_dual_fmac_f32 v3, v73, v2 :: v_dual_add_f32 v62, v74, v68
	s_delay_alu instid0(VALU_DEP_3) | instskip(NEXT) | instid1(VALU_DEP_2)
	v_dual_add_f32 v59, v60, v58 :: v_dual_add_f32 v60, v70, v1
	v_dual_add_f32 v58, v65, v0 :: v_dual_add_f32 v27, v27, v3
	s_barrier_signal -1
	s_barrier_wait -1
	global_inv scope:SCOPE_SE
	s_cbranch_scc1 .LBB89_58
.LBB89_10:                              ;   Parent Loop BB89_4 Depth=1
                                        ;     Parent Loop BB89_7 Depth=2
                                        ; =>    This Inner Loop Header: Depth=3
	s_wait_alu 0xfffe
	v_add_co_u32 v0, s5, v46, s18
	s_wait_alu 0xf1ff
	v_add_co_ci_u32_e64 v1, null, 0, s19, s5
	v_cmp_eq_u64_e64 s7, s[18:19], v[32:33]
	s_delay_alu instid0(VALU_DEP_2)
	v_cmp_gt_i64_e64 s5, v[0:1], v[28:29]
	v_cmp_le_i64_e64 s6, s[40:41], v[0:1]
	s_and_b32 s50, s44, s7
	v_add_co_u32 v2, s7, v40, v34
	s_or_b32 s8, vcc_lo, s5
	v_add_co_ci_u32_e64 v3, null, v41, v35, s7
	s_wait_alu 0xfffe
	s_or_b32 s7, s8, s50
	s_wait_alu 0xfffe
	s_nor_b32 s7, s6, s7
	s_wait_alu 0xfffe
	s_and_saveexec_b32 s8, s7
	s_wait_alu 0xfffe
	s_xor_b32 s7, exec_lo, s8
	s_cbranch_execz .LBB89_12
; %bb.11:                               ;   in Loop: Header=BB89_10 Depth=3
	global_load_b64 v[65:66], v[2:3], off
	s_wait_loadcnt 0x0
	ds_store_b64 v50, v[65:66]
.LBB89_12:                              ;   in Loop: Header=BB89_10 Depth=3
	s_wait_alu 0xfffe
	s_or_saveexec_b32 s7, s7
	s_xor_b32 s49, s50, -1
	s_wait_alu 0xfffe
	s_xor_b32 exec_lo, exec_lo, s7
	s_cbranch_execz .LBB89_18
; %bb.13:                               ;   in Loop: Header=BB89_10 Depth=3
	s_and_saveexec_b32 s8, s49
	s_wait_alu 0xfffe
	s_xor_b32 s8, exec_lo, s8
; %bb.14:                               ;   in Loop: Header=BB89_10 Depth=3
	v_dual_mov_b32 v65, v5 :: v_dual_mov_b32 v66, v5
	ds_store_b64 v50, v[65:66]
; %bb.15:                               ;   in Loop: Header=BB89_10 Depth=3
	s_wait_alu 0xfffe
	s_and_not1_saveexec_b32 s8, s8
; %bb.16:                               ;   in Loop: Header=BB89_10 Depth=3
	ds_store_b64 v50, v[4:5]
; %bb.17:                               ;   in Loop: Header=BB89_10 Depth=3
	s_wait_alu 0xfffe
	s_or_b32 exec_lo, exec_lo, s8
.LBB89_18:                              ;   in Loop: Header=BB89_10 Depth=3
	s_delay_alu instid0(SALU_CYCLE_1) | instskip(SKIP_4) | instid1(VALU_DEP_2)
	s_or_b32 exec_lo, exec_lo, s7
	v_add_co_u32 v65, s7, v0, 16
	s_wait_alu 0xf1ff
	v_add_co_ci_u32_e64 v66, null, 0, v1, s7
	v_cmp_eq_u64_e64 s8, s[18:19], v[38:39]
	v_cmp_gt_i64_e64 s9, v[65:66], v[28:29]
	v_cmp_le_i64_e64 s7, s[40:41], v[65:66]
	s_and_b32 s51, s44, s8
	s_or_b32 s8, vcc_lo, s9
	s_wait_alu 0xfffe
	s_or_b32 s8, s8, s51
	s_wait_alu 0xfffe
	s_nor_b32 s8, s7, s8
	s_wait_alu 0xfffe
	s_and_saveexec_b32 s9, s8
	s_wait_alu 0xfffe
	s_xor_b32 s9, exec_lo, s9
	s_cbranch_execz .LBB89_20
; %bb.19:                               ;   in Loop: Header=BB89_10 Depth=3
	v_add_co_u32 v65, s8, v42, v34
	s_wait_alu 0xf1ff
	v_add_co_ci_u32_e64 v66, null, v43, v35, s8
	global_load_b64 v[65:66], v[65:66], off
	s_wait_loadcnt 0x0
	ds_store_b64 v50, v[65:66] offset:128
.LBB89_20:                              ;   in Loop: Header=BB89_10 Depth=3
	s_wait_alu 0xfffe
	s_and_not1_saveexec_b32 s8, s9
	s_cbranch_execz .LBB89_26
; %bb.21:                               ;   in Loop: Header=BB89_10 Depth=3
	s_xor_b32 s9, s51, -1
	s_wait_alu 0xfffe
	s_and_saveexec_b32 s51, s9
	s_delay_alu instid0(SALU_CYCLE_1)
	s_xor_b32 s9, exec_lo, s51
; %bb.22:                               ;   in Loop: Header=BB89_10 Depth=3
	v_dual_mov_b32 v65, v5 :: v_dual_mov_b32 v66, v5
	ds_store_b64 v50, v[65:66] offset:128
; %bb.23:                               ;   in Loop: Header=BB89_10 Depth=3
	s_wait_alu 0xfffe
	s_and_not1_saveexec_b32 s9, s9
; %bb.24:                               ;   in Loop: Header=BB89_10 Depth=3
	ds_store_b64 v50, v[4:5] offset:128
; %bb.25:                               ;   in Loop: Header=BB89_10 Depth=3
	s_wait_alu 0xfffe
	s_or_b32 exec_lo, exec_lo, s9
.LBB89_26:                              ;   in Loop: Header=BB89_10 Depth=3
	s_wait_alu 0xfffe
	s_or_b32 exec_lo, exec_lo, s8
	v_cmp_eq_u64_e64 s8, s[18:19], v[36:37]
	v_cmp_gt_i64_e64 s9, v[0:1], v[30:31]
	s_and_b32 s8, s44, s8
	s_or_b32 s9, s4, s9
	s_wait_alu 0xfffe
	s_or_b32 s9, s9, s8
	s_wait_alu 0xfffe
	s_nor_b32 s6, s6, s9
	s_wait_alu 0xfffe
	s_and_saveexec_b32 s9, s6
	s_wait_alu 0xfffe
	s_xor_b32 s6, exec_lo, s9
	s_cbranch_execz .LBB89_28
; %bb.27:                               ;   in Loop: Header=BB89_10 Depth=3
	global_load_b64 v[0:1], v[2:3], off offset:128
	s_wait_loadcnt 0x0
	ds_store_b64 v50, v[0:1] offset:4096
.LBB89_28:                              ;   in Loop: Header=BB89_10 Depth=3
	s_wait_alu 0xfffe
	s_and_not1_saveexec_b32 s6, s6
	s_cbranch_execz .LBB89_34
; %bb.29:                               ;   in Loop: Header=BB89_10 Depth=3
	s_xor_b32 s8, s8, -1
	s_wait_alu 0xfffe
	s_and_saveexec_b32 s9, s8
	s_wait_alu 0xfffe
	s_xor_b32 s8, exec_lo, s9
; %bb.30:                               ;   in Loop: Header=BB89_10 Depth=3
	v_dual_mov_b32 v0, v5 :: v_dual_mov_b32 v1, v5
	ds_store_b64 v50, v[0:1] offset:4096
; %bb.31:                               ;   in Loop: Header=BB89_10 Depth=3
	s_wait_alu 0xfffe
	s_and_not1_saveexec_b32 s8, s8
; %bb.32:                               ;   in Loop: Header=BB89_10 Depth=3
	ds_store_b64 v50, v[4:5] offset:4096
; %bb.33:                               ;   in Loop: Header=BB89_10 Depth=3
	s_wait_alu 0xfffe
	s_or_b32 exec_lo, exec_lo, s8
.LBB89_34:                              ;   in Loop: Header=BB89_10 Depth=3
	s_wait_alu 0xfffe
	s_or_b32 exec_lo, exec_lo, s6
	s_or_b32 s5, s4, s5
	s_wait_alu 0xfffe
	s_or_b32 s5, s5, s50
	s_wait_alu 0xfffe
	s_nor_b32 s5, s7, s5
	s_wait_alu 0xfffe
	s_and_saveexec_b32 s6, s5
	s_wait_alu 0xfffe
	s_xor_b32 s6, exec_lo, s6
	s_cbranch_execz .LBB89_36
; %bb.35:                               ;   in Loop: Header=BB89_10 Depth=3
	v_add_co_u32 v0, s5, v42, v34
	s_wait_alu 0xf1ff
	v_add_co_ci_u32_e64 v1, null, v43, v35, s5
	global_load_b64 v[0:1], v[0:1], off offset:128
	s_wait_loadcnt 0x0
	ds_store_b64 v50, v[0:1] offset:4224
.LBB89_36:                              ;   in Loop: Header=BB89_10 Depth=3
	s_wait_alu 0xfffe
	s_and_not1_saveexec_b32 s5, s6
	s_cbranch_execz .LBB89_42
; %bb.37:                               ;   in Loop: Header=BB89_10 Depth=3
	s_and_saveexec_b32 s6, s49
	s_wait_alu 0xfffe
	s_xor_b32 s6, exec_lo, s6
; %bb.38:                               ;   in Loop: Header=BB89_10 Depth=3
	v_dual_mov_b32 v0, v5 :: v_dual_mov_b32 v1, v5
	ds_store_b64 v50, v[0:1] offset:4224
; %bb.39:                               ;   in Loop: Header=BB89_10 Depth=3
	s_wait_alu 0xfffe
	s_and_not1_saveexec_b32 s6, s6
; %bb.40:                               ;   in Loop: Header=BB89_10 Depth=3
	ds_store_b64 v50, v[4:5] offset:4224
; %bb.41:                               ;   in Loop: Header=BB89_10 Depth=3
	s_wait_alu 0xfffe
	s_or_b32 exec_lo, exec_lo, s6
.LBB89_42:                              ;   in Loop: Header=BB89_10 Depth=3
	s_wait_alu 0xfffe
	s_or_b32 exec_lo, exec_lo, s5
	v_add_co_u32 v0, s5, v47, s18
	s_wait_alu 0xf1ff
	v_add_co_ci_u32_e64 v1, null, 0, s19, s5
	v_add_co_u32 v2, s6, v44, v10
	s_wait_alu 0xf1ff
	v_add_co_ci_u32_e64 v3, null, v45, v11, s6
	s_delay_alu instid0(VALU_DEP_3)
	v_cmp_le_i64_e64 s5, s[40:41], v[0:1]
	s_nor_b32 s6, s5, s2
	s_wait_alu 0xfffe
	s_and_saveexec_b32 s7, s6
	s_wait_alu 0xfffe
	s_xor_b32 s6, exec_lo, s7
	s_cbranch_execz .LBB89_44
; %bb.43:                               ;   in Loop: Header=BB89_10 Depth=3
	global_load_b64 v[65:66], v[2:3], off offset:-128
	s_wait_loadcnt 0x0
	ds_store_b64 v51, v[65:66]
.LBB89_44:                              ;   in Loop: Header=BB89_10 Depth=3
	s_wait_alu 0xfffe
	s_and_not1_saveexec_b32 s6, s6
; %bb.45:                               ;   in Loop: Header=BB89_10 Depth=3
	v_dual_mov_b32 v65, v5 :: v_dual_mov_b32 v66, v5
	ds_store_b64 v51, v[65:66]
; %bb.46:                               ;   in Loop: Header=BB89_10 Depth=3
	s_wait_alu 0xfffe
	s_or_b32 exec_lo, exec_lo, s6
	s_nor_b32 s5, s5, s3
	s_wait_alu 0xfffe
	s_and_saveexec_b32 s6, s5
	s_wait_alu 0xfffe
	s_xor_b32 s5, exec_lo, s6
	s_cbranch_execz .LBB89_48
; %bb.47:                               ;   in Loop: Header=BB89_10 Depth=3
	global_load_b64 v[2:3], v[2:3], off
	s_wait_loadcnt 0x0
	ds_store_b64 v51, v[2:3] offset:128
.LBB89_48:                              ;   in Loop: Header=BB89_10 Depth=3
	s_wait_alu 0xfffe
	s_and_not1_saveexec_b32 s5, s5
; %bb.49:                               ;   in Loop: Header=BB89_10 Depth=3
	v_dual_mov_b32 v2, v5 :: v_dual_mov_b32 v3, v5
	ds_store_b64 v51, v[2:3] offset:128
; %bb.50:                               ;   in Loop: Header=BB89_10 Depth=3
	s_wait_alu 0xfffe
	s_or_b32 exec_lo, exec_lo, s5
	v_cmp_le_i64_e64 s5, s[12:13], v[0:1]
	v_add_co_u32 v0, s6, v44, v6
	s_wait_alu 0xf1ff
	v_add_co_ci_u32_e64 v1, null, v45, v7, s6
	s_nor_b32 s6, s5, s2
	s_wait_alu 0xfffe
	s_and_saveexec_b32 s7, s6
	s_wait_alu 0xfffe
	s_xor_b32 s6, exec_lo, s7
	s_cbranch_execz .LBB89_52
; %bb.51:                               ;   in Loop: Header=BB89_10 Depth=3
	global_load_b64 v[2:3], v[0:1], off offset:-128
	s_wait_loadcnt 0x0
	ds_store_b64 v51, v[2:3] offset:4096
.LBB89_52:                              ;   in Loop: Header=BB89_10 Depth=3
	s_wait_alu 0xfffe
	s_and_not1_saveexec_b32 s6, s6
; %bb.53:                               ;   in Loop: Header=BB89_10 Depth=3
	v_dual_mov_b32 v2, v5 :: v_dual_mov_b32 v3, v5
	ds_store_b64 v51, v[2:3] offset:4096
; %bb.54:                               ;   in Loop: Header=BB89_10 Depth=3
	s_wait_alu 0xfffe
	s_or_b32 exec_lo, exec_lo, s6
	s_nor_b32 s5, s5, s3
	s_wait_alu 0xfffe
	s_and_saveexec_b32 s6, s5
	s_wait_alu 0xfffe
	s_xor_b32 s5, exec_lo, s6
	s_cbranch_execz .LBB89_56
; %bb.55:                               ;   in Loop: Header=BB89_10 Depth=3
	global_load_b64 v[0:1], v[0:1], off
	s_wait_loadcnt 0x0
	ds_store_b64 v51, v[0:1] offset:4224
.LBB89_56:                              ;   in Loop: Header=BB89_10 Depth=3
	s_wait_alu 0xfffe
	s_and_not1_saveexec_b32 s5, s5
	s_cbranch_execz .LBB89_9
; %bb.57:                               ;   in Loop: Header=BB89_10 Depth=3
	v_dual_mov_b32 v0, v5 :: v_dual_mov_b32 v1, v5
	ds_store_b64 v51, v[0:1] offset:4224
	s_branch .LBB89_9
.LBB89_58:                              ;   in Loop: Header=BB89_7 Depth=2
	v_mul_lo_u32 v2, s25, v28
	v_mul_lo_u32 v3, s24, v29
	v_mad_co_u64_u32 v[0:1], null, s24, v28, 0
	v_cmp_gt_i32_e32 vcc_lo, s30, v28
	s_delay_alu instid0(VALU_DEP_2) | instskip(NEXT) | instid1(VALU_DEP_1)
	v_add3_u32 v1, v1, v3, v2
	v_lshlrev_b64_e32 v[0:1], 3, v[0:1]
	s_delay_alu instid0(VALU_DEP_1) | instskip(SKIP_1) | instid1(VALU_DEP_2)
	v_add_co_u32 v0, s4, s16, v0
	s_wait_alu 0xf1ff
	v_add_co_ci_u32_e64 v1, null, s17, v1, s4
	s_and_b32 s4, s0, vcc_lo
	s_wait_alu 0xfffe
	s_and_saveexec_b32 s5, s4
	s_cbranch_execz .LBB89_60
; %bb.59:                               ;   in Loop: Header=BB89_7 Depth=2
	v_add_co_u32 v2, s4, v0, v12
	s_wait_alu 0xf1ff
	v_add_co_ci_u32_e64 v3, null, v1, v13, s4
	global_load_b64 v[29:30], v[2:3], off
	v_mul_f32_e32 v32, s36, v64
	s_delay_alu instid0(VALU_DEP_1) | instskip(NEXT) | instid1(VALU_DEP_1)
	v_dual_mul_f32 v31, s37, v64 :: v_dual_fmac_f32 v32, s37, v63
	v_fma_f32 v31, v63, s36, -v31
	s_wait_loadcnt 0x0
	s_delay_alu instid0(VALU_DEP_1)
	v_dual_add_f32 v29, v29, v31 :: v_dual_add_f32 v30, v32, v30
	global_store_b64 v[2:3], v[29:30], off
.LBB89_60:                              ;   in Loop: Header=BB89_7 Depth=2
	s_wait_alu 0xfffe
	s_or_b32 exec_lo, exec_lo, s5
	s_and_b32 s5, s1, vcc_lo
	s_wait_alu 0xfffe
	s_and_saveexec_b32 s4, s5
	s_cbranch_execz .LBB89_62
; %bb.61:                               ;   in Loop: Header=BB89_7 Depth=2
	v_add_co_u32 v0, vcc_lo, v0, v18
	s_wait_alu 0xfffd
	v_add_co_ci_u32_e64 v1, null, v1, v19, vcc_lo
	v_mul_f32_e32 v30, s36, v62
	v_mul_f32_e32 v29, s37, v62
	global_load_b64 v[2:3], v[0:1], off
	v_fmac_f32_e32 v30, s37, v61
	v_fma_f32 v29, v61, s36, -v29
	s_wait_loadcnt 0x0
	s_delay_alu instid0(VALU_DEP_1) | instskip(NEXT) | instid1(VALU_DEP_3)
	v_add_f32_e32 v2, v2, v29
	v_add_f32_e32 v3, v30, v3
	global_store_b64 v[0:1], v[2:3], off
.LBB89_62:                              ;   in Loop: Header=BB89_7 Depth=2
	s_wait_alu 0xfffe
	s_or_b32 exec_lo, exec_lo, s4
	v_add_nc_u32_e32 v2, 16, v28
	s_delay_alu instid0(VALU_DEP_1) | instskip(SKIP_3) | instid1(VALU_DEP_4)
	v_ashrrev_i32_e32 v3, 31, v2
	v_mul_lo_u32 v28, s25, v2
	v_mad_co_u64_u32 v[0:1], null, s24, v2, 0
	v_cmp_gt_i32_e32 vcc_lo, s30, v2
	v_mul_lo_u32 v3, s24, v3
	s_delay_alu instid0(VALU_DEP_1) | instskip(NEXT) | instid1(VALU_DEP_1)
	v_add3_u32 v1, v1, v3, v28
	v_lshlrev_b64_e32 v[0:1], 3, v[0:1]
	s_delay_alu instid0(VALU_DEP_1) | instskip(SKIP_1) | instid1(VALU_DEP_2)
	v_add_co_u32 v0, s4, s16, v0
	s_wait_alu 0xf1ff
	v_add_co_ci_u32_e64 v1, null, s17, v1, s4
	s_and_b32 s4, s0, vcc_lo
	s_wait_alu 0xfffe
	s_and_saveexec_b32 s5, s4
	s_cbranch_execz .LBB89_64
; %bb.63:                               ;   in Loop: Header=BB89_7 Depth=2
	v_add_co_u32 v2, s4, v0, v12
	s_wait_alu 0xf1ff
	v_add_co_ci_u32_e64 v3, null, v1, v13, s4
	global_load_b64 v[28:29], v[2:3], off
	v_mul_f32_e32 v31, s36, v60
	s_delay_alu instid0(VALU_DEP_1) | instskip(NEXT) | instid1(VALU_DEP_1)
	v_dual_mul_f32 v30, s37, v60 :: v_dual_fmac_f32 v31, s37, v59
	v_fma_f32 v30, v59, s36, -v30
	s_wait_loadcnt 0x0
	s_delay_alu instid0(VALU_DEP_1)
	v_dual_add_f32 v28, v28, v30 :: v_dual_add_f32 v29, v31, v29
	global_store_b64 v[2:3], v[28:29], off
.LBB89_64:                              ;   in Loop: Header=BB89_7 Depth=2
	s_wait_alu 0xfffe
	s_or_b32 exec_lo, exec_lo, s5
	s_and_b32 s5, s1, vcc_lo
	s_wait_alu 0xfffe
	s_and_saveexec_b32 s4, s5
	s_cbranch_execz .LBB89_6
; %bb.65:                               ;   in Loop: Header=BB89_7 Depth=2
	v_add_co_u32 v0, vcc_lo, v0, v18
	s_wait_alu 0xfffd
	v_add_co_ci_u32_e64 v1, null, v1, v19, vcc_lo
	v_mul_f32_e32 v28, s37, v27
	global_load_b64 v[2:3], v[0:1], off
	v_mul_f32_e32 v27, s36, v27
	s_delay_alu instid0(VALU_DEP_1) | instskip(SKIP_2) | instid1(VALU_DEP_1)
	v_fmac_f32_e32 v27, s37, v58
	v_fma_f32 v28, v58, s36, -v28
	s_wait_loadcnt 0x0
	v_dual_add_f32 v2, v2, v28 :: v_dual_add_f32 v3, v27, v3
	global_store_b64 v[0:1], v[2:3], off
	s_branch .LBB89_6
.LBB89_66:
	s_nop 0
	s_sendmsg sendmsg(MSG_DEALLOC_VGPRS)
	s_endpgm
	.section	.rodata,"a",@progbits
	.p2align	6, 0x0
	.amdhsa_kernel _ZL30rocblas_trmm_outofplace_kernelI19rocblas_complex_numIfELi32ELi2ELb0ELb0ELb1ELb0ES1_KS1_S1_Ev17rocblas_diagonal_iiT6_lPT7_lllS6_lllPT8_llli
		.amdhsa_group_segment_fixed_size 16384
		.amdhsa_private_segment_fixed_size 0
		.amdhsa_kernarg_size 392
		.amdhsa_user_sgpr_count 2
		.amdhsa_user_sgpr_dispatch_ptr 0
		.amdhsa_user_sgpr_queue_ptr 0
		.amdhsa_user_sgpr_kernarg_segment_ptr 1
		.amdhsa_user_sgpr_dispatch_id 0
		.amdhsa_user_sgpr_private_segment_size 0
		.amdhsa_wavefront_size32 1
		.amdhsa_uses_dynamic_stack 0
		.amdhsa_enable_private_segment 0
		.amdhsa_system_sgpr_workgroup_id_x 1
		.amdhsa_system_sgpr_workgroup_id_y 1
		.amdhsa_system_sgpr_workgroup_id_z 1
		.amdhsa_system_sgpr_workgroup_info 0
		.amdhsa_system_vgpr_workitem_id 1
		.amdhsa_next_free_vgpr 99
		.amdhsa_next_free_sgpr 52
		.amdhsa_reserve_vcc 1
		.amdhsa_float_round_mode_32 0
		.amdhsa_float_round_mode_16_64 0
		.amdhsa_float_denorm_mode_32 3
		.amdhsa_float_denorm_mode_16_64 3
		.amdhsa_fp16_overflow 0
		.amdhsa_workgroup_processor_mode 1
		.amdhsa_memory_ordered 1
		.amdhsa_forward_progress 1
		.amdhsa_inst_pref_size 60
		.amdhsa_round_robin_scheduling 0
		.amdhsa_exception_fp_ieee_invalid_op 0
		.amdhsa_exception_fp_denorm_src 0
		.amdhsa_exception_fp_ieee_div_zero 0
		.amdhsa_exception_fp_ieee_overflow 0
		.amdhsa_exception_fp_ieee_underflow 0
		.amdhsa_exception_fp_ieee_inexact 0
		.amdhsa_exception_int_div_zero 0
	.end_amdhsa_kernel
	.section	.text._ZL30rocblas_trmm_outofplace_kernelI19rocblas_complex_numIfELi32ELi2ELb0ELb0ELb1ELb0ES1_KS1_S1_Ev17rocblas_diagonal_iiT6_lPT7_lllS6_lllPT8_llli,"axG",@progbits,_ZL30rocblas_trmm_outofplace_kernelI19rocblas_complex_numIfELi32ELi2ELb0ELb0ELb1ELb0ES1_KS1_S1_Ev17rocblas_diagonal_iiT6_lPT7_lllS6_lllPT8_llli,comdat
.Lfunc_end89:
	.size	_ZL30rocblas_trmm_outofplace_kernelI19rocblas_complex_numIfELi32ELi2ELb0ELb0ELb1ELb0ES1_KS1_S1_Ev17rocblas_diagonal_iiT6_lPT7_lllS6_lllPT8_llli, .Lfunc_end89-_ZL30rocblas_trmm_outofplace_kernelI19rocblas_complex_numIfELi32ELi2ELb0ELb0ELb1ELb0ES1_KS1_S1_Ev17rocblas_diagonal_iiT6_lPT7_lllS6_lllPT8_llli
                                        ; -- End function
	.set _ZL30rocblas_trmm_outofplace_kernelI19rocblas_complex_numIfELi32ELi2ELb0ELb0ELb1ELb0ES1_KS1_S1_Ev17rocblas_diagonal_iiT6_lPT7_lllS6_lllPT8_llli.num_vgpr, 99
	.set _ZL30rocblas_trmm_outofplace_kernelI19rocblas_complex_numIfELi32ELi2ELb0ELb0ELb1ELb0ES1_KS1_S1_Ev17rocblas_diagonal_iiT6_lPT7_lllS6_lllPT8_llli.num_agpr, 0
	.set _ZL30rocblas_trmm_outofplace_kernelI19rocblas_complex_numIfELi32ELi2ELb0ELb0ELb1ELb0ES1_KS1_S1_Ev17rocblas_diagonal_iiT6_lPT7_lllS6_lllPT8_llli.numbered_sgpr, 52
	.set _ZL30rocblas_trmm_outofplace_kernelI19rocblas_complex_numIfELi32ELi2ELb0ELb0ELb1ELb0ES1_KS1_S1_Ev17rocblas_diagonal_iiT6_lPT7_lllS6_lllPT8_llli.num_named_barrier, 0
	.set _ZL30rocblas_trmm_outofplace_kernelI19rocblas_complex_numIfELi32ELi2ELb0ELb0ELb1ELb0ES1_KS1_S1_Ev17rocblas_diagonal_iiT6_lPT7_lllS6_lllPT8_llli.private_seg_size, 0
	.set _ZL30rocblas_trmm_outofplace_kernelI19rocblas_complex_numIfELi32ELi2ELb0ELb0ELb1ELb0ES1_KS1_S1_Ev17rocblas_diagonal_iiT6_lPT7_lllS6_lllPT8_llli.uses_vcc, 1
	.set _ZL30rocblas_trmm_outofplace_kernelI19rocblas_complex_numIfELi32ELi2ELb0ELb0ELb1ELb0ES1_KS1_S1_Ev17rocblas_diagonal_iiT6_lPT7_lllS6_lllPT8_llli.uses_flat_scratch, 0
	.set _ZL30rocblas_trmm_outofplace_kernelI19rocblas_complex_numIfELi32ELi2ELb0ELb0ELb1ELb0ES1_KS1_S1_Ev17rocblas_diagonal_iiT6_lPT7_lllS6_lllPT8_llli.has_dyn_sized_stack, 0
	.set _ZL30rocblas_trmm_outofplace_kernelI19rocblas_complex_numIfELi32ELi2ELb0ELb0ELb1ELb0ES1_KS1_S1_Ev17rocblas_diagonal_iiT6_lPT7_lllS6_lllPT8_llli.has_recursion, 0
	.set _ZL30rocblas_trmm_outofplace_kernelI19rocblas_complex_numIfELi32ELi2ELb0ELb0ELb1ELb0ES1_KS1_S1_Ev17rocblas_diagonal_iiT6_lPT7_lllS6_lllPT8_llli.has_indirect_call, 0
	.section	.AMDGPU.csdata,"",@progbits
; Kernel info:
; codeLenInByte = 7636
; TotalNumSgprs: 54
; NumVgprs: 99
; ScratchSize: 0
; MemoryBound: 1
; FloatMode: 240
; IeeeMode: 1
; LDSByteSize: 16384 bytes/workgroup (compile time only)
; SGPRBlocks: 0
; VGPRBlocks: 12
; NumSGPRsForWavesPerEU: 54
; NumVGPRsForWavesPerEU: 99
; Occupancy: 12
; WaveLimiterHint : 0
; COMPUTE_PGM_RSRC2:SCRATCH_EN: 0
; COMPUTE_PGM_RSRC2:USER_SGPR: 2
; COMPUTE_PGM_RSRC2:TRAP_HANDLER: 0
; COMPUTE_PGM_RSRC2:TGID_X_EN: 1
; COMPUTE_PGM_RSRC2:TGID_Y_EN: 1
; COMPUTE_PGM_RSRC2:TGID_Z_EN: 1
; COMPUTE_PGM_RSRC2:TIDIG_COMP_CNT: 1
	.section	.text._ZL30rocblas_trmm_outofplace_kernelI19rocblas_complex_numIfELi32ELi2ELb0ELb1ELb1ELb0EPKS1_S2_S1_Ev17rocblas_diagonal_iiT6_lPT7_lllS7_lllPT8_llli,"axG",@progbits,_ZL30rocblas_trmm_outofplace_kernelI19rocblas_complex_numIfELi32ELi2ELb0ELb1ELb1ELb0EPKS1_S2_S1_Ev17rocblas_diagonal_iiT6_lPT7_lllS7_lllPT8_llli,comdat
	.globl	_ZL30rocblas_trmm_outofplace_kernelI19rocblas_complex_numIfELi32ELi2ELb0ELb1ELb1ELb0EPKS1_S2_S1_Ev17rocblas_diagonal_iiT6_lPT7_lllS7_lllPT8_llli ; -- Begin function _ZL30rocblas_trmm_outofplace_kernelI19rocblas_complex_numIfELi32ELi2ELb0ELb1ELb1ELb0EPKS1_S2_S1_Ev17rocblas_diagonal_iiT6_lPT7_lllS7_lllPT8_llli
	.p2align	8
	.type	_ZL30rocblas_trmm_outofplace_kernelI19rocblas_complex_numIfELi32ELi2ELb0ELb1ELb1ELb0EPKS1_S2_S1_Ev17rocblas_diagonal_iiT6_lPT7_lllS7_lllPT8_llli,@function
_ZL30rocblas_trmm_outofplace_kernelI19rocblas_complex_numIfELi32ELi2ELb0ELb1ELb1ELb0EPKS1_S2_S1_Ev17rocblas_diagonal_iiT6_lPT7_lllS7_lllPT8_llli: ; @_ZL30rocblas_trmm_outofplace_kernelI19rocblas_complex_numIfELi32ELi2ELb0ELb1ELb1ELb0EPKS1_S2_S1_Ev17rocblas_diagonal_iiT6_lPT7_lllS7_lllPT8_llli
; %bb.0:
	s_load_b32 s11, s[0:1], 0x80
	s_lshr_b32 s34, ttmp7, 16
	s_wait_kmcnt 0x0
	s_cmp_ge_u32 s34, s11
	s_cbranch_scc1 .LBB90_68
; %bb.1:
	s_clause 0x3
	s_load_b96 s[8:10], s[0:1], 0x0
	s_load_b256 s[36:43], s[0:1], 0x50
	s_load_b512 s[12:27], s[0:1], 0x10
	s_load_b128 s[28:31], s[0:1], 0x70
	s_add_nc_u64 s[44:45], s[0:1], 0x88
	v_dual_mov_b32 v11, 0 :: v_dual_and_b32 v6, 0x3ff, v0
	v_bfe_u32 v42, v0, 10, 10
	s_and_b32 s33, ttmp7, 0xffff
	v_mov_b32_e32 v10, 1.0
	s_delay_alu instid0(VALU_DEP_3) | instskip(SKIP_3) | instid1(VALU_DEP_3)
	v_lshl_add_u32 v0, ttmp9, 5, v6
	v_lshlrev_b32_e32 v2, 3, v6
	v_lshlrev_b32_e32 v43, 8, v42
	s_mov_b32 s35, 0
	v_ashrrev_i32_e32 v1, 31, v0
	s_delay_alu instid0(VALU_DEP_3) | instskip(NEXT) | instid1(VALU_DEP_3)
	v_or_b32_e32 v44, 0x2000, v2
	v_add_nc_u32_e32 v45, v43, v2
	v_add_nc_u32_e32 v4, 16, v0
	s_delay_alu instid0(VALU_DEP_3)
	v_add_nc_u32_e32 v46, v44, v43
	s_wait_kmcnt 0x0
	s_add_co_i32 s0, s10, -1
	s_lshl_b64 s[2:3], s[42:43], 3
	s_wait_alu 0xfffe
	s_ashr_i32 s1, s0, 31
	s_add_nc_u64 s[40:41], s[40:41], s[2:3]
	s_wait_alu 0xfffe
	s_lshr_b32 s1, s1, 27
	v_sub_co_u32 v2, vcc_lo, s9, v0
	s_wait_alu 0xfffe
	s_add_co_i32 s0, s0, s1
	v_cmp_gt_i32_e64 s1, s9, v4
	s_wait_alu 0xfffe
	s_ashr_i32 s56, s0, 5
	v_cmp_gt_i32_e64 s0, s9, v0
	s_cmp_le_i32 s33, s56
	v_ashrrev_i32_e32 v5, 31, v4
	s_cselect_b32 s57, -1, 0
	s_cmp_eq_u32 s8, 0x84
	v_add_nc_u32_e32 v49, 0x800, v44
	s_cselect_b32 s58, -1, 0
	s_lshl_b32 s4, s33, 5
	s_ashr_i32 s2, s9, 31
	v_add_nc_u32_e32 v47, s4, v6
	v_lshlrev_b64_e32 v[6:7], 3, v[0:1]
	v_sub_co_ci_u32_e64 v3, null, s2, v1, vcc_lo
	v_add_nc_u32_e32 v48, s4, v42
	s_lshl_b64 s[4:5], s[26:27], 3
	v_add_nc_u32_e32 v50, 0x1000, v44
	s_wait_alu 0xfffe
	s_add_nc_u64 s[4:5], s[24:25], s[4:5]
	v_cmp_gt_i64_e64 s2, 1, v[2:3]
	s_wait_alu 0xfffe
	v_add_co_u32 v8, vcc_lo, s4, v6
	v_cmp_gt_i64_e64 s3, 17, v[2:3]
	s_wait_alu 0xfffd
	v_add_co_ci_u32_e64 v9, null, s5, v7, vcc_lo
	v_add_nc_u32_e32 v51, 0x1800, v44
	s_mov_b32 s42, s10
	s_ashr_i32 s43, s10, 31
	s_lshl_b64 s[4:5], s[18:19], 3
	s_lshl_b64 s[46:47], s[20:21], 8
	;; [unrolled: 1-line block ×3, first 2 shown]
	s_add_nc_u64 s[50:51], s[42:43], -16
	s_lshl_b64 s[26:27], s[36:37], 3
	s_lshl_b64 s[18:19], s[38:39], 3
	s_wait_alu 0xfffe
	s_add_nc_u64 s[16:17], s[16:17], s[4:5]
	s_lshl_b64 s[22:23], s[22:23], 3
	s_lshl_b64 s[24:25], s[20:21], 3
	s_branch .LBB90_4
.LBB90_2:                               ;   in Loop: Header=BB90_4 Depth=1
	s_add_co_i32 s34, s34, 0x10000
	s_wait_alu 0xfffe
	s_cmp_ge_u32 s34, s11
	s_cselect_b32 s4, -1, 0
.LBB90_3:                               ;   in Loop: Header=BB90_4 Depth=1
	s_wait_alu 0xfffe
	s_and_b32 vcc_lo, exec_lo, s4
	s_wait_alu 0xfffe
	s_cbranch_vccnz .LBB90_68
.LBB90_4:                               ; =>This Loop Header: Depth=1
                                        ;     Child Loop BB90_8 Depth 2
                                        ;       Child Loop BB90_11 Depth 3
	s_mul_u64 s[4:5], s[14:15], s[34:35]
	s_wait_alu 0xfffe
	s_lshl_b64 s[4:5], s[4:5], 3
	s_wait_alu 0xfffe
	s_add_nc_u64 s[4:5], s[12:13], s[4:5]
	global_load_b64 v[12:13], v11, s[4:5]
	s_mov_b32 s4, -1
	s_wait_loadcnt 0x0
	v_or_b32_e32 v0, v12, v13
	s_delay_alu instid0(VALU_DEP_1) | instskip(NEXT) | instid1(VALU_DEP_1)
	v_and_b32_e32 v0, 0x7fffffff, v0
	v_cmp_eq_u32_e32 vcc_lo, 0, v0
	s_cbranch_vccnz .LBB90_3
; %bb.5:                                ;   in Loop: Header=BB90_4 Depth=1
	s_and_not1_b32 vcc_lo, exec_lo, s57
	s_wait_alu 0xfffe
	s_cbranch_vccnz .LBB90_2
; %bb.6:                                ;   in Loop: Header=BB90_4 Depth=1
	v_mad_co_u64_u32 v[14:15], null, s18, s34, v[8:9]
	s_load_b32 s59, s[44:45], 0x4
	s_mul_u64 s[4:5], s[30:31], s[34:35]
	v_mov_b32_e32 v18, v47
	s_mul_u64 s[6:7], s[22:23], s[34:35]
	s_wait_alu 0xfffe
	s_lshl_b64 s[4:5], s[4:5], 3
	s_add_nc_u64 s[52:53], s[16:17], s[6:7]
	v_mov_b32_e32 v0, v15
	s_wait_alu 0xfffe
	s_add_nc_u64 s[38:39], s[40:41], s[4:5]
	s_mov_b32 s61, s33
	s_delay_alu instid0(VALU_DEP_1) | instskip(NEXT) | instid1(VALU_DEP_1)
	v_mad_co_u64_u32 v[0:1], null, s19, s34, v[0:1]
	v_dual_mov_b32 v16, v48 :: v_dual_mov_b32 v15, v0
	s_wait_kmcnt 0x0
	s_lshl_b32 s60, s59, 5
	s_branch .LBB90_8
.LBB90_7:                               ;   in Loop: Header=BB90_8 Depth=2
	s_wait_alu 0xfffe
	s_or_b32 exec_lo, exec_lo, s4
	v_add_nc_u32_e32 v18, s60, v18
	v_add_nc_u32_e32 v16, s60, v16
	s_add_co_i32 s61, s59, s61
	s_wait_alu 0xfffe
	s_cmp_gt_i32 s61, s56
	s_cbranch_scc1 .LBB90_2
.LBB90_8:                               ;   Parent Loop BB90_4 Depth=1
                                        ; =>  This Loop Header: Depth=2
                                        ;       Child Loop BB90_11 Depth 3
	s_wait_alu 0xfffe
	s_lshl_b32 s4, s61, 5
	v_ashrrev_i32_e32 v19, 31, v18
	s_wait_alu 0xfffe
	v_add_nc_u32_e32 v20, s4, v42
	v_ashrrev_i32_e32 v17, 31, v16
	s_sub_co_i32 s62, s10, s4
	s_delay_alu instid0(SALU_CYCLE_1) | instskip(NEXT) | instid1(VALU_DEP_2)
	s_cmp_lt_i32 s62, 1
	v_ashrrev_i32_e32 v21, 31, v20
	s_cbranch_scc1 .LBB90_59
; %bb.9:                                ;   in Loop: Header=BB90_8 Depth=2
	v_lshlrev_b64_e32 v[24:25], 3, v[16:17]
	v_lshlrev_b64_e32 v[0:1], 3, v[18:19]
	v_sub_co_u32 v22, vcc_lo, v16, v18
	s_wait_alu 0xfffd
	v_sub_co_ci_u32_e64 v23, null, v17, v19, vcc_lo
	s_delay_alu instid0(VALU_DEP_4)
	v_add_co_u32 v28, vcc_lo, 0x80, v24
	s_wait_alu 0xfffd
	v_add_co_ci_u32_e64 v29, null, 0, v25, vcc_lo
	v_add_co_u32 v0, vcc_lo, 0x80, v0
	s_wait_alu 0xfffd
	v_add_co_ci_u32_e64 v1, null, 0, v1, vcc_lo
	s_delay_alu instid0(VALU_DEP_3) | instskip(SKIP_2) | instid1(VALU_DEP_4)
	v_mul_lo_u32 v36, s36, v29
	v_mul_lo_u32 v37, s37, v28
	v_mad_co_u64_u32 v[28:29], null, s36, v28, 0x80
	v_mul_lo_u32 v1, s20, v1
	v_mul_lo_u32 v38, s21, v0
	v_mad_co_u64_u32 v[30:31], null, s20, v0, s[52:53]
	v_mad_co_u64_u32 v[26:27], null, s26, v16, 0x80
	v_mul_lo_u32 v2, s26, v17
	v_mul_lo_u32 v3, s27, v16
	v_mad_co_u64_u32 v[32:33], null, s24, v18, s[52:53]
	v_mul_lo_u32 v0, s24, v19
	v_mul_lo_u32 v39, s25, v18
	v_add_co_u32 v34, vcc_lo, v20, 16
	s_wait_alu 0xfffd
	v_add_co_ci_u32_e64 v35, null, 0, v21, vcc_lo
	v_add3_u32 v29, v37, v29, v36
	v_add_co_u32 v36, s5, v22, 16
	v_add3_u32 v31, v38, v31, v1
	s_wait_alu 0xf1ff
	v_add_co_ci_u32_e64 v37, null, 0, v23, s5
	v_add_co_u32 v38, s5, v22, -16
	v_cmp_le_i64_e64 s4, s[42:43], v[34:35]
	v_dual_mov_b32 v52, 0 :: v_dual_mov_b32 v41, v15
	v_add3_u32 v27, v3, v27, v2
	v_add3_u32 v33, v39, v33, v0
	s_wait_alu 0xf1ff
	v_add_co_ci_u32_e64 v39, null, -1, v23, s5
	v_dual_mov_b32 v40, v14 :: v_dual_mov_b32 v53, 0
	v_dual_mov_b32 v55, 0 :: v_dual_mov_b32 v54, 0
	;; [unrolled: 1-line block ×4, first 2 shown]
	s_mov_b64 s[54:55], 0
	v_cmp_le_i32_e32 vcc_lo, s10, v20
	s_branch .LBB90_11
.LBB90_10:                              ;   in Loop: Header=BB90_11 Depth=3
	s_wait_alu 0xfffe
	s_or_b32 exec_lo, exec_lo, s5
	s_wait_dscnt 0x0
	s_barrier_signal -1
	s_barrier_wait -1
	global_inv scope:SCOPE_SE
	ds_load_b128 v[60:63], v43
	ds_load_2addr_b64 v[64:67], v44 offset1:16
	ds_load_b128 v[68:71], v43 offset:4096
	ds_load_b128 v[72:75], v43 offset:16
	;; [unrolled: 1-line block ×4, first 2 shown]
	ds_load_2addr_b64 v[80:83], v44 offset0:32 offset1:48
	ds_load_b128 v[84:87], v43 offset:4112
	v_add_co_u32 v40, s5, v40, s48
	s_wait_alu 0xf1ff
	v_add_co_ci_u32_e64 v41, null, s49, v41, s5
	v_add_co_u32 v30, s5, v30, s46
	s_wait_alu 0xf1ff
	v_add_co_ci_u32_e64 v31, null, s47, v31, s5
	;; [unrolled: 3-line block ×3, first 2 shown]
	s_add_nc_u64 s[54:55], s[54:55], 32
	s_wait_dscnt 0x6
	v_dual_mul_f32 v88, v61, v65 :: v_dual_mul_f32 v91, v60, v67
	v_dual_mul_f32 v89, v60, v65 :: v_dual_mul_f32 v90, v61, v67
	s_wait_dscnt 0x5
	v_mul_f32_e32 v92, v69, v65
	s_delay_alu instid0(VALU_DEP_3)
	v_fma_f32 v88, v60, v64, -v88
	v_mul_f32_e32 v65, v68, v65
	v_fmac_f32_e32 v89, v61, v64
	v_fma_f32 v60, v60, v66, -v90
	v_mul_f32_e32 v93, v69, v67
	v_mul_f32_e32 v67, v68, v67
	v_fmac_f32_e32 v91, v61, v66
	v_fma_f32 v61, v68, v64, -v92
	v_add_f32_e32 v58, v58, v88
	s_delay_alu instid0(VALU_DEP_4)
	v_dual_add_f32 v60, v56, v60 :: v_dual_fmac_f32 v67, v69, v66
	v_fmac_f32_e32 v65, v69, v64
	v_fma_f32 v64, v68, v66, -v93
	s_wait_dscnt 0x1
	v_mul_f32_e32 v68, v63, v81
	v_mul_f32_e32 v66, v62, v81
	v_add_f32_e32 v59, v59, v89
	v_add_f32_e32 v57, v57, v91
	v_add_f32_e32 v64, v53, v64
	v_fma_f32 v68, v62, v80, -v68
	v_dual_add_f32 v52, v52, v67 :: v_dual_add_f32 v65, v55, v65
	v_dual_fmac_f32 v66, v63, v80 :: v_dual_add_f32 v61, v54, v61
	ds_load_2addr_b64 v[53:56], v44 offset0:64 offset1:80
	v_mul_f32_e32 v69, v63, v83
	v_mul_f32_e32 v67, v62, v83
	v_add_f32_e32 v68, v58, v68
	v_dual_add_f32 v66, v59, v66 :: v_dual_mul_f32 v59, v70, v81
	s_delay_alu instid0(VALU_DEP_4)
	v_fma_f32 v58, v62, v82, -v69
	v_mul_f32_e32 v62, v71, v81
	v_fmac_f32_e32 v67, v63, v82
	s_wait_alu 0xfffe
	s_cmp_ge_i32 s54, s62
	v_add_f32_e32 v63, v60, v58
	v_fma_f32 v58, v70, v80, -v62
	v_mul_f32_e32 v60, v71, v83
	v_add_f32_e32 v62, v57, v67
	v_mul_f32_e32 v67, v70, v83
	s_delay_alu instid0(VALU_DEP_3) | instskip(SKIP_2) | instid1(VALU_DEP_2)
	v_fma_f32 v57, v70, v82, -v60
	s_wait_dscnt 0x0
	v_mul_f32_e32 v69, v72, v54
	v_add_f32_e32 v64, v64, v57
	s_delay_alu instid0(VALU_DEP_2) | instskip(SKIP_2) | instid1(VALU_DEP_3)
	v_fmac_f32_e32 v69, v73, v53
	v_add_f32_e32 v61, v61, v58
	v_mul_f32_e32 v58, v73, v54
	v_dual_add_f32 v66, v66, v69 :: v_dual_mul_f32 v69, v85, v54
	s_delay_alu instid0(VALU_DEP_2) | instskip(SKIP_2) | instid1(VALU_DEP_2)
	v_fma_f32 v70, v72, v53, -v58
	v_dual_fmac_f32 v59, v71, v80 :: v_dual_mul_f32 v54, v84, v54
	v_fmac_f32_e32 v67, v71, v82
	v_dual_add_f32 v68, v68, v70 :: v_dual_add_f32 v65, v65, v59
	ds_load_2addr_b64 v[57:60], v44 offset0:96 offset1:112
	v_mul_f32_e32 v71, v73, v56
	v_dual_add_f32 v67, v52, v67 :: v_dual_fmac_f32 v54, v85, v53
	v_mul_f32_e32 v52, v72, v56
	s_delay_alu instid0(VALU_DEP_3) | instskip(NEXT) | instid1(VALU_DEP_1)
	v_fma_f32 v70, v72, v55, -v71
	v_dual_fmac_f32 v52, v73, v55 :: v_dual_add_f32 v63, v63, v70
	v_mul_f32_e32 v70, v85, v56
	v_mul_f32_e32 v56, v84, v56
	s_delay_alu instid0(VALU_DEP_3) | instskip(NEXT) | instid1(VALU_DEP_3)
	v_add_f32_e32 v62, v62, v52
	v_fma_f32 v52, v84, v55, -v70
	s_delay_alu instid0(VALU_DEP_3) | instskip(NEXT) | instid1(VALU_DEP_2)
	v_fmac_f32_e32 v56, v85, v55
	v_add_f32_e32 v70, v64, v52
	v_fma_f32 v69, v84, v53, -v69
	s_wait_dscnt 0x0
	v_mul_f32_e32 v64, v74, v58
	v_add_f32_e32 v65, v65, v54
	ds_load_2addr_b64 v[52:55], v44 offset0:128 offset1:144
	v_add_f32_e32 v67, v67, v56
	v_dual_add_f32 v69, v61, v69 :: v_dual_mul_f32 v56, v74, v60
	v_fmac_f32_e32 v64, v75, v57
	v_mul_f32_e32 v61, v75, v58
	s_delay_alu instid0(VALU_DEP_3) | instskip(NEXT) | instid1(VALU_DEP_3)
	v_fmac_f32_e32 v56, v75, v59
	v_add_f32_e32 v66, v66, v64
	s_delay_alu instid0(VALU_DEP_3) | instskip(NEXT) | instid1(VALU_DEP_1)
	v_fma_f32 v61, v74, v57, -v61
	v_dual_mul_f32 v71, v75, v60 :: v_dual_add_f32 v68, v68, v61
	s_delay_alu instid0(VALU_DEP_1)
	v_fma_f32 v71, v74, v59, -v71
	v_mul_f32_e32 v61, v87, v58
	v_mul_f32_e32 v58, v86, v58
	v_add_f32_e32 v73, v62, v56
	v_mul_f32_e32 v56, v87, v60
	v_mul_f32_e32 v60, v86, v60
	v_fma_f32 v72, v86, v57, -v61
	v_fmac_f32_e32 v58, v87, v57
	v_add_f32_e32 v71, v63, v71
	ds_load_b128 v[61:64], v43 offset:4128
	s_wait_dscnt 0x1
	v_mul_f32_e32 v57, v77, v53
	v_fma_f32 v56, v86, v59, -v56
	v_add_f32_e32 v69, v69, v72
	v_dual_add_f32 v72, v65, v58 :: v_dual_mul_f32 v65, v76, v53
	v_fmac_f32_e32 v60, v87, v59
	s_delay_alu instid0(VALU_DEP_4)
	v_dual_add_f32 v70, v70, v56 :: v_dual_mul_f32 v75, v77, v55
	v_fma_f32 v74, v76, v52, -v57
	ds_load_2addr_b64 v[56:59], v44 offset0:160 offset1:176
	v_fmac_f32_e32 v65, v77, v52
	v_fma_f32 v75, v76, v54, -v75
	v_add_f32_e32 v74, v68, v74
	s_delay_alu instid0(VALU_DEP_3)
	v_dual_add_f32 v60, v67, v60 :: v_dual_add_f32 v81, v66, v65
	ds_load_b128 v[65:68], v43 offset:4144
	v_mul_f32_e32 v80, v76, v55
	s_wait_dscnt 0x2
	v_dual_add_f32 v71, v71, v75 :: v_dual_mul_f32 v76, v62, v53
	v_mul_f32_e32 v53, v61, v53
	s_delay_alu instid0(VALU_DEP_3) | instskip(SKIP_1) | instid1(VALU_DEP_4)
	v_dual_mul_f32 v75, v62, v55 :: v_dual_fmac_f32 v80, v77, v54
	v_mul_f32_e32 v77, v61, v55
	v_fma_f32 v76, v61, v52, -v76
	s_delay_alu instid0(VALU_DEP_3) | instskip(NEXT) | instid1(VALU_DEP_3)
	v_add_f32_e32 v73, v73, v80
	v_fmac_f32_e32 v77, v62, v54
	v_fmac_f32_e32 v53, v62, v52
	v_fma_f32 v52, v61, v54, -v75
	s_wait_dscnt 0x1
	v_mul_f32_e32 v55, v79, v57
	v_dual_add_f32 v61, v69, v76 :: v_dual_mul_f32 v76, v64, v57
	v_add_f32_e32 v60, v60, v77
	v_add_f32_e32 v62, v70, v52
	v_mul_f32_e32 v70, v78, v57
	v_add_f32_e32 v69, v72, v53
	v_fma_f32 v72, v78, v56, -v55
	ds_load_2addr_b64 v[52:55], v44 offset0:192 offset1:208
	v_mul_f32_e32 v57, v63, v57
	v_fmac_f32_e32 v70, v79, v56
	v_dual_mul_f32 v75, v79, v59 :: v_dual_add_f32 v72, v74, v72
	s_delay_alu instid0(VALU_DEP_3) | instskip(NEXT) | instid1(VALU_DEP_3)
	v_dual_mul_f32 v74, v78, v59 :: v_dual_fmac_f32 v57, v64, v56
	v_add_f32_e32 v70, v81, v70
	s_delay_alu instid0(VALU_DEP_3) | instskip(NEXT) | instid1(VALU_DEP_3)
	v_fma_f32 v75, v78, v58, -v75
	v_fmac_f32_e32 v74, v79, v58
	s_delay_alu instid0(VALU_DEP_1) | instskip(NEXT) | instid1(VALU_DEP_3)
	v_dual_add_f32 v73, v73, v74 :: v_dual_mul_f32 v74, v63, v59
	v_add_f32_e32 v71, v71, v75
	v_fma_f32 v75, v63, v56, -v76
	v_mul_f32_e32 v56, v64, v59
	s_wait_dscnt 0x0
	v_mul_f32_e32 v76, v0, v55
	v_fmac_f32_e32 v74, v64, v58
	v_dual_mul_f32 v64, v0, v53 :: v_dual_add_f32 v61, v61, v75
	v_fma_f32 v63, v63, v58, -v56
	v_add_f32_e32 v69, v69, v57
	ds_load_2addr_b64 v[56:59], v44 offset0:224 offset1:240
	v_mul_f32_e32 v75, v1, v53
	v_fmac_f32_e32 v64, v1, v52
	v_add_f32_e32 v62, v62, v63
	v_add_f32_e32 v74, v60, v74
	v_fmac_f32_e32 v76, v1, v54
	v_fma_f32 v63, v0, v52, -v75
	v_mul_f32_e32 v75, v1, v55
	v_mul_f32_e32 v1, v66, v53
	v_dual_mul_f32 v53, v65, v53 :: v_dual_mul_f32 v60, v66, v55
	s_delay_alu instid0(VALU_DEP_4) | instskip(NEXT) | instid1(VALU_DEP_4)
	v_add_f32_e32 v72, v72, v63
	v_fma_f32 v0, v0, v54, -v75
	v_add_f32_e32 v64, v70, v64
	v_fma_f32 v1, v65, v52, -v1
	v_fmac_f32_e32 v53, v66, v52
	s_delay_alu instid0(VALU_DEP_4)
	v_dual_add_f32 v0, v71, v0 :: v_dual_mul_f32 v71, v65, v55
	s_wait_dscnt 0x0
	v_dual_add_f32 v70, v73, v76 :: v_dual_mul_f32 v55, v3, v57
	v_fma_f32 v52, v65, v54, -v60
	v_add_f32_e32 v65, v61, v1
	v_fmac_f32_e32 v71, v66, v54
	v_dual_mul_f32 v66, v2, v57 :: v_dual_mul_f32 v75, v3, v59
	v_add_f32_e32 v69, v69, v53
	v_fma_f32 v1, v2, v56, -v55
	v_add_f32_e32 v73, v62, v52
	ds_load_b128 v[52:55], v43 offset:64
	ds_load_2addr_b64 v[60:63], v49 offset1:16
	v_dual_add_f32 v71, v74, v71 :: v_dual_fmac_f32 v66, v3, v56
	v_mul_f32_e32 v74, v2, v59
	v_add_f32_e32 v72, v72, v1
	v_fma_f32 v1, v2, v58, -v75
	v_mul_f32_e32 v2, v68, v57
	v_add_f32_e32 v75, v64, v66
	v_dual_mul_f32 v57, v67, v57 :: v_dual_mul_f32 v66, v68, v59
	v_fmac_f32_e32 v74, v3, v58
	s_delay_alu instid0(VALU_DEP_4)
	v_fma_f32 v64, v67, v56, -v2
	v_add_f32_e32 v76, v0, v1
	ds_load_b128 v[0:3], v43 offset:4160
	v_dual_fmac_f32 v57, v68, v56 :: v_dual_add_f32 v74, v70, v74
	v_fma_f32 v56, v67, v58, -v66
	v_dual_mul_f32 v70, v67, v59 :: v_dual_add_f32 v77, v65, v64
	s_wait_dscnt 0x1
	s_delay_alu instid0(VALU_DEP_3)
	v_dual_add_f32 v78, v69, v57 :: v_dual_mul_f32 v81, v52, v63
	v_mul_f32_e32 v59, v53, v61
	v_mul_f32_e32 v69, v52, v61
	v_dual_fmac_f32 v70, v68, v58 :: v_dual_add_f32 v73, v73, v56
	ds_load_b128 v[64:67], v43 offset:80
	v_fma_f32 v68, v52, v60, -v59
	ds_load_2addr_b64 v[56:59], v49 offset0:32 offset1:48
	v_mul_f32_e32 v79, v53, v63
	v_dual_fmac_f32 v69, v53, v60 :: v_dual_add_f32 v80, v71, v70
	v_dual_add_f32 v72, v72, v68 :: v_dual_fmac_f32 v81, v53, v62
	s_delay_alu instid0(VALU_DEP_3)
	v_fma_f32 v52, v52, v62, -v79
	s_wait_dscnt 0x2
	v_mul_f32_e32 v79, v1, v61
	v_add_f32_e32 v75, v75, v69
	ds_load_b128 v[68:71], v43 offset:4176
	v_add_f32_e32 v52, v76, v52
	v_fma_f32 v76, v0, v60, -v79
	v_mul_f32_e32 v53, v0, v61
	s_delay_alu instid0(VALU_DEP_2) | instskip(NEXT) | instid1(VALU_DEP_2)
	v_dual_mul_f32 v79, v0, v63 :: v_dual_add_f32 v76, v77, v76
	v_fmac_f32_e32 v53, v1, v60
	s_wait_dscnt 0x1
	s_delay_alu instid0(VALU_DEP_2) | instskip(SKIP_1) | instid1(VALU_DEP_2)
	v_dual_fmac_f32 v79, v1, v62 :: v_dual_mul_f32 v60, v55, v57
	v_dual_mul_f32 v61, v1, v63 :: v_dual_add_f32 v74, v74, v81
	v_fma_f32 v1, v54, v56, -v60
	s_delay_alu instid0(VALU_DEP_2) | instskip(SKIP_4) | instid1(VALU_DEP_3)
	v_fma_f32 v0, v0, v62, -v61
	ds_load_2addr_b64 v[60:63], v49 offset0:64 offset1:80
	v_dual_mul_f32 v77, v55, v59 :: v_dual_add_f32 v72, v72, v1
	v_dual_add_f32 v73, v73, v0 :: v_dual_mul_f32 v0, v54, v57
	v_mul_f32_e32 v1, v54, v59
	v_fma_f32 v54, v54, v58, -v77
	v_mul_f32_e32 v77, v3, v57
	s_delay_alu instid0(VALU_DEP_4) | instskip(SKIP_1) | instid1(VALU_DEP_4)
	v_dual_mul_f32 v57, v2, v57 :: v_dual_fmac_f32 v0, v55, v56
	v_dual_add_f32 v53, v78, v53 :: v_dual_add_f32 v78, v80, v79
	v_add_f32_e32 v52, v52, v54
	v_mul_f32_e32 v54, v3, v59
	s_delay_alu instid0(VALU_DEP_4) | instskip(SKIP_2) | instid1(VALU_DEP_4)
	v_add_f32_e32 v75, v75, v0
	v_fma_f32 v0, v2, v56, -v77
	v_dual_fmac_f32 v57, v3, v56 :: v_dual_mul_f32 v56, v2, v59
	v_fma_f32 v54, v2, v58, -v54
	s_delay_alu instid0(VALU_DEP_2) | instskip(NEXT) | instid1(VALU_DEP_2)
	v_dual_add_f32 v59, v76, v0 :: v_dual_fmac_f32 v56, v3, v58
	v_add_f32_e32 v54, v73, v54
	s_wait_dscnt 0x0
	v_dual_fmac_f32 v1, v55, v58 :: v_dual_mul_f32 v58, v64, v61
	s_delay_alu instid0(VALU_DEP_3) | instskip(NEXT) | instid1(VALU_DEP_2)
	v_add_f32_e32 v76, v78, v56
	v_dual_fmac_f32 v58, v65, v60 :: v_dual_add_f32 v55, v74, v1
	v_mul_f32_e32 v74, v64, v63
	ds_load_2addr_b64 v[0:3], v49 offset0:96 offset1:112
	v_fmac_f32_e32 v74, v65, v62
	v_add_f32_e32 v53, v53, v57
	v_mul_f32_e32 v57, v65, v61
	s_delay_alu instid0(VALU_DEP_1) | instskip(NEXT) | instid1(VALU_DEP_1)
	v_fma_f32 v57, v64, v60, -v57
	v_dual_mul_f32 v73, v65, v63 :: v_dual_add_f32 v72, v72, v57
	s_delay_alu instid0(VALU_DEP_1) | instskip(SKIP_3) | instid1(VALU_DEP_3)
	v_fma_f32 v56, v64, v62, -v73
	v_dual_add_f32 v64, v75, v58 :: v_dual_mul_f32 v57, v69, v61
	v_dual_mul_f32 v58, v68, v61 :: v_dual_add_f32 v65, v55, v74
	s_wait_dscnt 0x0
	v_dual_add_f32 v61, v52, v56 :: v_dual_mul_f32 v56, v67, v1
	v_mul_f32_e32 v52, v69, v63
	v_fma_f32 v55, v68, v60, -v57
	v_fmac_f32_e32 v58, v69, v60
	v_dual_mul_f32 v60, v68, v63 :: v_dual_mul_f32 v63, v66, v1
	s_delay_alu instid0(VALU_DEP_4) | instskip(NEXT) | instid1(VALU_DEP_3)
	v_fma_f32 v52, v68, v62, -v52
	v_dual_add_f32 v68, v59, v55 :: v_dual_add_f32 v73, v53, v58
	v_mul_f32_e32 v74, v67, v3
	s_delay_alu instid0(VALU_DEP_3)
	v_dual_fmac_f32 v60, v69, v62 :: v_dual_add_f32 v69, v54, v52
	v_fma_f32 v62, v66, v0, -v56
	ds_load_b128 v[52:55], v43 offset:96
	ds_load_2addr_b64 v[56:59], v49 offset0:128 offset1:144
	v_fmac_f32_e32 v63, v67, v0
	v_dual_add_f32 v75, v76, v60 :: v_dual_mul_f32 v60, v66, v3
	v_add_f32_e32 v72, v72, v62
	v_fma_f32 v62, v66, v2, -v74
	s_delay_alu instid0(VALU_DEP_4) | instskip(NEXT) | instid1(VALU_DEP_4)
	v_add_f32_e32 v74, v64, v63
	v_fmac_f32_e32 v60, v67, v2
	v_mul_f32_e32 v66, v71, v1
	s_delay_alu instid0(VALU_DEP_4) | instskip(NEXT) | instid1(VALU_DEP_3)
	v_dual_mul_f32 v1, v70, v1 :: v_dual_add_f32 v76, v61, v62
	v_add_f32_e32 v77, v65, v60
	s_delay_alu instid0(VALU_DEP_3) | instskip(NEXT) | instid1(VALU_DEP_3)
	v_fma_f32 v64, v70, v0, -v66
	v_fmac_f32_e32 v1, v71, v0
	v_mul_f32_e32 v66, v71, v3
	ds_load_b128 v[60:63], v43 offset:4192
	v_dual_add_f32 v78, v68, v64 :: v_dual_add_f32 v73, v73, v1
	v_fma_f32 v0, v70, v2, -v66
	s_wait_dscnt 0x1
	v_dual_mul_f32 v68, v70, v3 :: v_dual_mul_f32 v3, v53, v57
	ds_load_b128 v[64:67], v43 offset:112
	v_dual_mul_f32 v80, v52, v59 :: v_dual_add_f32 v79, v69, v0
	v_fmac_f32_e32 v68, v71, v2
	v_fma_f32 v69, v52, v56, -v3
	ds_load_2addr_b64 v[0:3], v49 offset0:160 offset1:176
	v_mul_f32_e32 v71, v53, v59
	v_fmac_f32_e32 v80, v53, v58
	v_add_f32_e32 v72, v72, v69
	s_wait_dscnt 0x2
	v_mul_f32_e32 v81, v61, v57
	v_dual_mul_f32 v70, v52, v57 :: v_dual_add_f32 v75, v75, v68
	v_fma_f32 v52, v52, v58, -v71
	s_delay_alu instid0(VALU_DEP_2) | instskip(SKIP_1) | instid1(VALU_DEP_2)
	v_dual_fmac_f32 v70, v53, v56 :: v_dual_mul_f32 v53, v60, v57
	v_mul_f32_e32 v57, v61, v59
	v_fmac_f32_e32 v53, v61, v56
	s_delay_alu instid0(VALU_DEP_4) | instskip(SKIP_1) | instid1(VALU_DEP_4)
	v_add_f32_e32 v52, v76, v52
	v_fma_f32 v76, v60, v56, -v81
	v_fma_f32 v56, v60, v58, -v57
	s_wait_dscnt 0x0
	v_dual_mul_f32 v57, v55, v1 :: v_dual_add_f32 v74, v74, v70
	v_dual_add_f32 v77, v77, v80 :: v_dual_mul_f32 v80, v60, v59
	v_dual_add_f32 v53, v73, v53 :: v_dual_add_f32 v60, v78, v76
	s_delay_alu instid0(VALU_DEP_3) | instskip(NEXT) | instid1(VALU_DEP_3)
	v_fma_f32 v76, v54, v0, -v57
	v_dual_mul_f32 v73, v54, v1 :: v_dual_fmac_f32 v80, v61, v58
	v_add_f32_e32 v61, v79, v56
	ds_load_2addr_b64 v[56:59], v49 offset0:192 offset1:208
	v_mul_f32_e32 v78, v55, v3
	v_add_f32_e32 v72, v72, v76
	v_dual_add_f32 v75, v75, v80 :: v_dual_mul_f32 v76, v54, v3
	ds_load_b128 v[68:71], v43 offset:4208
	v_fma_f32 v54, v54, v2, -v78
	v_fmac_f32_e32 v73, v55, v0
	v_fmac_f32_e32 v76, v55, v2
	v_mul_f32_e32 v78, v63, v1
	s_delay_alu instid0(VALU_DEP_4) | instskip(NEXT) | instid1(VALU_DEP_4)
	v_dual_mul_f32 v1, v62, v1 :: v_dual_add_f32 v52, v52, v54
	v_add_f32_e32 v73, v74, v73
	s_delay_alu instid0(VALU_DEP_4) | instskip(NEXT) | instid1(VALU_DEP_3)
	v_dual_mul_f32 v74, v62, v3 :: v_dual_add_f32 v55, v77, v76
	v_fmac_f32_e32 v1, v63, v0
	v_fma_f32 v54, v62, v0, -v78
	v_mul_f32_e32 v0, v63, v3
	s_wait_dscnt 0x1
	v_dual_fmac_f32 v74, v63, v2 :: v_dual_mul_f32 v63, v64, v57
	v_dual_add_f32 v53, v53, v1 :: v_dual_mul_f32 v76, v64, v59
	s_delay_alu instid0(VALU_DEP_2)
	v_dual_fmac_f32 v63, v65, v56 :: v_dual_add_f32 v54, v60, v54
	v_fma_f32 v60, v62, v2, -v0
	ds_load_2addr_b64 v[0:3], v49 offset0:224 offset1:240
	v_fmac_f32_e32 v76, v65, v58
	v_mul_f32_e32 v62, v65, v57
	v_add_f32_e32 v63, v73, v63
	v_add_f32_e32 v60, v61, v60
	s_delay_alu instid0(VALU_DEP_3) | instskip(NEXT) | instid1(VALU_DEP_1)
	v_fma_f32 v61, v64, v56, -v62
	v_dual_mul_f32 v62, v65, v59 :: v_dual_add_f32 v61, v72, v61
	v_add_f32_e32 v74, v75, v74
	s_delay_alu instid0(VALU_DEP_2) | instskip(SKIP_1) | instid1(VALU_DEP_1)
	v_fma_f32 v62, v64, v58, -v62
	s_wait_dscnt 0x0
	v_dual_add_f32 v62, v52, v62 :: v_dual_mul_f32 v73, v66, v1
	v_mul_f32_e32 v64, v69, v57
	v_mul_f32_e32 v57, v68, v57
	;; [unrolled: 1-line block ×3, first 2 shown]
	v_add_f32_e32 v65, v55, v76
	v_dual_fmac_f32 v73, v67, v0 :: v_dual_mul_f32 v52, v69, v59
	v_fma_f32 v55, v68, v56, -v64
	v_dual_fmac_f32 v57, v69, v56 :: v_dual_mul_f32 v64, v68, v59
	v_mul_f32_e32 v56, v67, v1
	s_delay_alu instid0(VALU_DEP_4) | instskip(SKIP_1) | instid1(VALU_DEP_4)
	v_add_f32_e32 v73, v63, v73
	v_fma_f32 v52, v68, v58, -v52
	v_add_f32_e32 v72, v53, v57
	s_delay_alu instid0(VALU_DEP_2) | instskip(SKIP_1) | instid1(VALU_DEP_1)
	v_dual_fmac_f32 v64, v69, v58 :: v_dual_add_f32 v69, v60, v52
	v_fma_f32 v60, v66, v0, -v56
	v_dual_add_f32 v76, v61, v60 :: v_dual_mul_f32 v61, v71, v1
	v_mul_f32_e32 v1, v70, v1
	v_fma_f32 v60, v66, v2, -v75
	s_delay_alu instid0(VALU_DEP_2) | instskip(SKIP_3) | instid1(VALU_DEP_2)
	v_fmac_f32_e32 v1, v71, v0
	v_add_f32_e32 v74, v74, v64
	v_mul_f32_e32 v64, v66, v3
	v_fma_f32 v66, v70, v0, -v61
	v_dual_add_f32 v75, v62, v60 :: v_dual_fmac_f32 v64, v67, v2
	v_add_f32_e32 v68, v54, v55
	ds_load_b128 v[52:55], v43 offset:128
	ds_load_2addr_b64 v[56:59], v50 offset1:16
	v_mul_f32_e32 v67, v71, v3
	ds_load_b128 v[60:63], v43 offset:4224
	v_dual_add_f32 v77, v65, v64 :: v_dual_add_f32 v78, v68, v66
	v_mul_f32_e32 v68, v70, v3
	v_fma_f32 v0, v70, v2, -v67
	ds_load_b128 v[64:67], v43 offset:144
	v_dual_add_f32 v72, v72, v1 :: v_dual_add_f32 v79, v69, v0
	s_wait_dscnt 0x2
	v_dual_mul_f32 v80, v52, v59 :: v_dual_mul_f32 v3, v53, v57
	s_wait_dscnt 0x1
	v_mul_f32_e32 v81, v61, v57
	s_delay_alu instid0(VALU_DEP_2) | instskip(SKIP_2) | instid1(VALU_DEP_3)
	v_fmac_f32_e32 v80, v53, v58
	v_mul_f32_e32 v70, v52, v57
	v_fma_f32 v69, v52, v56, -v3
	v_add_f32_e32 v77, v77, v80
	s_delay_alu instid0(VALU_DEP_3) | instskip(NEXT) | instid1(VALU_DEP_1)
	v_fmac_f32_e32 v70, v53, v56
	v_add_f32_e32 v73, v73, v70
	v_fmac_f32_e32 v68, v71, v2
	ds_load_2addr_b64 v[0:3], v50 offset0:32 offset1:48
	v_mul_f32_e32 v71, v53, v59
	v_mul_f32_e32 v53, v60, v57
	;; [unrolled: 1-line block ×4, first 2 shown]
	s_delay_alu instid0(VALU_DEP_4) | instskip(NEXT) | instid1(VALU_DEP_4)
	v_fma_f32 v52, v52, v58, -v71
	v_fmac_f32_e32 v53, v61, v56
	v_add_f32_e32 v74, v74, v68
	s_delay_alu instid0(VALU_DEP_4) | instskip(NEXT) | instid1(VALU_DEP_4)
	v_fmac_f32_e32 v80, v61, v58
	v_add_f32_e32 v52, v75, v52
	v_fma_f32 v75, v60, v56, -v81
	v_fma_f32 v56, v60, v58, -v57
	v_add_f32_e32 v76, v76, v69
	v_add_f32_e32 v53, v72, v53
	ds_load_b128 v[68:71], v43 offset:4240
	v_dual_add_f32 v60, v78, v75 :: v_dual_add_f32 v61, v79, v56
	s_wait_dscnt 0x1
	v_mul_f32_e32 v57, v55, v1
	v_mul_f32_e32 v72, v54, v1
	;; [unrolled: 1-line block ×3, first 2 shown]
	s_delay_alu instid0(VALU_DEP_3) | instskip(SKIP_4) | instid1(VALU_DEP_3)
	v_fma_f32 v75, v54, v0, -v57
	ds_load_2addr_b64 v[56:59], v50 offset0:64 offset1:80
	v_dual_fmac_f32 v72, v55, v0 :: v_dual_add_f32 v75, v76, v75
	v_mul_f32_e32 v76, v54, v3
	v_fma_f32 v54, v54, v2, -v78
	v_add_f32_e32 v72, v73, v72
	v_mul_f32_e32 v78, v63, v1
	v_mul_f32_e32 v1, v62, v1
	s_delay_alu instid0(VALU_DEP_4) | instskip(NEXT) | instid1(VALU_DEP_3)
	v_dual_mul_f32 v73, v62, v3 :: v_dual_add_f32 v52, v52, v54
	v_fma_f32 v54, v62, v0, -v78
	s_delay_alu instid0(VALU_DEP_3) | instskip(SKIP_1) | instid1(VALU_DEP_4)
	v_fmac_f32_e32 v1, v63, v0
	v_mul_f32_e32 v0, v63, v3
	v_fmac_f32_e32 v73, v63, v2
	s_delay_alu instid0(VALU_DEP_3) | instskip(SKIP_2) | instid1(VALU_DEP_1)
	v_add_f32_e32 v53, v53, v1
	s_wait_dscnt 0x0
	v_mul_f32_e32 v63, v64, v57
	v_dual_fmac_f32 v63, v65, v56 :: v_dual_fmac_f32 v76, v55, v2
	s_delay_alu instid0(VALU_DEP_1) | instskip(SKIP_4) | instid1(VALU_DEP_2)
	v_dual_add_f32 v55, v77, v76 :: v_dual_add_f32 v54, v60, v54
	v_fma_f32 v60, v62, v2, -v0
	ds_load_2addr_b64 v[0:3], v50 offset0:96 offset1:112
	v_mul_f32_e32 v62, v65, v57
	v_add_f32_e32 v60, v61, v60
	v_fma_f32 v61, v64, v56, -v62
	v_add_f32_e32 v74, v74, v80
	s_delay_alu instid0(VALU_DEP_2) | instskip(NEXT) | instid1(VALU_DEP_2)
	v_dual_mul_f32 v62, v65, v59 :: v_dual_add_f32 v61, v75, v61
	v_dual_add_f32 v73, v74, v73 :: v_dual_mul_f32 v76, v64, v59
	s_delay_alu instid0(VALU_DEP_2) | instskip(SKIP_2) | instid1(VALU_DEP_4)
	v_fma_f32 v62, v64, v58, -v62
	v_mul_f32_e32 v64, v69, v57
	v_mul_f32_e32 v57, v68, v57
	v_dual_add_f32 v63, v72, v63 :: v_dual_fmac_f32 v76, v65, v58
	s_wait_dscnt 0x0
	s_delay_alu instid0(VALU_DEP_2) | instskip(SKIP_1) | instid1(VALU_DEP_3)
	v_dual_mul_f32 v74, v66, v1 :: v_dual_fmac_f32 v57, v69, v56
	v_mul_f32_e32 v75, v67, v3
	v_add_f32_e32 v65, v55, v76
	v_fma_f32 v55, v68, v56, -v64
	v_mul_f32_e32 v64, v68, v59
	v_fmac_f32_e32 v74, v67, v0
	s_delay_alu instid0(VALU_DEP_2) | instskip(NEXT) | instid1(VALU_DEP_1)
	v_fmac_f32_e32 v64, v69, v58
	v_dual_add_f32 v73, v73, v64 :: v_dual_mul_f32 v64, v66, v3
	s_delay_alu instid0(VALU_DEP_1) | instskip(SKIP_2) | instid1(VALU_DEP_3)
	v_fmac_f32_e32 v64, v67, v2
	v_add_f32_e32 v62, v52, v62
	v_mul_f32_e32 v52, v69, v59
	v_add_f32_e32 v77, v65, v64
	s_delay_alu instid0(VALU_DEP_2) | instskip(NEXT) | instid1(VALU_DEP_1)
	v_fma_f32 v52, v68, v58, -v52
	v_dual_add_f32 v68, v54, v55 :: v_dual_add_f32 v69, v60, v52
	v_mul_f32_e32 v56, v67, v1
	v_mul_f32_e32 v67, v71, v3
	s_delay_alu instid0(VALU_DEP_2) | instskip(NEXT) | instid1(VALU_DEP_1)
	v_fma_f32 v60, v66, v0, -v56
	v_dual_add_f32 v76, v61, v60 :: v_dual_mul_f32 v61, v71, v1
	v_mul_f32_e32 v1, v70, v1
	v_fma_f32 v60, v66, v2, -v75
	s_delay_alu instid0(VALU_DEP_3) | instskip(NEXT) | instid1(VALU_DEP_3)
	v_fma_f32 v66, v70, v0, -v61
	v_fmac_f32_e32 v1, v71, v0
	v_fma_f32 v0, v70, v2, -v67
	s_delay_alu instid0(VALU_DEP_3) | instskip(NEXT) | instid1(VALU_DEP_2)
	v_dual_add_f32 v75, v62, v60 :: v_dual_add_f32 v78, v68, v66
	v_add_f32_e32 v79, v69, v0
	v_add_f32_e32 v72, v53, v57
	ds_load_b128 v[52:55], v43 offset:160
	ds_load_2addr_b64 v[56:59], v50 offset0:128 offset1:144
	ds_load_b128 v[64:67], v43 offset:176
	s_wait_dscnt 0x1
	v_mul_f32_e32 v80, v52, v59
	s_delay_alu instid0(VALU_DEP_1) | instskip(SKIP_4) | instid1(VALU_DEP_2)
	v_fmac_f32_e32 v80, v53, v58
	v_add_f32_e32 v74, v63, v74
	ds_load_b128 v[60:63], v43 offset:4256
	v_dual_mul_f32 v68, v70, v3 :: v_dual_mul_f32 v3, v53, v57
	v_dual_mul_f32 v70, v52, v57 :: v_dual_add_f32 v77, v77, v80
	v_dual_fmac_f32 v68, v71, v2 :: v_dual_mul_f32 v71, v53, v59
	s_delay_alu instid0(VALU_DEP_3) | instskip(NEXT) | instid1(VALU_DEP_3)
	v_fma_f32 v69, v52, v56, -v3
	v_fmac_f32_e32 v70, v53, v56
	s_delay_alu instid0(VALU_DEP_3) | instskip(NEXT) | instid1(VALU_DEP_4)
	v_add_f32_e32 v73, v73, v68
	v_fma_f32 v52, v52, v58, -v71
	s_wait_dscnt 0x0
	s_delay_alu instid0(VALU_DEP_1) | instskip(SKIP_3) | instid1(VALU_DEP_4)
	v_dual_add_f32 v52, v75, v52 :: v_dual_mul_f32 v81, v61, v57
	v_mul_f32_e32 v53, v60, v57
	v_mul_f32_e32 v57, v61, v59
	;; [unrolled: 1-line block ×3, first 2 shown]
	v_fma_f32 v75, v60, v56, -v81
	s_delay_alu instid0(VALU_DEP_4) | instskip(NEXT) | instid1(VALU_DEP_4)
	v_fmac_f32_e32 v53, v61, v56
	v_fma_f32 v56, v60, v58, -v57
	s_delay_alu instid0(VALU_DEP_1)
	v_dual_fmac_f32 v80, v61, v58 :: v_dual_add_f32 v61, v79, v56
	v_add_f32_e32 v72, v72, v1
	ds_load_2addr_b64 v[0:3], v50 offset0:160 offset1:176
	v_dual_add_f32 v73, v73, v80 :: v_dual_add_f32 v60, v78, v75
	v_add_f32_e32 v53, v72, v53
	v_add_f32_e32 v76, v76, v69
	s_wait_dscnt 0x0
	v_mul_f32_e32 v57, v55, v1
	v_mul_f32_e32 v78, v55, v3
	s_delay_alu instid0(VALU_DEP_2)
	v_fma_f32 v75, v54, v0, -v57
	ds_load_2addr_b64 v[56:59], v50 offset0:192 offset1:208
	v_dual_mul_f32 v72, v54, v1 :: v_dual_add_f32 v75, v76, v75
	v_mul_f32_e32 v76, v54, v3
	v_fma_f32 v54, v54, v2, -v78
	v_mul_f32_e32 v78, v63, v1
	v_mul_f32_e32 v1, v62, v1
	v_add_f32_e32 v74, v74, v70
	ds_load_b128 v[68:71], v43 offset:4272
	v_fmac_f32_e32 v72, v55, v0
	v_add_f32_e32 v52, v52, v54
	v_fma_f32 v54, v62, v0, -v78
	v_fmac_f32_e32 v1, v63, v0
	v_mul_f32_e32 v0, v63, v3
	v_add_f32_e32 v72, v74, v72
	v_fmac_f32_e32 v76, v55, v2
	v_mul_f32_e32 v74, v62, v3
	v_add_f32_e32 v54, v60, v54
	v_fma_f32 v60, v62, v2, -v0
	s_wait_dscnt 0x1
	v_mul_f32_e32 v62, v65, v57
	v_add_f32_e32 v55, v77, v76
	v_dual_add_f32 v53, v53, v1 :: v_dual_fmac_f32 v74, v63, v2
	ds_load_2addr_b64 v[0:3], v50 offset0:224 offset1:240
	v_add_f32_e32 v60, v61, v60
	v_fma_f32 v61, v64, v56, -v62
	v_mul_f32_e32 v62, v65, v59
	v_mul_f32_e32 v76, v64, v59
	;; [unrolled: 1-line block ×3, first 2 shown]
	v_add_f32_e32 v73, v73, v74
	v_add_f32_e32 v61, v75, v61
	v_fma_f32 v62, v64, v58, -v62
	v_fmac_f32_e32 v76, v65, v58
	s_wait_dscnt 0x1
	v_mul_f32_e32 v64, v69, v57
	v_fmac_f32_e32 v63, v65, v56
	v_mul_f32_e32 v57, v68, v57
	v_add_f32_e32 v65, v55, v76
	s_delay_alu instid0(VALU_DEP_4) | instskip(NEXT) | instid1(VALU_DEP_3)
	v_fma_f32 v55, v68, v56, -v64
	v_dual_mul_f32 v64, v68, v59 :: v_dual_fmac_f32 v57, v69, v56
	s_wait_dscnt 0x0
	v_mul_f32_e32 v74, v66, v1
	s_delay_alu instid0(VALU_DEP_2) | instskip(SKIP_2) | instid1(VALU_DEP_4)
	v_fmac_f32_e32 v64, v69, v58
	v_mul_f32_e32 v56, v67, v1
	v_mul_f32_e32 v75, v67, v3
	v_dual_add_f32 v63, v72, v63 :: v_dual_fmac_f32 v74, v67, v0
	s_delay_alu instid0(VALU_DEP_4) | instskip(SKIP_1) | instid1(VALU_DEP_3)
	v_dual_add_f32 v73, v73, v64 :: v_dual_mul_f32 v64, v66, v3
	v_add_f32_e32 v72, v53, v57
	v_add_f32_e32 v74, v63, v74
	s_delay_alu instid0(VALU_DEP_3) | instskip(SKIP_2) | instid1(VALU_DEP_3)
	v_fmac_f32_e32 v64, v67, v2
	v_dual_mul_f32 v67, v71, v3 :: v_dual_add_f32 v62, v52, v62
	v_mul_f32_e32 v52, v69, v59
	v_add_f32_e32 v77, v65, v64
	s_delay_alu instid0(VALU_DEP_2) | instskip(NEXT) | instid1(VALU_DEP_1)
	v_fma_f32 v52, v68, v58, -v52
	v_add_f32_e32 v69, v60, v52
	v_fma_f32 v60, v66, v0, -v56
	s_delay_alu instid0(VALU_DEP_1) | instskip(SKIP_2) | instid1(VALU_DEP_3)
	v_dual_add_f32 v76, v61, v60 :: v_dual_mul_f32 v61, v71, v1
	v_mul_f32_e32 v1, v70, v1
	v_fma_f32 v60, v66, v2, -v75
	v_fma_f32 v66, v70, v0, -v61
	s_delay_alu instid0(VALU_DEP_3) | instskip(SKIP_1) | instid1(VALU_DEP_4)
	v_fmac_f32_e32 v1, v71, v0
	v_fma_f32 v0, v70, v2, -v67
	v_add_f32_e32 v75, v62, v60
	s_delay_alu instid0(VALU_DEP_2)
	v_dual_add_f32 v79, v69, v0 :: v_dual_add_f32 v68, v54, v55
	ds_load_b128 v[52:55], v43 offset:192
	ds_load_2addr_b64 v[56:59], v51 offset1:16
	ds_load_b128 v[60:63], v43 offset:4288
	v_add_f32_e32 v78, v68, v66
	v_mul_f32_e32 v68, v70, v3
	ds_load_b128 v[64:67], v43 offset:208
	v_fmac_f32_e32 v68, v71, v2
	s_delay_alu instid0(VALU_DEP_1)
	v_add_f32_e32 v73, v73, v68
	s_wait_dscnt 0x2
	v_mul_f32_e32 v3, v53, v57
	v_dual_mul_f32 v70, v52, v57 :: v_dual_mul_f32 v71, v53, v59
	s_wait_dscnt 0x1
	v_dual_mul_f32 v80, v52, v59 :: v_dual_mul_f32 v81, v61, v57
	s_delay_alu instid0(VALU_DEP_3) | instskip(NEXT) | instid1(VALU_DEP_3)
	v_fma_f32 v69, v52, v56, -v3
	v_fmac_f32_e32 v70, v53, v56
	v_fma_f32 v52, v52, v58, -v71
	s_delay_alu instid0(VALU_DEP_3) | instskip(NEXT) | instid1(VALU_DEP_3)
	v_add_f32_e32 v76, v76, v69
	v_add_f32_e32 v74, v74, v70
	ds_load_b128 v[68:71], v43 offset:4304
	v_add_f32_e32 v72, v72, v1
	ds_load_2addr_b64 v[0:3], v51 offset0:32 offset1:48
	v_dual_fmac_f32 v80, v53, v58 :: v_dual_mul_f32 v53, v60, v57
	v_dual_mul_f32 v57, v61, v59 :: v_dual_add_f32 v52, v75, v52
	v_fma_f32 v75, v60, v56, -v81
	s_delay_alu instid0(VALU_DEP_3) | instskip(NEXT) | instid1(VALU_DEP_4)
	v_add_f32_e32 v77, v77, v80
	v_dual_fmac_f32 v53, v61, v56 :: v_dual_mul_f32 v80, v60, v59
	s_delay_alu instid0(VALU_DEP_4) | instskip(NEXT) | instid1(VALU_DEP_2)
	v_fma_f32 v56, v60, v58, -v57
	v_dual_add_f32 v60, v78, v75 :: v_dual_add_f32 v53, v72, v53
	s_delay_alu instid0(VALU_DEP_2) | instskip(NEXT) | instid1(VALU_DEP_1)
	v_dual_fmac_f32 v80, v61, v58 :: v_dual_add_f32 v61, v79, v56
	v_add_f32_e32 v73, v73, v80
	s_wait_dscnt 0x0
	v_mul_f32_e32 v57, v55, v1
	v_mul_f32_e32 v72, v54, v1
	;; [unrolled: 1-line block ×3, first 2 shown]
	s_delay_alu instid0(VALU_DEP_3)
	v_fma_f32 v75, v54, v0, -v57
	ds_load_2addr_b64 v[56:59], v51 offset0:64 offset1:80
	v_dual_fmac_f32 v72, v55, v0 :: v_dual_add_f32 v75, v76, v75
	v_mul_f32_e32 v76, v54, v3
	v_fma_f32 v54, v54, v2, -v78
	v_mul_f32_e32 v78, v63, v1
	v_mul_f32_e32 v1, v62, v1
	v_add_f32_e32 v72, v74, v72
	v_mul_f32_e32 v74, v62, v3
	v_add_f32_e32 v52, v52, v54
	v_fma_f32 v54, v62, v0, -v78
	v_fmac_f32_e32 v1, v63, v0
	v_mul_f32_e32 v0, v63, v3
	v_fmac_f32_e32 v76, v55, v2
	v_fmac_f32_e32 v74, v63, v2
	s_delay_alu instid0(VALU_DEP_4) | instskip(NEXT) | instid1(VALU_DEP_4)
	v_dual_add_f32 v54, v60, v54 :: v_dual_add_f32 v53, v53, v1
	v_fma_f32 v60, v62, v2, -v0
	s_wait_dscnt 0x0
	v_mul_f32_e32 v62, v65, v57
	ds_load_2addr_b64 v[0:3], v51 offset0:96 offset1:112
	v_dual_add_f32 v55, v77, v76 :: v_dual_mul_f32 v76, v64, v59
	v_add_f32_e32 v60, v61, v60
	v_fma_f32 v61, v64, v56, -v62
	v_dual_mul_f32 v62, v65, v59 :: v_dual_mul_f32 v63, v64, v57
	s_delay_alu instid0(VALU_DEP_4) | instskip(SKIP_1) | instid1(VALU_DEP_4)
	v_fmac_f32_e32 v76, v65, v58
	v_add_f32_e32 v73, v73, v74
	v_add_f32_e32 v61, v75, v61
	s_delay_alu instid0(VALU_DEP_4) | instskip(SKIP_3) | instid1(VALU_DEP_4)
	v_fma_f32 v62, v64, v58, -v62
	v_mul_f32_e32 v64, v69, v57
	v_mul_f32_e32 v57, v68, v57
	v_fmac_f32_e32 v63, v65, v56
	v_dual_add_f32 v65, v55, v76 :: v_dual_add_f32 v62, v52, v62
	v_mul_f32_e32 v52, v69, v59
	v_fma_f32 v55, v68, v56, -v64
	v_dual_fmac_f32 v57, v69, v56 :: v_dual_mul_f32 v64, v68, v59
	s_wait_dscnt 0x0
	v_mul_f32_e32 v56, v67, v1
	v_fma_f32 v52, v68, v58, -v52
	v_add_f32_e32 v63, v72, v63
	v_add_f32_e32 v68, v54, v55
	;; [unrolled: 1-line block ×3, first 2 shown]
	s_delay_alu instid0(VALU_DEP_4)
	v_dual_fmac_f32 v64, v69, v58 :: v_dual_add_f32 v69, v60, v52
	v_fma_f32 v60, v66, v0, -v56
	ds_load_b128 v[52:55], v43 offset:224
	ds_load_2addr_b64 v[56:59], v51 offset0:128 offset1:144
	v_mul_f32_e32 v75, v67, v3
	v_dual_add_f32 v73, v73, v64 :: v_dual_mul_f32 v64, v66, v3
	v_mul_f32_e32 v74, v66, v1
	s_delay_alu instid0(VALU_DEP_3) | instskip(SKIP_1) | instid1(VALU_DEP_4)
	v_fma_f32 v66, v66, v2, -v75
	v_dual_add_f32 v75, v61, v60 :: v_dual_mul_f32 v60, v71, v1
	v_fmac_f32_e32 v64, v67, v2
	s_delay_alu instid0(VALU_DEP_4) | instskip(NEXT) | instid1(VALU_DEP_4)
	v_fmac_f32_e32 v74, v67, v0
	v_add_f32_e32 v76, v62, v66
	v_mul_f32_e32 v1, v70, v1
	v_fma_f32 v66, v70, v0, -v60
	v_dual_add_f32 v77, v65, v64 :: v_dual_mul_f32 v64, v71, v3
	v_add_f32_e32 v74, v63, v74
	ds_load_b128 v[60:63], v43 offset:4320
	v_dual_fmac_f32 v1, v71, v0 :: v_dual_add_f32 v78, v68, v66
	v_mul_f32_e32 v68, v70, v3
	v_fma_f32 v0, v70, v2, -v64
	s_wait_dscnt 0x1
	v_mul_f32_e32 v3, v53, v57
	v_mul_f32_e32 v70, v53, v59
	;; [unrolled: 1-line block ×3, first 2 shown]
	v_dual_fmac_f32 v68, v71, v2 :: v_dual_add_f32 v79, v69, v0
	s_delay_alu instid0(VALU_DEP_4) | instskip(SKIP_2) | instid1(VALU_DEP_4)
	v_fma_f32 v69, v52, v56, -v3
	v_mul_f32_e32 v81, v52, v59
	v_fma_f32 v52, v52, v58, -v70
	v_add_f32_e32 v73, v73, v68
	ds_load_b128 v[64:67], v43 offset:240
	v_add_f32_e32 v75, v75, v69
	ds_load_b128 v[68:71], v43 offset:4336
	v_add_f32_e32 v72, v72, v1
	ds_load_2addr_b64 v[0:3], v51 offset0:160 offset1:176
	v_fmac_f32_e32 v80, v53, v56
	s_wait_dscnt 0x3
	v_mul_f32_e32 v82, v61, v57
	v_fmac_f32_e32 v81, v53, v58
	v_mul_f32_e32 v53, v60, v57
	v_add_f32_e32 v52, v76, v52
	v_mul_f32_e32 v76, v61, v59
	v_fma_f32 v57, v60, v56, -v82
	v_add_f32_e32 v74, v74, v80
	v_dual_fmac_f32 v53, v61, v56 :: v_dual_mul_f32 v80, v60, v59
	s_delay_alu instid0(VALU_DEP_4) | instskip(NEXT) | instid1(VALU_DEP_4)
	v_fma_f32 v56, v60, v58, -v76
	v_add_f32_e32 v78, v78, v57
	v_add_f32_e32 v77, v77, v81
	s_delay_alu instid0(VALU_DEP_4) | instskip(NEXT) | instid1(VALU_DEP_4)
	v_dual_add_f32 v53, v72, v53 :: v_dual_fmac_f32 v80, v61, v58
	v_add_f32_e32 v61, v79, v56
	s_wait_dscnt 0x0
	v_mul_f32_e32 v57, v55, v1
	v_mul_f32_e32 v60, v54, v1
	v_dual_mul_f32 v76, v55, v3 :: v_dual_add_f32 v73, v73, v80
	s_delay_alu instid0(VALU_DEP_3) | instskip(SKIP_4) | instid1(VALU_DEP_3)
	v_fma_f32 v72, v54, v0, -v57
	ds_load_2addr_b64 v[56:59], v51 offset0:192 offset1:208
	v_fmac_f32_e32 v60, v55, v0
	v_dual_add_f32 v72, v75, v72 :: v_dual_mul_f32 v75, v54, v3
	v_fma_f32 v54, v54, v2, -v76
	v_add_f32_e32 v60, v74, v60
	v_mul_f32_e32 v74, v63, v1
	v_mul_f32_e32 v1, v62, v1
	v_fmac_f32_e32 v75, v55, v2
	v_add_f32_e32 v52, v52, v54
	v_mul_f32_e32 v54, v63, v3
	v_fma_f32 v55, v62, v0, -v74
	s_delay_alu instid0(VALU_DEP_4) | instskip(SKIP_1) | instid1(VALU_DEP_4)
	v_dual_fmac_f32 v1, v63, v0 :: v_dual_add_f32 v74, v77, v75
	v_mul_f32_e32 v75, v62, v3
	v_fma_f32 v0, v62, v2, -v54
	s_delay_alu instid0(VALU_DEP_3)
	v_dual_add_f32 v54, v78, v55 :: v_dual_add_f32 v53, v53, v1
	s_wait_dscnt 0x0
	v_mul_f32_e32 v55, v65, v57
	v_fmac_f32_e32 v75, v63, v2
	v_add_f32_e32 v61, v61, v0
	ds_load_2addr_b64 v[0:3], v51 offset0:224 offset1:240
	v_mul_f32_e32 v62, v64, v57
	v_fma_f32 v55, v64, v56, -v55
	v_add_f32_e32 v63, v73, v75
	v_mul_f32_e32 v73, v65, v59
	s_delay_alu instid0(VALU_DEP_4) | instskip(NEXT) | instid1(VALU_DEP_4)
	v_dual_mul_f32 v75, v64, v59 :: v_dual_fmac_f32 v62, v65, v56
	v_dual_add_f32 v55, v72, v55 :: v_dual_mul_f32 v72, v69, v57
	s_delay_alu instid0(VALU_DEP_3) | instskip(SKIP_1) | instid1(VALU_DEP_4)
	v_fma_f32 v64, v64, v58, -v73
	v_mul_f32_e32 v57, v68, v57
	v_add_f32_e32 v60, v60, v62
	v_fmac_f32_e32 v75, v65, v58
	v_fma_f32 v62, v68, v56, -v72
	v_add_f32_e32 v52, v52, v64
	v_mul_f32_e32 v64, v69, v59
	v_dual_fmac_f32 v57, v69, v56 :: v_dual_mul_f32 v56, v68, v59
	s_delay_alu instid0(VALU_DEP_4) | instskip(SKIP_1) | instid1(VALU_DEP_4)
	v_add_f32_e32 v54, v54, v62
	v_add_f32_e32 v65, v74, v75
	v_fma_f32 v59, v68, v58, -v64
	s_wait_dscnt 0x0
	v_mul_f32_e32 v62, v67, v1
	v_mul_f32_e32 v64, v66, v1
	v_add_f32_e32 v53, v53, v57
	v_fmac_f32_e32 v56, v69, v58
	v_add_f32_e32 v61, v61, v59
	v_fma_f32 v57, v66, v0, -v62
	v_fmac_f32_e32 v64, v67, v0
	v_mul_f32_e32 v62, v67, v3
	v_dual_mul_f32 v68, v66, v3 :: v_dual_add_f32 v63, v63, v56
	s_delay_alu instid0(VALU_DEP_3) | instskip(NEXT) | instid1(VALU_DEP_3)
	v_dual_add_f32 v58, v55, v57 :: v_dual_add_f32 v59, v60, v64
	v_fma_f32 v55, v66, v2, -v62
	v_mul_f32_e32 v57, v71, v1
	v_dual_mul_f32 v1, v70, v1 :: v_dual_mul_f32 v60, v71, v3
	v_dual_mul_f32 v3, v70, v3 :: v_dual_fmac_f32 v68, v67, v2
	s_delay_alu instid0(VALU_DEP_4) | instskip(NEXT) | instid1(VALU_DEP_4)
	v_add_f32_e32 v56, v52, v55
	v_fma_f32 v52, v70, v0, -v57
	s_delay_alu instid0(VALU_DEP_4) | instskip(SKIP_3) | instid1(VALU_DEP_4)
	v_fmac_f32_e32 v1, v71, v0
	v_fma_f32 v0, v70, v2, -v60
	v_fmac_f32_e32 v3, v71, v2
	v_add_f32_e32 v57, v65, v68
	v_dual_add_f32 v54, v54, v52 :: v_dual_add_f32 v55, v53, v1
	s_delay_alu instid0(VALU_DEP_3)
	v_dual_add_f32 v53, v61, v0 :: v_dual_add_f32 v52, v63, v3
	s_wait_loadcnt 0x0
	s_barrier_signal -1
	s_barrier_wait -1
	global_inv scope:SCOPE_SE
	s_cbranch_scc1 .LBB90_60
.LBB90_11:                              ;   Parent Loop BB90_4 Depth=1
                                        ;     Parent Loop BB90_8 Depth=2
                                        ; =>    This Inner Loop Header: Depth=3
	s_wait_alu 0xfffe
	v_add_co_u32 v0, s5, v18, s54
	s_wait_alu 0xf1ff
	v_add_co_ci_u32_e64 v1, null, s55, v19, s5
	v_cmp_eq_u64_e64 s7, s[54:55], v[22:23]
	v_add_co_u32 v2, s8, v32, v24
	s_delay_alu instid0(VALU_DEP_3)
	v_cmp_lt_i64_e64 s5, v[0:1], v[20:21]
	v_cmp_le_i64_e64 s6, s[42:43], v[0:1]
	s_wait_alu 0xf1ff
	v_add_co_ci_u32_e64 v3, null, v33, v25, s8
	s_and_b32 s64, s58, s7
	s_or_b32 s8, vcc_lo, s5
	s_wait_alu 0xfffe
	s_or_b32 s7, s6, s8
	s_wait_alu 0xfffe
	s_nor_b32 s7, s7, s64
	s_wait_alu 0xfffe
	s_and_saveexec_b32 s8, s7
	s_wait_alu 0xfffe
	s_xor_b32 s7, exec_lo, s8
	s_cbranch_execz .LBB90_13
; %bb.12:                               ;   in Loop: Header=BB90_11 Depth=3
	global_load_b64 v[60:61], v[2:3], off
	s_wait_loadcnt 0x0
	ds_store_b64 v45, v[60:61]
.LBB90_13:                              ;   in Loop: Header=BB90_11 Depth=3
	s_wait_alu 0xfffe
	s_or_saveexec_b32 s7, s7
	s_xor_b32 s63, s64, -1
	s_wait_alu 0xfffe
	s_xor_b32 exec_lo, exec_lo, s7
	s_cbranch_execz .LBB90_19
; %bb.14:                               ;   in Loop: Header=BB90_11 Depth=3
	s_and_saveexec_b32 s8, s63
	s_wait_alu 0xfffe
	s_xor_b32 s8, exec_lo, s8
; %bb.15:                               ;   in Loop: Header=BB90_11 Depth=3
	v_dual_mov_b32 v60, v11 :: v_dual_mov_b32 v61, v11
	ds_store_b64 v45, v[60:61]
; %bb.16:                               ;   in Loop: Header=BB90_11 Depth=3
	s_wait_alu 0xfffe
	s_and_not1_saveexec_b32 s8, s8
; %bb.17:                               ;   in Loop: Header=BB90_11 Depth=3
	ds_store_b64 v45, v[10:11]
; %bb.18:                               ;   in Loop: Header=BB90_11 Depth=3
	s_wait_alu 0xfffe
	s_or_b32 exec_lo, exec_lo, s8
.LBB90_19:                              ;   in Loop: Header=BB90_11 Depth=3
	s_delay_alu instid0(SALU_CYCLE_1) | instskip(SKIP_4) | instid1(VALU_DEP_2)
	s_or_b32 exec_lo, exec_lo, s7
	v_add_co_u32 v60, s7, v0, 16
	s_wait_alu 0xf1ff
	v_add_co_ci_u32_e64 v61, null, 0, v1, s7
	v_cmp_eq_u64_e64 s9, s[54:55], v[38:39]
	v_cmp_lt_i64_e64 s8, v[60:61], v[20:21]
	v_cmp_le_i64_e64 s7, s[42:43], v[60:61]
	s_and_b32 s9, s58, s9
	s_or_b32 s8, vcc_lo, s8
	s_wait_alu 0xfffe
	s_or_b32 s8, s7, s8
	s_wait_alu 0xfffe
	s_nor_b32 s8, s8, s9
	s_wait_alu 0xfffe
	s_and_saveexec_b32 s65, s8
	s_delay_alu instid0(SALU_CYCLE_1)
	s_xor_b32 s65, exec_lo, s65
	s_cbranch_execz .LBB90_21
; %bb.20:                               ;   in Loop: Header=BB90_11 Depth=3
	v_add_co_u32 v60, s8, v30, v24
	s_wait_alu 0xf1ff
	v_add_co_ci_u32_e64 v61, null, v31, v25, s8
	global_load_b64 v[60:61], v[60:61], off
	s_wait_loadcnt 0x0
	ds_store_b64 v45, v[60:61] offset:128
.LBB90_21:                              ;   in Loop: Header=BB90_11 Depth=3
	s_and_not1_saveexec_b32 s8, s65
	s_cbranch_execz .LBB90_27
; %bb.22:                               ;   in Loop: Header=BB90_11 Depth=3
	s_xor_b32 s9, s9, -1
	s_wait_alu 0xfffe
	s_and_saveexec_b32 s65, s9
	s_delay_alu instid0(SALU_CYCLE_1)
	s_xor_b32 s9, exec_lo, s65
; %bb.23:                               ;   in Loop: Header=BB90_11 Depth=3
	v_dual_mov_b32 v60, v11 :: v_dual_mov_b32 v61, v11
	ds_store_b64 v45, v[60:61] offset:128
; %bb.24:                               ;   in Loop: Header=BB90_11 Depth=3
	s_wait_alu 0xfffe
	s_and_not1_saveexec_b32 s9, s9
; %bb.25:                               ;   in Loop: Header=BB90_11 Depth=3
	ds_store_b64 v45, v[10:11] offset:128
; %bb.26:                               ;   in Loop: Header=BB90_11 Depth=3
	s_wait_alu 0xfffe
	s_or_b32 exec_lo, exec_lo, s9
.LBB90_27:                              ;   in Loop: Header=BB90_11 Depth=3
	s_wait_alu 0xfffe
	s_or_b32 exec_lo, exec_lo, s8
	v_cmp_eq_u64_e64 s8, s[54:55], v[36:37]
	v_cmp_lt_i64_e64 s9, v[0:1], v[34:35]
	s_and_b32 s8, s58, s8
	s_or_b32 s9, s4, s9
	s_wait_alu 0xfffe
	s_or_b32 s9, s9, s8
	s_wait_alu 0xfffe
	s_nor_b32 s6, s6, s9
	s_wait_alu 0xfffe
	s_and_saveexec_b32 s9, s6
	s_wait_alu 0xfffe
	s_xor_b32 s6, exec_lo, s9
	s_cbranch_execz .LBB90_29
; %bb.28:                               ;   in Loop: Header=BB90_11 Depth=3
	global_load_b64 v[0:1], v[2:3], off offset:128
	s_wait_loadcnt 0x0
	ds_store_b64 v45, v[0:1] offset:4096
.LBB90_29:                              ;   in Loop: Header=BB90_11 Depth=3
	s_wait_alu 0xfffe
	s_and_not1_saveexec_b32 s6, s6
	s_cbranch_execz .LBB90_35
; %bb.30:                               ;   in Loop: Header=BB90_11 Depth=3
	s_xor_b32 s8, s8, -1
	s_wait_alu 0xfffe
	s_and_saveexec_b32 s9, s8
	s_wait_alu 0xfffe
	s_xor_b32 s8, exec_lo, s9
; %bb.31:                               ;   in Loop: Header=BB90_11 Depth=3
	v_dual_mov_b32 v0, v11 :: v_dual_mov_b32 v1, v11
	ds_store_b64 v45, v[0:1] offset:4096
; %bb.32:                               ;   in Loop: Header=BB90_11 Depth=3
	s_wait_alu 0xfffe
	s_and_not1_saveexec_b32 s8, s8
; %bb.33:                               ;   in Loop: Header=BB90_11 Depth=3
	ds_store_b64 v45, v[10:11] offset:4096
; %bb.34:                               ;   in Loop: Header=BB90_11 Depth=3
	s_wait_alu 0xfffe
	s_or_b32 exec_lo, exec_lo, s8
.LBB90_35:                              ;   in Loop: Header=BB90_11 Depth=3
	s_wait_alu 0xfffe
	s_or_b32 exec_lo, exec_lo, s6
	s_or_b32 s5, s4, s5
	s_wait_alu 0xfffe
	s_or_b32 s5, s7, s5
	s_wait_alu 0xfffe
	s_nor_b32 s5, s5, s64
	s_wait_alu 0xfffe
	s_and_saveexec_b32 s6, s5
	s_wait_alu 0xfffe
	s_xor_b32 s6, exec_lo, s6
	s_cbranch_execz .LBB90_37
; %bb.36:                               ;   in Loop: Header=BB90_11 Depth=3
	v_add_co_u32 v0, s5, v30, v24
	s_wait_alu 0xf1ff
	v_add_co_ci_u32_e64 v1, null, v31, v25, s5
	global_load_b64 v[0:1], v[0:1], off offset:128
	s_wait_loadcnt 0x0
	ds_store_b64 v45, v[0:1] offset:4224
.LBB90_37:                              ;   in Loop: Header=BB90_11 Depth=3
	s_wait_alu 0xfffe
	s_and_not1_saveexec_b32 s5, s6
	s_cbranch_execz .LBB90_43
; %bb.38:                               ;   in Loop: Header=BB90_11 Depth=3
	s_and_saveexec_b32 s6, s63
	s_wait_alu 0xfffe
	s_xor_b32 s6, exec_lo, s6
; %bb.39:                               ;   in Loop: Header=BB90_11 Depth=3
	v_dual_mov_b32 v0, v11 :: v_dual_mov_b32 v1, v11
	ds_store_b64 v45, v[0:1] offset:4224
; %bb.40:                               ;   in Loop: Header=BB90_11 Depth=3
	s_wait_alu 0xfffe
	s_and_not1_saveexec_b32 s6, s6
; %bb.41:                               ;   in Loop: Header=BB90_11 Depth=3
	ds_store_b64 v45, v[10:11] offset:4224
; %bb.42:                               ;   in Loop: Header=BB90_11 Depth=3
	s_wait_alu 0xfffe
	s_or_b32 exec_lo, exec_lo, s6
.LBB90_43:                              ;   in Loop: Header=BB90_11 Depth=3
	s_wait_alu 0xfffe
	s_or_b32 exec_lo, exec_lo, s5
	v_add_co_u32 v0, s5, v16, s54
	s_wait_alu 0xf1ff
	v_add_co_ci_u32_e64 v1, null, s55, v17, s5
	v_add_co_u32 v2, s6, v40, v26
	s_wait_alu 0xf1ff
	v_add_co_ci_u32_e64 v3, null, v41, v27, s6
	s_delay_alu instid0(VALU_DEP_3)
	v_cmp_le_i64_e64 s5, s[42:43], v[0:1]
	s_nor_b32 s6, s5, s2
	s_wait_alu 0xfffe
	s_and_saveexec_b32 s7, s6
	s_wait_alu 0xfffe
	s_xor_b32 s6, exec_lo, s7
	s_cbranch_execz .LBB90_45
; %bb.44:                               ;   in Loop: Header=BB90_11 Depth=3
	global_load_b64 v[60:61], v[2:3], off offset:-128
	s_wait_loadcnt 0x0
	ds_store_b64 v46, v[60:61]
.LBB90_45:                              ;   in Loop: Header=BB90_11 Depth=3
	s_wait_alu 0xfffe
	s_and_not1_saveexec_b32 s6, s6
; %bb.46:                               ;   in Loop: Header=BB90_11 Depth=3
	v_dual_mov_b32 v60, v11 :: v_dual_mov_b32 v61, v11
	ds_store_b64 v46, v[60:61]
; %bb.47:                               ;   in Loop: Header=BB90_11 Depth=3
	s_wait_alu 0xfffe
	s_or_b32 exec_lo, exec_lo, s6
	s_nor_b32 s5, s5, s3
	s_wait_alu 0xfffe
	s_and_saveexec_b32 s6, s5
	s_wait_alu 0xfffe
	s_xor_b32 s5, exec_lo, s6
	s_cbranch_execz .LBB90_49
; %bb.48:                               ;   in Loop: Header=BB90_11 Depth=3
	global_load_b64 v[2:3], v[2:3], off
	s_wait_loadcnt 0x0
	ds_store_b64 v46, v[2:3] offset:128
.LBB90_49:                              ;   in Loop: Header=BB90_11 Depth=3
	s_wait_alu 0xfffe
	s_and_not1_saveexec_b32 s5, s5
; %bb.50:                               ;   in Loop: Header=BB90_11 Depth=3
	v_dual_mov_b32 v2, v11 :: v_dual_mov_b32 v3, v11
	ds_store_b64 v46, v[2:3] offset:128
; %bb.51:                               ;   in Loop: Header=BB90_11 Depth=3
	s_wait_alu 0xfffe
	s_or_b32 exec_lo, exec_lo, s5
	v_cmp_le_i64_e64 s5, s[50:51], v[0:1]
	v_add_co_u32 v0, s6, v40, v28
	s_wait_alu 0xf1ff
	v_add_co_ci_u32_e64 v1, null, v41, v29, s6
	s_nor_b32 s6, s5, s2
	s_wait_alu 0xfffe
	s_and_saveexec_b32 s7, s6
	s_wait_alu 0xfffe
	s_xor_b32 s6, exec_lo, s7
	s_cbranch_execz .LBB90_53
; %bb.52:                               ;   in Loop: Header=BB90_11 Depth=3
	global_load_b64 v[2:3], v[0:1], off offset:-128
	s_wait_loadcnt 0x0
	ds_store_b64 v46, v[2:3] offset:4096
.LBB90_53:                              ;   in Loop: Header=BB90_11 Depth=3
	s_wait_alu 0xfffe
	s_and_not1_saveexec_b32 s6, s6
; %bb.54:                               ;   in Loop: Header=BB90_11 Depth=3
	v_dual_mov_b32 v2, v11 :: v_dual_mov_b32 v3, v11
	ds_store_b64 v46, v[2:3] offset:4096
; %bb.55:                               ;   in Loop: Header=BB90_11 Depth=3
	s_wait_alu 0xfffe
	s_or_b32 exec_lo, exec_lo, s6
	s_nor_b32 s5, s5, s3
	s_wait_alu 0xfffe
	s_and_saveexec_b32 s6, s5
	s_wait_alu 0xfffe
	s_xor_b32 s5, exec_lo, s6
	s_cbranch_execz .LBB90_57
; %bb.56:                               ;   in Loop: Header=BB90_11 Depth=3
	global_load_b64 v[0:1], v[0:1], off
	s_wait_loadcnt 0x0
	ds_store_b64 v46, v[0:1] offset:4224
.LBB90_57:                              ;   in Loop: Header=BB90_11 Depth=3
	s_wait_alu 0xfffe
	s_and_not1_saveexec_b32 s5, s5
	s_cbranch_execz .LBB90_10
; %bb.58:                               ;   in Loop: Header=BB90_11 Depth=3
	v_dual_mov_b32 v0, v11 :: v_dual_mov_b32 v1, v11
	ds_store_b64 v46, v[0:1] offset:4224
	s_branch .LBB90_10
.LBB90_59:                              ;   in Loop: Header=BB90_8 Depth=2
	v_dual_mov_b32 v58, 0 :: v_dual_mov_b32 v59, 0
	v_dual_mov_b32 v56, 0 :: v_dual_mov_b32 v57, 0
	;; [unrolled: 1-line block ×4, first 2 shown]
.LBB90_60:                              ;   in Loop: Header=BB90_8 Depth=2
	v_mul_lo_u32 v2, s29, v20
	v_mul_lo_u32 v3, s28, v21
	v_mad_co_u64_u32 v[0:1], null, s28, v20, 0
	v_cmp_gt_i32_e32 vcc_lo, s10, v20
	s_delay_alu instid0(VALU_DEP_2) | instskip(NEXT) | instid1(VALU_DEP_1)
	v_add3_u32 v1, v1, v3, v2
	v_lshlrev_b64_e32 v[0:1], 3, v[0:1]
	s_delay_alu instid0(VALU_DEP_1) | instskip(SKIP_1) | instid1(VALU_DEP_2)
	v_add_co_u32 v0, s4, s38, v0
	s_wait_alu 0xf1ff
	v_add_co_ci_u32_e64 v1, null, s39, v1, s4
	s_and_b32 s4, s0, vcc_lo
	s_wait_alu 0xfffe
	s_and_saveexec_b32 s5, s4
	s_cbranch_execz .LBB90_62
; %bb.61:                               ;   in Loop: Header=BB90_8 Depth=2
	v_add_co_u32 v2, s4, v0, v6
	s_wait_alu 0xf1ff
	v_add_co_ci_u32_e64 v3, null, v1, v7, s4
	v_mul_f32_e32 v17, v59, v13
	v_mul_f32_e32 v19, v59, v12
	global_load_b64 v[21:22], v[2:3], off
	v_fma_f32 v17, v58, v12, -v17
	v_fmac_f32_e32 v19, v58, v13
	s_wait_loadcnt 0x0
	s_delay_alu instid0(VALU_DEP_1)
	v_dual_add_f32 v21, v21, v17 :: v_dual_add_f32 v22, v19, v22
	global_store_b64 v[2:3], v[21:22], off
.LBB90_62:                              ;   in Loop: Header=BB90_8 Depth=2
	s_wait_alu 0xfffe
	s_or_b32 exec_lo, exec_lo, s5
	s_and_b32 s5, s1, vcc_lo
	s_wait_alu 0xfffe
	s_and_saveexec_b32 s4, s5
	s_cbranch_execz .LBB90_64
; %bb.63:                               ;   in Loop: Header=BB90_8 Depth=2
	v_lshlrev_b64_e32 v[2:3], 3, v[4:5]
	v_mul_f32_e32 v17, v57, v13
	s_delay_alu instid0(VALU_DEP_1) | instskip(NEXT) | instid1(VALU_DEP_3)
	v_fma_f32 v17, v56, v12, -v17
	v_add_co_u32 v0, vcc_lo, v0, v2
	s_wait_alu 0xfffd
	s_delay_alu instid0(VALU_DEP_4) | instskip(SKIP_3) | instid1(VALU_DEP_1)
	v_add_co_ci_u32_e64 v1, null, v1, v3, vcc_lo
	global_load_b64 v[2:3], v[0:1], off
	s_wait_loadcnt 0x0
	v_dual_mul_f32 v19, v57, v12 :: v_dual_add_f32 v2, v2, v17
	v_fmac_f32_e32 v19, v56, v13
	s_delay_alu instid0(VALU_DEP_1)
	v_add_f32_e32 v3, v19, v3
	global_store_b64 v[0:1], v[2:3], off
.LBB90_64:                              ;   in Loop: Header=BB90_8 Depth=2
	s_wait_alu 0xfffe
	s_or_b32 exec_lo, exec_lo, s4
	v_add_nc_u32_e32 v2, 16, v20
	s_delay_alu instid0(VALU_DEP_1) | instskip(SKIP_3) | instid1(VALU_DEP_4)
	v_ashrrev_i32_e32 v3, 31, v2
	v_mul_lo_u32 v17, s29, v2
	v_mad_co_u64_u32 v[0:1], null, s28, v2, 0
	v_cmp_gt_i32_e32 vcc_lo, s10, v2
	v_mul_lo_u32 v3, s28, v3
	s_delay_alu instid0(VALU_DEP_1) | instskip(NEXT) | instid1(VALU_DEP_1)
	v_add3_u32 v1, v1, v3, v17
	v_lshlrev_b64_e32 v[0:1], 3, v[0:1]
	s_delay_alu instid0(VALU_DEP_1) | instskip(SKIP_1) | instid1(VALU_DEP_2)
	v_add_co_u32 v0, s4, s38, v0
	s_wait_alu 0xf1ff
	v_add_co_ci_u32_e64 v1, null, s39, v1, s4
	s_and_b32 s4, s0, vcc_lo
	s_wait_alu 0xfffe
	s_and_saveexec_b32 s5, s4
	s_cbranch_execz .LBB90_66
; %bb.65:                               ;   in Loop: Header=BB90_8 Depth=2
	v_add_co_u32 v2, s4, v0, v6
	s_wait_alu 0xf1ff
	v_add_co_ci_u32_e64 v3, null, v1, v7, s4
	v_mul_f32_e32 v21, v55, v12
	global_load_b64 v[19:20], v[2:3], off
	v_fmac_f32_e32 v21, v54, v13
	s_wait_loadcnt 0x0
	s_delay_alu instid0(VALU_DEP_1) | instskip(NEXT) | instid1(VALU_DEP_1)
	v_dual_mul_f32 v17, v55, v13 :: v_dual_add_f32 v20, v21, v20
	v_fma_f32 v17, v54, v12, -v17
	s_delay_alu instid0(VALU_DEP_1)
	v_add_f32_e32 v19, v19, v17
	global_store_b64 v[2:3], v[19:20], off
.LBB90_66:                              ;   in Loop: Header=BB90_8 Depth=2
	s_wait_alu 0xfffe
	s_or_b32 exec_lo, exec_lo, s5
	s_and_b32 s5, s1, vcc_lo
	s_wait_alu 0xfffe
	s_and_saveexec_b32 s4, s5
	s_cbranch_execz .LBB90_7
; %bb.67:                               ;   in Loop: Header=BB90_8 Depth=2
	v_lshlrev_b64_e32 v[2:3], 3, v[4:5]
	v_mul_f32_e32 v17, v52, v13
	s_delay_alu instid0(VALU_DEP_1) | instskip(NEXT) | instid1(VALU_DEP_3)
	v_fma_f32 v17, v53, v12, -v17
	v_add_co_u32 v0, vcc_lo, v0, v2
	s_wait_alu 0xfffd
	s_delay_alu instid0(VALU_DEP_4) | instskip(SKIP_3) | instid1(VALU_DEP_1)
	v_add_co_ci_u32_e64 v1, null, v1, v3, vcc_lo
	global_load_b64 v[2:3], v[0:1], off
	s_wait_loadcnt 0x0
	v_dual_mul_f32 v19, v52, v12 :: v_dual_add_f32 v2, v2, v17
	v_fmac_f32_e32 v19, v53, v13
	s_delay_alu instid0(VALU_DEP_1)
	v_add_f32_e32 v3, v19, v3
	global_store_b64 v[0:1], v[2:3], off
	s_branch .LBB90_7
.LBB90_68:
	s_endpgm
	.section	.rodata,"a",@progbits
	.p2align	6, 0x0
	.amdhsa_kernel _ZL30rocblas_trmm_outofplace_kernelI19rocblas_complex_numIfELi32ELi2ELb0ELb1ELb1ELb0EPKS1_S2_S1_Ev17rocblas_diagonal_iiT6_lPT7_lllS7_lllPT8_llli
		.amdhsa_group_segment_fixed_size 16384
		.amdhsa_private_segment_fixed_size 0
		.amdhsa_kernarg_size 392
		.amdhsa_user_sgpr_count 2
		.amdhsa_user_sgpr_dispatch_ptr 0
		.amdhsa_user_sgpr_queue_ptr 0
		.amdhsa_user_sgpr_kernarg_segment_ptr 1
		.amdhsa_user_sgpr_dispatch_id 0
		.amdhsa_user_sgpr_private_segment_size 0
		.amdhsa_wavefront_size32 1
		.amdhsa_uses_dynamic_stack 0
		.amdhsa_enable_private_segment 0
		.amdhsa_system_sgpr_workgroup_id_x 1
		.amdhsa_system_sgpr_workgroup_id_y 1
		.amdhsa_system_sgpr_workgroup_id_z 1
		.amdhsa_system_sgpr_workgroup_info 0
		.amdhsa_system_vgpr_workitem_id 1
		.amdhsa_next_free_vgpr 94
		.amdhsa_next_free_sgpr 66
		.amdhsa_reserve_vcc 1
		.amdhsa_float_round_mode_32 0
		.amdhsa_float_round_mode_16_64 0
		.amdhsa_float_denorm_mode_32 3
		.amdhsa_float_denorm_mode_16_64 3
		.amdhsa_fp16_overflow 0
		.amdhsa_workgroup_processor_mode 1
		.amdhsa_memory_ordered 1
		.amdhsa_forward_progress 1
		.amdhsa_inst_pref_size 60
		.amdhsa_round_robin_scheduling 0
		.amdhsa_exception_fp_ieee_invalid_op 0
		.amdhsa_exception_fp_denorm_src 0
		.amdhsa_exception_fp_ieee_div_zero 0
		.amdhsa_exception_fp_ieee_overflow 0
		.amdhsa_exception_fp_ieee_underflow 0
		.amdhsa_exception_fp_ieee_inexact 0
		.amdhsa_exception_int_div_zero 0
	.end_amdhsa_kernel
	.section	.text._ZL30rocblas_trmm_outofplace_kernelI19rocblas_complex_numIfELi32ELi2ELb0ELb1ELb1ELb0EPKS1_S2_S1_Ev17rocblas_diagonal_iiT6_lPT7_lllS7_lllPT8_llli,"axG",@progbits,_ZL30rocblas_trmm_outofplace_kernelI19rocblas_complex_numIfELi32ELi2ELb0ELb1ELb1ELb0EPKS1_S2_S1_Ev17rocblas_diagonal_iiT6_lPT7_lllS7_lllPT8_llli,comdat
.Lfunc_end90:
	.size	_ZL30rocblas_trmm_outofplace_kernelI19rocblas_complex_numIfELi32ELi2ELb0ELb1ELb1ELb0EPKS1_S2_S1_Ev17rocblas_diagonal_iiT6_lPT7_lllS7_lllPT8_llli, .Lfunc_end90-_ZL30rocblas_trmm_outofplace_kernelI19rocblas_complex_numIfELi32ELi2ELb0ELb1ELb1ELb0EPKS1_S2_S1_Ev17rocblas_diagonal_iiT6_lPT7_lllS7_lllPT8_llli
                                        ; -- End function
	.set _ZL30rocblas_trmm_outofplace_kernelI19rocblas_complex_numIfELi32ELi2ELb0ELb1ELb1ELb0EPKS1_S2_S1_Ev17rocblas_diagonal_iiT6_lPT7_lllS7_lllPT8_llli.num_vgpr, 94
	.set _ZL30rocblas_trmm_outofplace_kernelI19rocblas_complex_numIfELi32ELi2ELb0ELb1ELb1ELb0EPKS1_S2_S1_Ev17rocblas_diagonal_iiT6_lPT7_lllS7_lllPT8_llli.num_agpr, 0
	.set _ZL30rocblas_trmm_outofplace_kernelI19rocblas_complex_numIfELi32ELi2ELb0ELb1ELb1ELb0EPKS1_S2_S1_Ev17rocblas_diagonal_iiT6_lPT7_lllS7_lllPT8_llli.numbered_sgpr, 66
	.set _ZL30rocblas_trmm_outofplace_kernelI19rocblas_complex_numIfELi32ELi2ELb0ELb1ELb1ELb0EPKS1_S2_S1_Ev17rocblas_diagonal_iiT6_lPT7_lllS7_lllPT8_llli.num_named_barrier, 0
	.set _ZL30rocblas_trmm_outofplace_kernelI19rocblas_complex_numIfELi32ELi2ELb0ELb1ELb1ELb0EPKS1_S2_S1_Ev17rocblas_diagonal_iiT6_lPT7_lllS7_lllPT8_llli.private_seg_size, 0
	.set _ZL30rocblas_trmm_outofplace_kernelI19rocblas_complex_numIfELi32ELi2ELb0ELb1ELb1ELb0EPKS1_S2_S1_Ev17rocblas_diagonal_iiT6_lPT7_lllS7_lllPT8_llli.uses_vcc, 1
	.set _ZL30rocblas_trmm_outofplace_kernelI19rocblas_complex_numIfELi32ELi2ELb0ELb1ELb1ELb0EPKS1_S2_S1_Ev17rocblas_diagonal_iiT6_lPT7_lllS7_lllPT8_llli.uses_flat_scratch, 0
	.set _ZL30rocblas_trmm_outofplace_kernelI19rocblas_complex_numIfELi32ELi2ELb0ELb1ELb1ELb0EPKS1_S2_S1_Ev17rocblas_diagonal_iiT6_lPT7_lllS7_lllPT8_llli.has_dyn_sized_stack, 0
	.set _ZL30rocblas_trmm_outofplace_kernelI19rocblas_complex_numIfELi32ELi2ELb0ELb1ELb1ELb0EPKS1_S2_S1_Ev17rocblas_diagonal_iiT6_lPT7_lllS7_lllPT8_llli.has_recursion, 0
	.set _ZL30rocblas_trmm_outofplace_kernelI19rocblas_complex_numIfELi32ELi2ELb0ELb1ELb1ELb0EPKS1_S2_S1_Ev17rocblas_diagonal_iiT6_lPT7_lllS7_lllPT8_llli.has_indirect_call, 0
	.section	.AMDGPU.csdata,"",@progbits
; Kernel info:
; codeLenInByte = 7624
; TotalNumSgprs: 68
; NumVgprs: 94
; ScratchSize: 0
; MemoryBound: 1
; FloatMode: 240
; IeeeMode: 1
; LDSByteSize: 16384 bytes/workgroup (compile time only)
; SGPRBlocks: 0
; VGPRBlocks: 11
; NumSGPRsForWavesPerEU: 68
; NumVGPRsForWavesPerEU: 94
; Occupancy: 16
; WaveLimiterHint : 0
; COMPUTE_PGM_RSRC2:SCRATCH_EN: 0
; COMPUTE_PGM_RSRC2:USER_SGPR: 2
; COMPUTE_PGM_RSRC2:TRAP_HANDLER: 0
; COMPUTE_PGM_RSRC2:TGID_X_EN: 1
; COMPUTE_PGM_RSRC2:TGID_Y_EN: 1
; COMPUTE_PGM_RSRC2:TGID_Z_EN: 1
; COMPUTE_PGM_RSRC2:TIDIG_COMP_CNT: 1
	.section	.text._ZL30rocblas_trmm_outofplace_kernelI19rocblas_complex_numIfELi32ELi2ELb0ELb1ELb1ELb0ES1_KS1_S1_Ev17rocblas_diagonal_iiT6_lPT7_lllS6_lllPT8_llli,"axG",@progbits,_ZL30rocblas_trmm_outofplace_kernelI19rocblas_complex_numIfELi32ELi2ELb0ELb1ELb1ELb0ES1_KS1_S1_Ev17rocblas_diagonal_iiT6_lPT7_lllS6_lllPT8_llli,comdat
	.globl	_ZL30rocblas_trmm_outofplace_kernelI19rocblas_complex_numIfELi32ELi2ELb0ELb1ELb1ELb0ES1_KS1_S1_Ev17rocblas_diagonal_iiT6_lPT7_lllS6_lllPT8_llli ; -- Begin function _ZL30rocblas_trmm_outofplace_kernelI19rocblas_complex_numIfELi32ELi2ELb0ELb1ELb1ELb0ES1_KS1_S1_Ev17rocblas_diagonal_iiT6_lPT7_lllS6_lllPT8_llli
	.p2align	8
	.type	_ZL30rocblas_trmm_outofplace_kernelI19rocblas_complex_numIfELi32ELi2ELb0ELb1ELb1ELb0ES1_KS1_S1_Ev17rocblas_diagonal_iiT6_lPT7_lllS6_lllPT8_llli,@function
_ZL30rocblas_trmm_outofplace_kernelI19rocblas_complex_numIfELi32ELi2ELb0ELb1ELb1ELb0ES1_KS1_S1_Ev17rocblas_diagonal_iiT6_lPT7_lllS6_lllPT8_llli: ; @_ZL30rocblas_trmm_outofplace_kernelI19rocblas_complex_numIfELi32ELi2ELb0ELb1ELb1ELb0ES1_KS1_S1_Ev17rocblas_diagonal_iiT6_lPT7_lllS6_lllPT8_llli
; %bb.0:
	s_load_b32 s33, s[0:1], 0x80
	s_lshr_b32 s34, ttmp7, 16
	s_wait_kmcnt 0x0
	s_cmp_ge_u32 s34, s33
	s_cbranch_scc1 .LBB91_67
; %bb.1:
	s_load_b64 s[40:41], s[0:1], 0xc
	s_mov_b32 s35, 0
	s_wait_kmcnt 0x0
	s_or_b32 s2, s40, s41
	s_delay_alu instid0(SALU_CYCLE_1) | instskip(NEXT) | instid1(SALU_CYCLE_1)
	s_bitset0_b32 s2, 31
	s_cmp_eq_u32 s2, 0
	s_cbranch_scc1 .LBB91_67
; %bb.2:
	s_clause 0x1
	s_load_b96 s[36:38], s[0:1], 0x0
	s_load_b512 s[8:23], s[0:1], 0x20
	s_add_nc_u64 s[42:43], s[0:1], 0x88
	s_load_b256 s[24:31], s[0:1], 0x60
	v_dual_mov_b32 v11, 0 :: v_dual_and_b32 v6, 0x3ff, v0
	v_bfe_u32 v40, v0, 10, 10
	s_and_b32 s39, ttmp7, 0xffff
	v_mov_b32_e32 v10, 1.0
	s_delay_alu instid0(VALU_DEP_3) | instskip(SKIP_2) | instid1(VALU_DEP_3)
	v_lshl_add_u32 v0, ttmp9, 5, v6
	v_lshlrev_b32_e32 v2, 3, v6
	v_lshlrev_b32_e32 v41, 8, v40
	v_ashrrev_i32_e32 v1, 31, v0
	s_delay_alu instid0(VALU_DEP_3) | instskip(NEXT) | instid1(VALU_DEP_3)
	v_or_b32_e32 v42, 0x2000, v2
	v_add_nc_u32_e32 v43, v41, v2
	v_add_nc_u32_e32 v4, 16, v0
	s_delay_alu instid0(VALU_DEP_3)
	v_add_nc_u32_e32 v44, v42, v41
	s_wait_kmcnt 0x0
	s_add_co_i32 s0, s38, -1
	v_sub_co_u32 v2, vcc_lo, s37, v0
	s_wait_alu 0xfffe
	s_ashr_i32 s1, s0, 31
	v_ashrrev_i32_e32 v5, 31, v4
	s_wait_alu 0xfffe
	s_lshr_b32 s1, s1, 27
	v_add_nc_u32_e32 v47, 0x800, v42
	s_wait_alu 0xfffe
	s_add_co_i32 s0, s0, s1
	v_cmp_gt_i32_e64 s1, s37, v4
	s_wait_alu 0xfffe
	s_ashr_i32 s54, s0, 5
	v_cmp_gt_i32_e64 s0, s37, v0
	s_cmp_le_i32 s39, s54
	v_add_nc_u32_e32 v48, 0x1000, v42
	s_cselect_b32 s55, -1, 0
	s_cmp_eq_u32 s36, 0x84
	v_add_nc_u32_e32 v49, 0x1800, v42
	s_cselect_b32 s56, -1, 0
	s_lshl_b32 s4, s39, 5
	s_ashr_i32 s2, s37, 31
	v_add_nc_u32_e32 v45, s4, v6
	v_lshlrev_b64_e32 v[6:7], 3, v[0:1]
	v_sub_co_ci_u32_e64 v3, null, s2, v1, vcc_lo
	v_add_nc_u32_e32 v46, s4, v40
	s_lshl_b64 s[4:5], s[18:19], 3
	s_lshl_b64 s[2:3], s[26:27], 3
	s_wait_alu 0xfffe
	s_add_nc_u64 s[4:5], s[16:17], s[4:5]
	s_add_nc_u64 s[24:25], s[24:25], s[2:3]
	s_wait_alu 0xfffe
	v_add_co_u32 v8, vcc_lo, s4, v6
	v_cmp_gt_i64_e64 s2, 1, v[2:3]
	v_cmp_gt_i64_e64 s3, 17, v[2:3]
	s_wait_alu 0xfffd
	v_add_co_ci_u32_e64 v9, null, s5, v7, vcc_lo
	s_mov_b32 s44, s38
	s_ashr_i32 s45, s38, 31
	s_lshl_b64 s[4:5], s[10:11], 3
	s_lshl_b64 s[46:47], s[12:13], 8
	;; [unrolled: 1-line block ×3, first 2 shown]
	s_add_nc_u64 s[26:27], s[44:45], -16
	s_lshl_b64 s[18:19], s[20:21], 3
	s_lshl_b64 s[16:17], s[22:23], 3
	s_wait_alu 0xfffe
	s_add_nc_u64 s[10:11], s[8:9], s[4:5]
	s_lshl_b64 s[14:15], s[14:15], 3
	s_lshl_b64 s[22:23], s[12:13], 3
	s_branch .LBB91_4
.LBB91_3:                               ;   in Loop: Header=BB91_4 Depth=1
	s_add_co_i32 s34, s34, 0x10000
	s_wait_alu 0xfffe
	s_cmp_ge_u32 s34, s33
	s_cbranch_scc1 .LBB91_67
.LBB91_4:                               ; =>This Loop Header: Depth=1
                                        ;     Child Loop BB91_7 Depth 2
                                        ;       Child Loop BB91_10 Depth 3
	s_and_not1_b32 vcc_lo, exec_lo, s55
	s_wait_alu 0xfffe
	s_cbranch_vccnz .LBB91_3
; %bb.5:                                ;   in Loop: Header=BB91_4 Depth=1
	v_mad_co_u64_u32 v[12:13], null, s16, s34, v[8:9]
	s_load_b32 s57, s[42:43], 0x4
	s_mul_u64 s[4:5], s[30:31], s[34:35]
	v_mov_b32_e32 v16, v45
	s_mul_u64 s[6:7], s[14:15], s[34:35]
	s_wait_alu 0xfffe
	s_lshl_b64 s[4:5], s[4:5], 3
	s_add_nc_u64 s[50:51], s[10:11], s[6:7]
	v_mov_b32_e32 v0, v13
	s_wait_alu 0xfffe
	s_add_nc_u64 s[36:37], s[24:25], s[4:5]
	s_mov_b32 s59, s39
	s_delay_alu instid0(VALU_DEP_1) | instskip(NEXT) | instid1(VALU_DEP_1)
	v_mad_co_u64_u32 v[0:1], null, s17, s34, v[0:1]
	v_dual_mov_b32 v14, v46 :: v_dual_mov_b32 v13, v0
	s_wait_kmcnt 0x0
	s_lshl_b32 s58, s57, 5
	s_branch .LBB91_7
.LBB91_6:                               ;   in Loop: Header=BB91_7 Depth=2
	s_wait_alu 0xfffe
	s_or_b32 exec_lo, exec_lo, s4
	v_add_nc_u32_e32 v16, s58, v16
	v_add_nc_u32_e32 v14, s58, v14
	s_add_co_i32 s59, s57, s59
	s_wait_alu 0xfffe
	s_cmp_gt_i32 s59, s54
	s_cbranch_scc1 .LBB91_3
.LBB91_7:                               ;   Parent Loop BB91_4 Depth=1
                                        ; =>  This Loop Header: Depth=2
                                        ;       Child Loop BB91_10 Depth 3
	s_wait_alu 0xfffe
	s_lshl_b32 s4, s59, 5
	v_ashrrev_i32_e32 v17, 31, v16
	s_wait_alu 0xfffe
	v_add_nc_u32_e32 v18, s4, v40
	v_ashrrev_i32_e32 v15, 31, v14
	s_sub_co_i32 s60, s38, s4
	s_delay_alu instid0(SALU_CYCLE_1) | instskip(NEXT) | instid1(VALU_DEP_2)
	s_cmp_lt_i32 s60, 1
	v_ashrrev_i32_e32 v19, 31, v18
	s_cbranch_scc1 .LBB91_58
; %bb.8:                                ;   in Loop: Header=BB91_7 Depth=2
	v_lshlrev_b64_e32 v[22:23], 3, v[14:15]
	v_lshlrev_b64_e32 v[0:1], 3, v[16:17]
	v_sub_co_u32 v20, vcc_lo, v14, v16
	s_wait_alu 0xfffd
	v_sub_co_ci_u32_e64 v21, null, v15, v17, vcc_lo
	s_delay_alu instid0(VALU_DEP_4)
	v_add_co_u32 v26, vcc_lo, 0x80, v22
	s_wait_alu 0xfffd
	v_add_co_ci_u32_e64 v27, null, 0, v23, vcc_lo
	v_add_co_u32 v0, vcc_lo, 0x80, v0
	s_wait_alu 0xfffd
	v_add_co_ci_u32_e64 v1, null, 0, v1, vcc_lo
	s_delay_alu instid0(VALU_DEP_3) | instskip(SKIP_2) | instid1(VALU_DEP_4)
	v_mul_lo_u32 v34, s20, v27
	v_mul_lo_u32 v35, s21, v26
	v_mad_co_u64_u32 v[26:27], null, s20, v26, 0x80
	v_mul_lo_u32 v1, s12, v1
	v_mul_lo_u32 v36, s13, v0
	v_mad_co_u64_u32 v[28:29], null, s12, v0, s[50:51]
	v_mad_co_u64_u32 v[24:25], null, s18, v14, 0x80
	v_mul_lo_u32 v2, s18, v15
	v_mul_lo_u32 v3, s19, v14
	v_mad_co_u64_u32 v[30:31], null, s22, v16, s[50:51]
	v_mul_lo_u32 v0, s22, v17
	v_mul_lo_u32 v37, s23, v16
	v_add_co_u32 v32, vcc_lo, v18, 16
	s_wait_alu 0xfffd
	v_add_co_ci_u32_e64 v33, null, 0, v19, vcc_lo
	v_add3_u32 v27, v35, v27, v34
	v_add_co_u32 v34, s5, v20, 16
	v_add3_u32 v29, v36, v29, v1
	s_wait_alu 0xf1ff
	v_add_co_ci_u32_e64 v35, null, 0, v21, s5
	v_add_co_u32 v36, s5, v20, -16
	v_cmp_le_i64_e64 s4, s[44:45], v[32:33]
	v_dual_mov_b32 v50, 0 :: v_dual_mov_b32 v39, v13
	v_add3_u32 v25, v3, v25, v2
	v_add3_u32 v31, v37, v31, v0
	s_wait_alu 0xf1ff
	v_add_co_ci_u32_e64 v37, null, -1, v21, s5
	v_dual_mov_b32 v38, v12 :: v_dual_mov_b32 v51, 0
	v_dual_mov_b32 v53, 0 :: v_dual_mov_b32 v52, 0
	;; [unrolled: 1-line block ×4, first 2 shown]
	s_mov_b64 s[52:53], 0
	v_cmp_le_i32_e32 vcc_lo, s38, v18
	s_branch .LBB91_10
.LBB91_9:                               ;   in Loop: Header=BB91_10 Depth=3
	s_wait_alu 0xfffe
	s_or_b32 exec_lo, exec_lo, s5
	s_wait_dscnt 0x0
	s_barrier_signal -1
	s_barrier_wait -1
	global_inv scope:SCOPE_SE
	ds_load_b128 v[58:61], v41
	ds_load_2addr_b64 v[62:65], v42 offset1:16
	ds_load_b128 v[66:69], v41 offset:4096
	ds_load_b128 v[70:73], v41 offset:16
	;; [unrolled: 1-line block ×4, first 2 shown]
	ds_load_2addr_b64 v[78:81], v42 offset0:32 offset1:48
	ds_load_b128 v[82:85], v41 offset:4112
	v_add_co_u32 v38, s5, v38, s48
	s_wait_alu 0xf1ff
	v_add_co_ci_u32_e64 v39, null, s49, v39, s5
	v_add_co_u32 v28, s5, v28, s46
	s_wait_alu 0xf1ff
	v_add_co_ci_u32_e64 v29, null, s47, v29, s5
	;; [unrolled: 3-line block ×3, first 2 shown]
	s_add_nc_u64 s[52:53], s[52:53], 32
	s_wait_dscnt 0x6
	v_dual_mul_f32 v86, v59, v63 :: v_dual_mul_f32 v89, v58, v65
	v_dual_mul_f32 v87, v58, v63 :: v_dual_mul_f32 v88, v59, v65
	s_wait_dscnt 0x5
	v_mul_f32_e32 v90, v67, v63
	s_delay_alu instid0(VALU_DEP_3)
	v_fma_f32 v86, v58, v62, -v86
	v_mul_f32_e32 v63, v66, v63
	v_fmac_f32_e32 v87, v59, v62
	v_fma_f32 v58, v58, v64, -v88
	v_mul_f32_e32 v91, v67, v65
	v_mul_f32_e32 v65, v66, v65
	v_fmac_f32_e32 v89, v59, v64
	v_fma_f32 v59, v66, v62, -v90
	v_add_f32_e32 v56, v56, v86
	s_delay_alu instid0(VALU_DEP_4)
	v_dual_add_f32 v58, v54, v58 :: v_dual_fmac_f32 v65, v67, v64
	v_fmac_f32_e32 v63, v67, v62
	v_fma_f32 v62, v66, v64, -v91
	s_wait_dscnt 0x1
	v_mul_f32_e32 v66, v61, v79
	v_mul_f32_e32 v64, v60, v79
	v_add_f32_e32 v57, v57, v87
	v_add_f32_e32 v55, v55, v89
	;; [unrolled: 1-line block ×3, first 2 shown]
	v_fma_f32 v66, v60, v78, -v66
	v_dual_add_f32 v50, v50, v65 :: v_dual_add_f32 v63, v53, v63
	v_dual_fmac_f32 v64, v61, v78 :: v_dual_add_f32 v59, v52, v59
	ds_load_2addr_b64 v[51:54], v42 offset0:64 offset1:80
	v_mul_f32_e32 v67, v61, v81
	v_mul_f32_e32 v65, v60, v81
	v_add_f32_e32 v66, v56, v66
	v_dual_add_f32 v64, v57, v64 :: v_dual_mul_f32 v57, v68, v79
	s_delay_alu instid0(VALU_DEP_4)
	v_fma_f32 v56, v60, v80, -v67
	v_mul_f32_e32 v60, v69, v79
	v_fmac_f32_e32 v65, v61, v80
	s_wait_alu 0xfffe
	s_cmp_ge_i32 s52, s60
	v_add_f32_e32 v61, v58, v56
	v_fma_f32 v56, v68, v78, -v60
	v_mul_f32_e32 v58, v69, v81
	v_add_f32_e32 v60, v55, v65
	v_mul_f32_e32 v65, v68, v81
	s_delay_alu instid0(VALU_DEP_3) | instskip(SKIP_2) | instid1(VALU_DEP_2)
	v_fma_f32 v55, v68, v80, -v58
	s_wait_dscnt 0x0
	v_mul_f32_e32 v67, v70, v52
	v_add_f32_e32 v62, v62, v55
	s_delay_alu instid0(VALU_DEP_2) | instskip(SKIP_2) | instid1(VALU_DEP_3)
	v_fmac_f32_e32 v67, v71, v51
	v_add_f32_e32 v59, v59, v56
	v_mul_f32_e32 v56, v71, v52
	v_dual_add_f32 v64, v64, v67 :: v_dual_mul_f32 v67, v83, v52
	s_delay_alu instid0(VALU_DEP_2) | instskip(SKIP_2) | instid1(VALU_DEP_2)
	v_fma_f32 v68, v70, v51, -v56
	v_dual_fmac_f32 v57, v69, v78 :: v_dual_mul_f32 v52, v82, v52
	v_fmac_f32_e32 v65, v69, v80
	v_dual_add_f32 v66, v66, v68 :: v_dual_add_f32 v63, v63, v57
	ds_load_2addr_b64 v[55:58], v42 offset0:96 offset1:112
	v_mul_f32_e32 v69, v71, v54
	v_dual_add_f32 v65, v50, v65 :: v_dual_fmac_f32 v52, v83, v51
	v_mul_f32_e32 v50, v70, v54
	s_delay_alu instid0(VALU_DEP_3) | instskip(NEXT) | instid1(VALU_DEP_1)
	v_fma_f32 v68, v70, v53, -v69
	v_dual_fmac_f32 v50, v71, v53 :: v_dual_add_f32 v61, v61, v68
	v_mul_f32_e32 v68, v83, v54
	v_mul_f32_e32 v54, v82, v54
	s_delay_alu instid0(VALU_DEP_3) | instskip(NEXT) | instid1(VALU_DEP_3)
	v_add_f32_e32 v60, v60, v50
	v_fma_f32 v50, v82, v53, -v68
	s_delay_alu instid0(VALU_DEP_3) | instskip(NEXT) | instid1(VALU_DEP_2)
	v_fmac_f32_e32 v54, v83, v53
	v_add_f32_e32 v68, v62, v50
	v_fma_f32 v67, v82, v51, -v67
	s_wait_dscnt 0x0
	v_mul_f32_e32 v62, v72, v56
	v_add_f32_e32 v63, v63, v52
	ds_load_2addr_b64 v[50:53], v42 offset0:128 offset1:144
	v_add_f32_e32 v65, v65, v54
	v_dual_add_f32 v67, v59, v67 :: v_dual_mul_f32 v54, v72, v58
	v_fmac_f32_e32 v62, v73, v55
	v_mul_f32_e32 v59, v73, v56
	s_delay_alu instid0(VALU_DEP_3) | instskip(NEXT) | instid1(VALU_DEP_3)
	v_fmac_f32_e32 v54, v73, v57
	v_add_f32_e32 v64, v64, v62
	s_delay_alu instid0(VALU_DEP_3) | instskip(NEXT) | instid1(VALU_DEP_1)
	v_fma_f32 v59, v72, v55, -v59
	v_dual_mul_f32 v69, v73, v58 :: v_dual_add_f32 v66, v66, v59
	s_delay_alu instid0(VALU_DEP_1)
	v_fma_f32 v69, v72, v57, -v69
	v_mul_f32_e32 v59, v85, v56
	v_mul_f32_e32 v56, v84, v56
	v_add_f32_e32 v71, v60, v54
	v_mul_f32_e32 v54, v85, v58
	v_mul_f32_e32 v58, v84, v58
	v_fma_f32 v70, v84, v55, -v59
	v_fmac_f32_e32 v56, v85, v55
	v_add_f32_e32 v69, v61, v69
	ds_load_b128 v[59:62], v41 offset:4128
	s_wait_dscnt 0x1
	v_mul_f32_e32 v55, v75, v51
	v_fma_f32 v54, v84, v57, -v54
	v_add_f32_e32 v67, v67, v70
	v_dual_add_f32 v70, v63, v56 :: v_dual_mul_f32 v63, v74, v51
	v_fmac_f32_e32 v58, v85, v57
	s_delay_alu instid0(VALU_DEP_4)
	v_dual_add_f32 v68, v68, v54 :: v_dual_mul_f32 v73, v75, v53
	v_fma_f32 v72, v74, v50, -v55
	ds_load_2addr_b64 v[54:57], v42 offset0:160 offset1:176
	v_fmac_f32_e32 v63, v75, v50
	v_fma_f32 v73, v74, v52, -v73
	v_add_f32_e32 v72, v66, v72
	s_delay_alu instid0(VALU_DEP_3)
	v_dual_add_f32 v58, v65, v58 :: v_dual_add_f32 v79, v64, v63
	ds_load_b128 v[63:66], v41 offset:4144
	v_mul_f32_e32 v78, v74, v53
	s_wait_dscnt 0x2
	v_dual_add_f32 v69, v69, v73 :: v_dual_mul_f32 v74, v60, v51
	v_mul_f32_e32 v51, v59, v51
	s_delay_alu instid0(VALU_DEP_3) | instskip(SKIP_1) | instid1(VALU_DEP_4)
	v_dual_mul_f32 v73, v60, v53 :: v_dual_fmac_f32 v78, v75, v52
	v_mul_f32_e32 v75, v59, v53
	v_fma_f32 v74, v59, v50, -v74
	s_delay_alu instid0(VALU_DEP_3) | instskip(NEXT) | instid1(VALU_DEP_3)
	v_add_f32_e32 v71, v71, v78
	v_fmac_f32_e32 v75, v60, v52
	v_fmac_f32_e32 v51, v60, v50
	v_fma_f32 v50, v59, v52, -v73
	s_wait_dscnt 0x1
	v_mul_f32_e32 v53, v77, v55
	v_dual_add_f32 v59, v67, v74 :: v_dual_mul_f32 v74, v62, v55
	v_add_f32_e32 v58, v58, v75
	v_add_f32_e32 v60, v68, v50
	v_mul_f32_e32 v68, v76, v55
	v_add_f32_e32 v67, v70, v51
	v_fma_f32 v70, v76, v54, -v53
	ds_load_2addr_b64 v[50:53], v42 offset0:192 offset1:208
	v_mul_f32_e32 v55, v61, v55
	v_fmac_f32_e32 v68, v77, v54
	v_dual_mul_f32 v73, v77, v57 :: v_dual_add_f32 v70, v72, v70
	s_delay_alu instid0(VALU_DEP_3) | instskip(NEXT) | instid1(VALU_DEP_3)
	v_dual_mul_f32 v72, v76, v57 :: v_dual_fmac_f32 v55, v62, v54
	v_add_f32_e32 v68, v79, v68
	s_delay_alu instid0(VALU_DEP_3) | instskip(NEXT) | instid1(VALU_DEP_3)
	v_fma_f32 v73, v76, v56, -v73
	v_fmac_f32_e32 v72, v77, v56
	s_delay_alu instid0(VALU_DEP_1) | instskip(NEXT) | instid1(VALU_DEP_3)
	v_dual_add_f32 v71, v71, v72 :: v_dual_mul_f32 v72, v61, v57
	v_add_f32_e32 v69, v69, v73
	v_fma_f32 v73, v61, v54, -v74
	v_mul_f32_e32 v54, v62, v57
	s_wait_dscnt 0x0
	v_mul_f32_e32 v74, v0, v53
	v_fmac_f32_e32 v72, v62, v56
	v_dual_mul_f32 v62, v0, v51 :: v_dual_add_f32 v59, v59, v73
	v_fma_f32 v61, v61, v56, -v54
	v_add_f32_e32 v67, v67, v55
	v_mul_f32_e32 v73, v1, v51
	ds_load_2addr_b64 v[54:57], v42 offset0:224 offset1:240
	v_fmac_f32_e32 v62, v1, v50
	v_add_f32_e32 v60, v60, v61
	v_fmac_f32_e32 v74, v1, v52
	v_fma_f32 v61, v0, v50, -v73
	v_dual_mul_f32 v73, v1, v53 :: v_dual_add_f32 v72, v58, v72
	v_mul_f32_e32 v1, v64, v51
	s_delay_alu instid0(VALU_DEP_3) | instskip(NEXT) | instid1(VALU_DEP_3)
	v_dual_mul_f32 v51, v63, v51 :: v_dual_add_f32 v70, v70, v61
	v_fma_f32 v0, v0, v52, -v73
	v_add_f32_e32 v62, v68, v62
	s_delay_alu instid0(VALU_DEP_4) | instskip(NEXT) | instid1(VALU_DEP_4)
	v_fma_f32 v1, v63, v50, -v1
	v_fmac_f32_e32 v51, v64, v50
	v_mul_f32_e32 v58, v64, v53
	v_dual_add_f32 v0, v69, v0 :: v_dual_mul_f32 v69, v63, v53
	v_add_f32_e32 v68, v71, v74
	s_delay_alu instid0(VALU_DEP_4) | instskip(NEXT) | instid1(VALU_DEP_4)
	v_add_f32_e32 v67, v67, v51
	v_fma_f32 v50, v63, v52, -v58
	s_wait_dscnt 0x0
	v_mul_f32_e32 v53, v3, v55
	v_add_f32_e32 v63, v59, v1
	v_dual_fmac_f32 v69, v64, v52 :: v_dual_mul_f32 v64, v2, v55
	v_add_f32_e32 v71, v60, v50
	s_delay_alu instid0(VALU_DEP_4)
	v_fma_f32 v1, v2, v54, -v53
	v_mul_f32_e32 v73, v3, v57
	ds_load_b128 v[50:53], v41 offset:64
	ds_load_2addr_b64 v[58:61], v47 offset1:16
	v_dual_add_f32 v69, v72, v69 :: v_dual_fmac_f32 v64, v3, v54
	v_mul_f32_e32 v72, v2, v57
	v_add_f32_e32 v70, v70, v1
	v_fma_f32 v1, v2, v56, -v73
	v_mul_f32_e32 v2, v66, v55
	v_add_f32_e32 v73, v62, v64
	v_dual_mul_f32 v55, v65, v55 :: v_dual_fmac_f32 v72, v3, v56
	s_delay_alu instid0(VALU_DEP_4) | instskip(NEXT) | instid1(VALU_DEP_4)
	v_add_f32_e32 v74, v0, v1
	v_fma_f32 v62, v65, v54, -v2
	ds_load_b128 v[0:3], v41 offset:4160
	v_mul_f32_e32 v64, v66, v57
	v_dual_fmac_f32 v55, v66, v54 :: v_dual_add_f32 v72, v68, v72
	v_dual_add_f32 v75, v63, v62 :: v_dual_mul_f32 v68, v65, v57
	s_delay_alu instid0(VALU_DEP_3) | instskip(SKIP_1) | instid1(VALU_DEP_3)
	v_fma_f32 v54, v65, v56, -v64
	s_wait_dscnt 0x1
	v_dual_add_f32 v76, v67, v55 :: v_dual_mul_f32 v79, v50, v61
	v_mul_f32_e32 v57, v51, v59
	v_mul_f32_e32 v67, v50, v59
	v_dual_fmac_f32 v68, v66, v56 :: v_dual_add_f32 v71, v71, v54
	ds_load_b128 v[62:65], v41 offset:80
	v_fma_f32 v66, v50, v58, -v57
	ds_load_2addr_b64 v[54:57], v47 offset0:32 offset1:48
	v_mul_f32_e32 v77, v51, v61
	v_dual_fmac_f32 v67, v51, v58 :: v_dual_add_f32 v78, v69, v68
	v_dual_add_f32 v70, v70, v66 :: v_dual_fmac_f32 v79, v51, v60
	s_delay_alu instid0(VALU_DEP_3)
	v_fma_f32 v50, v50, v60, -v77
	s_wait_dscnt 0x2
	v_mul_f32_e32 v77, v1, v59
	v_add_f32_e32 v73, v73, v67
	ds_load_b128 v[66:69], v41 offset:4176
	v_add_f32_e32 v50, v74, v50
	v_fma_f32 v74, v0, v58, -v77
	s_delay_alu instid0(VALU_DEP_1) | instskip(NEXT) | instid1(VALU_DEP_1)
	v_dual_mul_f32 v77, v0, v61 :: v_dual_add_f32 v74, v75, v74
	v_fmac_f32_e32 v77, v1, v60
	v_mul_f32_e32 v51, v0, v59
	s_wait_dscnt 0x1
	v_mul_f32_e32 v75, v53, v57
	s_delay_alu instid0(VALU_DEP_2) | instskip(SKIP_2) | instid1(VALU_DEP_2)
	v_fmac_f32_e32 v51, v1, v58
	v_mul_f32_e32 v58, v53, v55
	v_dual_mul_f32 v59, v1, v61 :: v_dual_add_f32 v72, v72, v79
	v_fma_f32 v1, v52, v54, -v58
	s_delay_alu instid0(VALU_DEP_2)
	v_fma_f32 v0, v0, v60, -v59
	ds_load_2addr_b64 v[58:61], v47 offset0:64 offset1:80
	v_dual_add_f32 v70, v70, v1 :: v_dual_add_f32 v71, v71, v0
	v_mul_f32_e32 v0, v52, v55
	v_add_f32_e32 v51, v76, v51
	v_mul_f32_e32 v1, v52, v57
	v_fma_f32 v52, v52, v56, -v75
	s_delay_alu instid0(VALU_DEP_4) | instskip(NEXT) | instid1(VALU_DEP_2)
	v_dual_mul_f32 v75, v3, v55 :: v_dual_fmac_f32 v0, v53, v54
	v_add_f32_e32 v50, v50, v52
	s_delay_alu instid0(VALU_DEP_2) | instskip(NEXT) | instid1(VALU_DEP_3)
	v_dual_mul_f32 v52, v3, v57 :: v_dual_add_f32 v73, v73, v0
	v_fma_f32 v0, v2, v54, -v75
	v_add_f32_e32 v76, v78, v77
	s_delay_alu instid0(VALU_DEP_3) | instskip(SKIP_1) | instid1(VALU_DEP_1)
	v_fma_f32 v52, v2, v56, -v52
	v_mul_f32_e32 v55, v2, v55
	v_dual_fmac_f32 v55, v3, v54 :: v_dual_mul_f32 v54, v2, v57
	s_delay_alu instid0(VALU_DEP_3) | instskip(SKIP_2) | instid1(VALU_DEP_3)
	v_add_f32_e32 v52, v71, v52
	s_wait_dscnt 0x0
	v_mul_f32_e32 v71, v63, v61
	v_add_f32_e32 v51, v51, v55
	v_mul_f32_e32 v55, v63, v59
	v_fmac_f32_e32 v54, v3, v56
	v_dual_fmac_f32 v1, v53, v56 :: v_dual_mul_f32 v56, v62, v59
	v_add_f32_e32 v57, v74, v0
	s_delay_alu instid0(VALU_DEP_4) | instskip(NEXT) | instid1(VALU_DEP_4)
	v_fma_f32 v55, v62, v58, -v55
	v_add_f32_e32 v74, v76, v54
	v_fma_f32 v54, v62, v60, -v71
	v_dual_fmac_f32 v56, v63, v58 :: v_dual_add_f32 v53, v72, v1
	s_delay_alu instid0(VALU_DEP_4) | instskip(SKIP_4) | instid1(VALU_DEP_3)
	v_add_f32_e32 v70, v70, v55
	ds_load_2addr_b64 v[0:3], v47 offset0:96 offset1:112
	v_mul_f32_e32 v72, v62, v61
	v_dual_add_f32 v62, v73, v56 :: v_dual_mul_f32 v55, v67, v59
	v_mul_f32_e32 v56, v66, v59
	v_dual_add_f32 v59, v50, v54 :: v_dual_fmac_f32 v72, v63, v60
	v_mul_f32_e32 v50, v67, v61
	s_delay_alu instid0(VALU_DEP_2) | instskip(SKIP_2) | instid1(VALU_DEP_4)
	v_dual_fmac_f32 v56, v67, v58 :: v_dual_add_f32 v63, v53, v72
	v_fma_f32 v53, v66, v58, -v55
	v_mul_f32_e32 v58, v66, v61
	v_fma_f32 v50, v66, v60, -v50
	s_delay_alu instid0(VALU_DEP_3) | instskip(NEXT) | instid1(VALU_DEP_2)
	v_add_f32_e32 v66, v57, v53
	v_dual_fmac_f32 v58, v67, v60 :: v_dual_add_f32 v67, v52, v50
	s_wait_dscnt 0x0
	v_mul_f32_e32 v54, v65, v1
	v_mul_f32_e32 v61, v64, v1
	v_dual_add_f32 v71, v51, v56 :: v_dual_mul_f32 v72, v65, v3
	v_dual_add_f32 v73, v74, v58 :: v_dual_mul_f32 v58, v64, v3
	s_delay_alu instid0(VALU_DEP_4)
	v_fma_f32 v60, v64, v0, -v54
	ds_load_b128 v[50:53], v41 offset:96
	ds_load_2addr_b64 v[54:57], v47 offset0:128 offset1:144
	v_fmac_f32_e32 v61, v65, v0
	v_fmac_f32_e32 v58, v65, v2
	v_add_f32_e32 v70, v70, v60
	v_fma_f32 v60, v64, v2, -v72
	v_mul_f32_e32 v64, v69, v1
	v_mul_f32_e32 v1, v68, v1
	v_dual_add_f32 v72, v62, v61 :: v_dual_add_f32 v75, v63, v58
	s_delay_alu instid0(VALU_DEP_3) | instskip(NEXT) | instid1(VALU_DEP_3)
	v_fma_f32 v62, v68, v0, -v64
	v_fmac_f32_e32 v1, v69, v0
	v_mul_f32_e32 v64, v69, v3
	s_delay_alu instid0(VALU_DEP_2) | instskip(NEXT) | instid1(VALU_DEP_2)
	v_dual_add_f32 v76, v66, v62 :: v_dual_add_f32 v71, v71, v1
	v_fma_f32 v0, v68, v2, -v64
	v_mul_f32_e32 v66, v68, v3
	s_wait_dscnt 0x0
	v_mul_f32_e32 v3, v51, v55
	ds_load_b128 v[62:65], v41 offset:112
	v_dual_mul_f32 v68, v50, v55 :: v_dual_add_f32 v77, v67, v0
	v_fmac_f32_e32 v66, v69, v2
	v_add_f32_e32 v74, v59, v60
	ds_load_b128 v[58:61], v41 offset:4192
	v_fma_f32 v67, v50, v54, -v3
	ds_load_2addr_b64 v[0:3], v47 offset0:160 offset1:176
	v_mul_f32_e32 v69, v51, v57
	v_mul_f32_e32 v78, v50, v57
	v_fmac_f32_e32 v68, v51, v54
	v_add_f32_e32 v70, v70, v67
	s_delay_alu instid0(VALU_DEP_4) | instskip(NEXT) | instid1(VALU_DEP_4)
	v_fma_f32 v50, v50, v56, -v69
	v_fmac_f32_e32 v78, v51, v56
	s_wait_dscnt 0x1
	v_mul_f32_e32 v79, v59, v55
	v_mul_f32_e32 v51, v58, v55
	;; [unrolled: 1-line block ×3, first 2 shown]
	v_add_f32_e32 v73, v73, v66
	s_delay_alu instid0(VALU_DEP_3)
	v_fmac_f32_e32 v51, v59, v54
	v_add_f32_e32 v50, v74, v50
	v_fma_f32 v74, v58, v54, -v79
	v_fma_f32 v54, v58, v56, -v55
	s_wait_dscnt 0x0
	v_dual_mul_f32 v55, v53, v1 :: v_dual_add_f32 v72, v72, v68
	v_dual_add_f32 v75, v75, v78 :: v_dual_mul_f32 v78, v58, v57
	v_add_f32_e32 v51, v71, v51
	v_mul_f32_e32 v71, v52, v1
	v_add_f32_e32 v58, v76, v74
	v_fma_f32 v74, v52, v0, -v55
	v_dual_fmac_f32 v78, v59, v56 :: v_dual_add_f32 v59, v77, v54
	ds_load_2addr_b64 v[54:57], v47 offset0:192 offset1:208
	v_mul_f32_e32 v76, v53, v3
	v_fmac_f32_e32 v71, v53, v0
	v_add_f32_e32 v73, v73, v78
	v_add_f32_e32 v70, v70, v74
	v_mul_f32_e32 v74, v52, v3
	v_fma_f32 v52, v52, v2, -v76
	v_add_f32_e32 v71, v72, v71
	v_mul_f32_e32 v72, v60, v3
	ds_load_b128 v[66:69], v41 offset:4208
	v_fmac_f32_e32 v74, v53, v2
	v_mul_f32_e32 v76, v61, v1
	v_dual_mul_f32 v1, v60, v1 :: v_dual_add_f32 v50, v50, v52
	v_fmac_f32_e32 v72, v61, v2
	s_delay_alu instid0(VALU_DEP_2) | instskip(NEXT) | instid1(VALU_DEP_1)
	v_fmac_f32_e32 v1, v61, v0
	v_add_f32_e32 v51, v51, v1
	v_add_f32_e32 v53, v75, v74
	v_fma_f32 v52, v60, v0, -v76
	v_mul_f32_e32 v0, v61, v3
	s_wait_dscnt 0x1
	v_mul_f32_e32 v61, v62, v55
	s_delay_alu instid0(VALU_DEP_1) | instskip(NEXT) | instid1(VALU_DEP_1)
	v_dual_mul_f32 v74, v62, v57 :: v_dual_fmac_f32 v61, v63, v54
	v_fmac_f32_e32 v74, v63, v56
	s_delay_alu instid0(VALU_DEP_2)
	v_dual_add_f32 v52, v58, v52 :: v_dual_add_f32 v61, v71, v61
	v_fma_f32 v58, v60, v2, -v0
	ds_load_2addr_b64 v[0:3], v47 offset0:224 offset1:240
	v_add_f32_e32 v72, v73, v72
	v_add_f32_e32 v58, v59, v58
	v_mul_f32_e32 v60, v63, v55
	s_delay_alu instid0(VALU_DEP_1) | instskip(NEXT) | instid1(VALU_DEP_1)
	v_fma_f32 v59, v62, v54, -v60
	v_dual_mul_f32 v60, v63, v57 :: v_dual_add_f32 v59, v70, v59
	s_delay_alu instid0(VALU_DEP_1) | instskip(SKIP_2) | instid1(VALU_DEP_2)
	v_fma_f32 v60, v62, v56, -v60
	s_wait_dscnt 0x0
	v_dual_mul_f32 v71, v64, v1 :: v_dual_mul_f32 v62, v67, v55
	v_dual_add_f32 v60, v50, v60 :: v_dual_mul_f32 v73, v65, v3
	v_add_f32_e32 v63, v53, v74
	s_delay_alu instid0(VALU_DEP_3) | instskip(NEXT) | instid1(VALU_DEP_4)
	v_dual_fmac_f32 v71, v65, v0 :: v_dual_mul_f32 v50, v67, v57
	v_fma_f32 v53, v66, v54, -v62
	v_mul_f32_e32 v62, v66, v57
	v_mul_f32_e32 v55, v66, v55
	s_delay_alu instid0(VALU_DEP_4) | instskip(SKIP_4) | instid1(VALU_DEP_4)
	v_add_f32_e32 v71, v61, v71
	v_fma_f32 v50, v66, v56, -v50
	v_add_f32_e32 v66, v52, v53
	v_fmac_f32_e32 v62, v67, v56
	v_fmac_f32_e32 v55, v67, v54
	v_add_f32_e32 v67, v58, v50
	s_delay_alu instid0(VALU_DEP_3) | instskip(SKIP_1) | instid1(VALU_DEP_4)
	v_add_f32_e32 v72, v72, v62
	v_mul_f32_e32 v62, v64, v3
	v_add_f32_e32 v70, v51, v55
	s_delay_alu instid0(VALU_DEP_2) | instskip(SKIP_2) | instid1(VALU_DEP_3)
	v_fmac_f32_e32 v62, v65, v2
	v_mul_f32_e32 v54, v65, v1
	v_mul_f32_e32 v65, v69, v3
	v_add_f32_e32 v75, v63, v62
	s_delay_alu instid0(VALU_DEP_3)
	v_fma_f32 v58, v64, v0, -v54
	ds_load_b128 v[50:53], v41 offset:128
	ds_load_2addr_b64 v[54:57], v48 offset1:16
	v_add_f32_e32 v74, v59, v58
	v_fma_f32 v58, v64, v2, -v73
	v_mul_f32_e32 v59, v69, v1
	v_mul_f32_e32 v1, v68, v1
	s_delay_alu instid0(VALU_DEP_3) | instskip(NEXT) | instid1(VALU_DEP_3)
	v_add_f32_e32 v73, v60, v58
	v_fma_f32 v64, v68, v0, -v59
	ds_load_b128 v[58:61], v41 offset:4224
	v_fmac_f32_e32 v1, v69, v0
	v_fma_f32 v0, v68, v2, -v65
	v_add_f32_e32 v76, v66, v64
	v_mul_f32_e32 v66, v68, v3
	ds_load_b128 v[62:65], v41 offset:144
	v_add_f32_e32 v70, v70, v1
	s_wait_dscnt 0x2
	v_mul_f32_e32 v68, v50, v55
	v_mul_f32_e32 v3, v51, v55
	v_dual_add_f32 v77, v67, v0 :: v_dual_mul_f32 v78, v50, v57
	s_delay_alu instid0(VALU_DEP_3) | instskip(NEXT) | instid1(VALU_DEP_3)
	v_fmac_f32_e32 v68, v51, v54
	v_fma_f32 v67, v50, v54, -v3
	s_delay_alu instid0(VALU_DEP_3) | instskip(NEXT) | instid1(VALU_DEP_3)
	v_fmac_f32_e32 v78, v51, v56
	v_add_f32_e32 v71, v71, v68
	s_wait_dscnt 0x1
	v_dual_mul_f32 v79, v59, v55 :: v_dual_fmac_f32 v66, v69, v2
	ds_load_2addr_b64 v[0:3], v48 offset0:32 offset1:48
	v_mul_f32_e32 v69, v51, v57
	v_mul_f32_e32 v51, v58, v55
	;; [unrolled: 1-line block ×3, first 2 shown]
	v_dual_add_f32 v75, v75, v78 :: v_dual_mul_f32 v78, v58, v57
	s_delay_alu instid0(VALU_DEP_4) | instskip(NEXT) | instid1(VALU_DEP_4)
	v_fma_f32 v50, v50, v56, -v69
	v_fmac_f32_e32 v51, v59, v54
	s_delay_alu instid0(VALU_DEP_1)
	v_dual_add_f32 v50, v73, v50 :: v_dual_add_f32 v51, v70, v51
	v_fma_f32 v73, v58, v54, -v79
	v_fma_f32 v54, v58, v56, -v55
	s_wait_dscnt 0x0
	v_mul_f32_e32 v70, v52, v1
	v_dual_mul_f32 v55, v53, v1 :: v_dual_add_f32 v74, v74, v67
	s_delay_alu instid0(VALU_DEP_2) | instskip(NEXT) | instid1(VALU_DEP_1)
	v_fmac_f32_e32 v70, v53, v0
	v_dual_add_f32 v70, v71, v70 :: v_dual_mul_f32 v71, v60, v3
	v_add_f32_e32 v58, v76, v73
	s_delay_alu instid0(VALU_DEP_4) | instskip(SKIP_1) | instid1(VALU_DEP_4)
	v_fma_f32 v73, v52, v0, -v55
	v_mul_f32_e32 v76, v53, v3
	v_fmac_f32_e32 v71, v61, v2
	s_delay_alu instid0(VALU_DEP_3) | instskip(NEXT) | instid1(VALU_DEP_3)
	v_dual_add_f32 v73, v74, v73 :: v_dual_mul_f32 v74, v52, v3
	v_fma_f32 v52, v52, v2, -v76
	v_mul_f32_e32 v76, v61, v1
	v_mul_f32_e32 v1, v60, v1
	v_add_f32_e32 v72, v72, v66
	ds_load_b128 v[66:69], v41 offset:4240
	v_fmac_f32_e32 v74, v53, v2
	v_fmac_f32_e32 v1, v61, v0
	s_delay_alu instid0(VALU_DEP_2)
	v_add_f32_e32 v53, v75, v74
	v_dual_fmac_f32 v78, v59, v56 :: v_dual_add_f32 v59, v77, v54
	ds_load_2addr_b64 v[54:57], v48 offset0:64 offset1:80
	v_add_f32_e32 v51, v51, v1
	s_wait_dscnt 0x0
	v_mul_f32_e32 v74, v62, v57
	s_delay_alu instid0(VALU_DEP_1) | instskip(SKIP_4) | instid1(VALU_DEP_3)
	v_fmac_f32_e32 v74, v63, v56
	v_add_f32_e32 v50, v50, v52
	v_fma_f32 v52, v60, v0, -v76
	v_mul_f32_e32 v0, v61, v3
	v_mul_f32_e32 v61, v62, v55
	v_add_f32_e32 v52, v58, v52
	s_delay_alu instid0(VALU_DEP_3) | instskip(SKIP_4) | instid1(VALU_DEP_1)
	v_fma_f32 v58, v60, v2, -v0
	ds_load_2addr_b64 v[0:3], v48 offset0:96 offset1:112
	v_fmac_f32_e32 v61, v63, v54
	v_add_f32_e32 v58, v59, v58
	v_mul_f32_e32 v60, v63, v55
	v_fma_f32 v59, v62, v54, -v60
	v_mul_f32_e32 v60, v63, v57
	v_add_f32_e32 v72, v72, v78
	v_add_f32_e32 v63, v53, v74
	s_delay_alu instid0(VALU_DEP_4) | instskip(NEXT) | instid1(VALU_DEP_4)
	v_add_f32_e32 v59, v73, v59
	v_fma_f32 v60, v62, v56, -v60
	v_mul_f32_e32 v62, v67, v55
	v_add_f32_e32 v71, v72, v71
	v_mul_f32_e32 v55, v66, v55
	v_add_f32_e32 v61, v70, v61
	s_wait_dscnt 0x0
	v_mul_f32_e32 v73, v65, v3
	v_fma_f32 v53, v66, v54, -v62
	v_dual_mul_f32 v62, v66, v57 :: v_dual_fmac_f32 v55, v67, v54
	s_delay_alu instid0(VALU_DEP_1) | instskip(NEXT) | instid1(VALU_DEP_2)
	v_fmac_f32_e32 v62, v67, v56
	v_add_f32_e32 v70, v51, v55
	s_delay_alu instid0(VALU_DEP_2) | instskip(SKIP_1) | instid1(VALU_DEP_2)
	v_dual_add_f32 v71, v71, v62 :: v_dual_mul_f32 v62, v64, v3
	v_mul_f32_e32 v72, v64, v1
	v_fmac_f32_e32 v62, v65, v2
	v_add_f32_e32 v60, v50, v60
	v_mul_f32_e32 v50, v67, v57
	s_delay_alu instid0(VALU_DEP_3) | instskip(NEXT) | instid1(VALU_DEP_2)
	v_add_f32_e32 v75, v63, v62
	v_fma_f32 v50, v66, v56, -v50
	s_delay_alu instid0(VALU_DEP_1) | instskip(SKIP_1) | instid1(VALU_DEP_1)
	v_dual_add_f32 v66, v52, v53 :: v_dual_add_f32 v67, v58, v50
	v_mul_f32_e32 v54, v65, v1
	v_fma_f32 v58, v64, v0, -v54
	ds_load_b128 v[50:53], v41 offset:160
	ds_load_2addr_b64 v[54:57], v48 offset0:128 offset1:144
	v_dual_add_f32 v74, v59, v58 :: v_dual_mul_f32 v59, v69, v1
	v_fma_f32 v58, v64, v2, -v73
	v_mul_f32_e32 v1, v68, v1
	s_delay_alu instid0(VALU_DEP_3) | instskip(NEXT) | instid1(VALU_DEP_3)
	v_fma_f32 v64, v68, v0, -v59
	v_add_f32_e32 v73, v60, v58
	s_delay_alu instid0(VALU_DEP_3) | instskip(NEXT) | instid1(VALU_DEP_3)
	v_fmac_f32_e32 v1, v69, v0
	v_add_f32_e32 v76, v66, v64
	v_mul_f32_e32 v66, v68, v3
	s_wait_dscnt 0x0
	v_mul_f32_e32 v78, v50, v57
	s_delay_alu instid0(VALU_DEP_2) | instskip(NEXT) | instid1(VALU_DEP_2)
	v_fmac_f32_e32 v66, v69, v2
	v_fmac_f32_e32 v78, v51, v56
	s_delay_alu instid0(VALU_DEP_2) | instskip(SKIP_3) | instid1(VALU_DEP_4)
	v_dual_add_f32 v71, v71, v66 :: v_dual_fmac_f32 v72, v65, v0
	v_mul_f32_e32 v65, v69, v3
	v_mul_f32_e32 v69, v51, v57
	;; [unrolled: 1-line block ×3, first 2 shown]
	v_dual_add_f32 v75, v75, v78 :: v_dual_add_f32 v72, v61, v72
	ds_load_b128 v[58:61], v41 offset:4256
	v_fma_f32 v0, v68, v2, -v65
	ds_load_b128 v[62:65], v41 offset:176
	v_add_f32_e32 v77, v67, v0
	v_fma_f32 v67, v50, v54, -v3
	s_wait_dscnt 0x1
	v_dual_mul_f32 v78, v58, v57 :: v_dual_mul_f32 v79, v59, v55
	s_delay_alu instid0(VALU_DEP_1)
	v_fmac_f32_e32 v78, v59, v56
	v_add_f32_e32 v70, v70, v1
	ds_load_2addr_b64 v[0:3], v48 offset0:160 offset1:176
	v_mul_f32_e32 v68, v50, v55
	v_fma_f32 v50, v50, v56, -v69
	v_add_f32_e32 v71, v71, v78
	s_delay_alu instid0(VALU_DEP_3) | instskip(NEXT) | instid1(VALU_DEP_3)
	v_dual_fmac_f32 v68, v51, v54 :: v_dual_mul_f32 v51, v58, v55
	v_dual_mul_f32 v55, v59, v57 :: v_dual_add_f32 v50, v73, v50
	v_fma_f32 v73, v58, v54, -v79
	s_delay_alu instid0(VALU_DEP_3) | instskip(NEXT) | instid1(VALU_DEP_3)
	v_fmac_f32_e32 v51, v59, v54
	v_fma_f32 v54, v58, v56, -v55
	s_delay_alu instid0(VALU_DEP_2) | instskip(NEXT) | instid1(VALU_DEP_2)
	v_dual_add_f32 v58, v76, v73 :: v_dual_add_f32 v51, v70, v51
	v_add_f32_e32 v59, v77, v54
	s_wait_dscnt 0x0
	v_mul_f32_e32 v55, v53, v1
	s_delay_alu instid0(VALU_DEP_1) | instskip(SKIP_2) | instid1(VALU_DEP_1)
	v_fma_f32 v73, v52, v0, -v55
	ds_load_2addr_b64 v[54:57], v48 offset0:192 offset1:208
	v_add_f32_e32 v74, v74, v67
	v_dual_add_f32 v73, v74, v73 :: v_dual_add_f32 v72, v72, v68
	ds_load_b128 v[66:69], v41 offset:4272
	v_mul_f32_e32 v70, v52, v1
	v_mul_f32_e32 v74, v52, v3
	s_delay_alu instid0(VALU_DEP_2) | instskip(NEXT) | instid1(VALU_DEP_2)
	v_fmac_f32_e32 v70, v53, v0
	v_fmac_f32_e32 v74, v53, v2
	s_delay_alu instid0(VALU_DEP_2) | instskip(SKIP_1) | instid1(VALU_DEP_1)
	v_add_f32_e32 v70, v72, v70
	v_mul_f32_e32 v72, v60, v3
	v_fmac_f32_e32 v72, v61, v2
	s_delay_alu instid0(VALU_DEP_1) | instskip(SKIP_2) | instid1(VALU_DEP_2)
	v_dual_add_f32 v71, v71, v72 :: v_dual_mul_f32 v76, v53, v3
	s_wait_dscnt 0x1
	v_dual_add_f32 v53, v75, v74 :: v_dual_mul_f32 v74, v62, v57
	v_fma_f32 v52, v52, v2, -v76
	v_mul_f32_e32 v76, v61, v1
	s_delay_alu instid0(VALU_DEP_3) | instskip(NEXT) | instid1(VALU_DEP_3)
	v_dual_mul_f32 v1, v60, v1 :: v_dual_fmac_f32 v74, v63, v56
	v_add_f32_e32 v50, v50, v52
	s_delay_alu instid0(VALU_DEP_3) | instskip(NEXT) | instid1(VALU_DEP_3)
	v_fma_f32 v52, v60, v0, -v76
	v_fmac_f32_e32 v1, v61, v0
	v_mul_f32_e32 v0, v61, v3
	v_mul_f32_e32 v61, v62, v55
	s_delay_alu instid0(VALU_DEP_3) | instskip(NEXT) | instid1(VALU_DEP_3)
	v_dual_add_f32 v52, v58, v52 :: v_dual_add_f32 v51, v51, v1
	v_fma_f32 v58, v60, v2, -v0
	v_mul_f32_e32 v60, v63, v55
	ds_load_2addr_b64 v[0:3], v48 offset0:224 offset1:240
	v_fmac_f32_e32 v61, v63, v54
	v_add_f32_e32 v58, v59, v58
	v_fma_f32 v59, v62, v54, -v60
	v_dual_mul_f32 v60, v63, v57 :: v_dual_add_f32 v63, v53, v74
	s_delay_alu instid0(VALU_DEP_2) | instskip(NEXT) | instid1(VALU_DEP_2)
	v_add_f32_e32 v59, v73, v59
	v_fma_f32 v60, v62, v56, -v60
	s_wait_dscnt 0x1
	v_mul_f32_e32 v62, v67, v55
	v_mul_f32_e32 v55, v66, v55
	s_delay_alu instid0(VALU_DEP_2) | instskip(NEXT) | instid1(VALU_DEP_2)
	v_fma_f32 v53, v66, v54, -v62
	v_dual_mul_f32 v62, v66, v57 :: v_dual_fmac_f32 v55, v67, v54
	s_wait_dscnt 0x0
	v_mul_f32_e32 v72, v64, v1
	v_mul_f32_e32 v54, v65, v1
	s_delay_alu instid0(VALU_DEP_3) | instskip(NEXT) | instid1(VALU_DEP_3)
	v_dual_fmac_f32 v62, v67, v56 :: v_dual_mul_f32 v73, v65, v3
	v_dual_add_f32 v61, v70, v61 :: v_dual_fmac_f32 v72, v65, v0
	v_add_f32_e32 v70, v51, v55
	s_delay_alu instid0(VALU_DEP_3) | instskip(NEXT) | instid1(VALU_DEP_3)
	v_dual_add_f32 v71, v71, v62 :: v_dual_mul_f32 v62, v64, v3
	v_add_f32_e32 v72, v61, v72
	s_delay_alu instid0(VALU_DEP_2) | instskip(SKIP_2) | instid1(VALU_DEP_3)
	v_fmac_f32_e32 v62, v65, v2
	v_dual_mul_f32 v65, v69, v3 :: v_dual_add_f32 v60, v50, v60
	v_mul_f32_e32 v50, v67, v57
	v_add_f32_e32 v75, v63, v62
	s_delay_alu instid0(VALU_DEP_2) | instskip(NEXT) | instid1(VALU_DEP_1)
	v_fma_f32 v50, v66, v56, -v50
	v_dual_add_f32 v66, v52, v53 :: v_dual_add_f32 v67, v58, v50
	v_fma_f32 v58, v64, v0, -v54
	ds_load_b128 v[50:53], v41 offset:192
	ds_load_2addr_b64 v[54:57], v49 offset1:16
	v_dual_add_f32 v74, v59, v58 :: v_dual_mul_f32 v59, v69, v1
	v_fma_f32 v58, v64, v2, -v73
	v_mul_f32_e32 v1, v68, v1
	s_delay_alu instid0(VALU_DEP_3) | instskip(NEXT) | instid1(VALU_DEP_3)
	v_fma_f32 v64, v68, v0, -v59
	v_add_f32_e32 v73, v60, v58
	s_delay_alu instid0(VALU_DEP_3)
	v_fmac_f32_e32 v1, v69, v0
	v_fma_f32 v0, v68, v2, -v65
	ds_load_b128 v[58:61], v41 offset:4288
	v_add_f32_e32 v76, v66, v64
	v_mul_f32_e32 v66, v68, v3
	ds_load_b128 v[62:65], v41 offset:208
	v_add_f32_e32 v77, v67, v0
	s_wait_dscnt 0x2
	v_mul_f32_e32 v3, v51, v55
	v_mul_f32_e32 v68, v50, v55
	v_dual_fmac_f32 v66, v69, v2 :: v_dual_mul_f32 v69, v51, v57
	v_mul_f32_e32 v78, v50, v57
	s_delay_alu instid0(VALU_DEP_4) | instskip(NEXT) | instid1(VALU_DEP_4)
	v_fma_f32 v67, v50, v54, -v3
	v_fmac_f32_e32 v68, v51, v54
	s_delay_alu instid0(VALU_DEP_4)
	v_add_f32_e32 v71, v71, v66
	v_fma_f32 v50, v50, v56, -v69
	v_fmac_f32_e32 v78, v51, v56
	v_add_f32_e32 v74, v74, v67
	v_add_f32_e32 v72, v72, v68
	ds_load_b128 v[66:69], v41 offset:4304
	v_add_f32_e32 v70, v70, v1
	ds_load_2addr_b64 v[0:3], v49 offset0:32 offset1:48
	s_wait_dscnt 0x3
	v_mul_f32_e32 v79, v59, v55
	v_mul_f32_e32 v51, v58, v55
	v_dual_mul_f32 v55, v59, v57 :: v_dual_add_f32 v50, v73, v50
	v_add_f32_e32 v75, v75, v78
	s_delay_alu instid0(VALU_DEP_4) | instskip(NEXT) | instid1(VALU_DEP_4)
	v_fma_f32 v73, v58, v54, -v79
	v_dual_fmac_f32 v51, v59, v54 :: v_dual_mul_f32 v78, v58, v57
	s_delay_alu instid0(VALU_DEP_4) | instskip(NEXT) | instid1(VALU_DEP_2)
	v_fma_f32 v54, v58, v56, -v55
	v_dual_add_f32 v58, v76, v73 :: v_dual_add_f32 v51, v70, v51
	s_delay_alu instid0(VALU_DEP_2) | instskip(SKIP_4) | instid1(VALU_DEP_3)
	v_dual_fmac_f32 v78, v59, v56 :: v_dual_add_f32 v59, v77, v54
	s_wait_dscnt 0x0
	v_mul_f32_e32 v55, v53, v1
	v_mul_f32_e32 v70, v52, v1
	;; [unrolled: 1-line block ×3, first 2 shown]
	v_fma_f32 v73, v52, v0, -v55
	ds_load_2addr_b64 v[54:57], v49 offset0:64 offset1:80
	v_dual_fmac_f32 v70, v53, v0 :: v_dual_add_f32 v73, v74, v73
	v_mul_f32_e32 v74, v52, v3
	v_fma_f32 v52, v52, v2, -v76
	v_mul_f32_e32 v76, v61, v1
	v_mul_f32_e32 v1, v60, v1
	v_add_f32_e32 v70, v72, v70
	v_mul_f32_e32 v72, v60, v3
	v_add_f32_e32 v50, v50, v52
	v_fma_f32 v52, v60, v0, -v76
	v_fmac_f32_e32 v1, v61, v0
	v_mul_f32_e32 v0, v61, v3
	v_fmac_f32_e32 v74, v53, v2
	v_fmac_f32_e32 v72, v61, v2
	s_delay_alu instid0(VALU_DEP_4) | instskip(NEXT) | instid1(VALU_DEP_4)
	v_dual_add_f32 v52, v58, v52 :: v_dual_add_f32 v51, v51, v1
	v_fma_f32 v58, v60, v2, -v0
	s_wait_dscnt 0x0
	v_mul_f32_e32 v60, v63, v55
	ds_load_2addr_b64 v[0:3], v49 offset0:96 offset1:112
	v_dual_add_f32 v53, v75, v74 :: v_dual_mul_f32 v74, v62, v57
	v_add_f32_e32 v58, v59, v58
	v_fma_f32 v59, v62, v54, -v60
	v_dual_mul_f32 v60, v63, v57 :: v_dual_mul_f32 v61, v62, v55
	s_delay_alu instid0(VALU_DEP_2) | instskip(NEXT) | instid1(VALU_DEP_2)
	v_dual_fmac_f32 v74, v63, v56 :: v_dual_add_f32 v59, v73, v59
	v_fma_f32 v60, v62, v56, -v60
	v_mul_f32_e32 v62, v67, v55
	v_mul_f32_e32 v55, v66, v55
	v_fmac_f32_e32 v61, v63, v54
	s_delay_alu instid0(VALU_DEP_4)
	v_dual_add_f32 v63, v53, v74 :: v_dual_add_f32 v60, v50, v60
	v_mul_f32_e32 v50, v67, v57
	v_fma_f32 v53, v66, v54, -v62
	v_dual_fmac_f32 v55, v67, v54 :: v_dual_mul_f32 v62, v66, v57
	s_wait_dscnt 0x0
	v_mul_f32_e32 v54, v65, v1
	v_fma_f32 v50, v66, v56, -v50
	v_add_f32_e32 v61, v70, v61
	v_add_f32_e32 v66, v52, v53
	;; [unrolled: 1-line block ×3, first 2 shown]
	s_delay_alu instid0(VALU_DEP_4)
	v_dual_fmac_f32 v62, v67, v56 :: v_dual_add_f32 v67, v58, v50
	v_fma_f32 v58, v64, v0, -v54
	ds_load_b128 v[50:53], v41 offset:224
	ds_load_2addr_b64 v[54:57], v49 offset0:128 offset1:144
	v_mul_f32_e32 v73, v65, v3
	s_wait_dscnt 0x0
	v_mul_f32_e32 v79, v50, v57
	v_dual_add_f32 v71, v71, v78 :: v_dual_mul_f32 v78, v50, v55
	s_delay_alu instid0(VALU_DEP_2) | instskip(NEXT) | instid1(VALU_DEP_2)
	v_fmac_f32_e32 v79, v51, v56
	v_dual_add_f32 v71, v71, v72 :: v_dual_mul_f32 v72, v64, v1
	s_delay_alu instid0(VALU_DEP_3) | instskip(NEXT) | instid1(VALU_DEP_2)
	v_fmac_f32_e32 v78, v51, v54
	v_dual_add_f32 v71, v71, v62 :: v_dual_mul_f32 v62, v64, v3
	v_fma_f32 v64, v64, v2, -v73
	v_dual_add_f32 v73, v59, v58 :: v_dual_mul_f32 v58, v69, v1
	v_fmac_f32_e32 v72, v65, v0
	s_delay_alu instid0(VALU_DEP_4) | instskip(NEXT) | instid1(VALU_DEP_4)
	v_fmac_f32_e32 v62, v65, v2
	v_add_f32_e32 v74, v60, v64
	v_mul_f32_e32 v1, v68, v1
	v_fma_f32 v64, v68, v0, -v58
	s_delay_alu instid0(VALU_DEP_4)
	v_dual_add_f32 v72, v61, v72 :: v_dual_add_f32 v75, v63, v62
	v_mul_f32_e32 v62, v69, v3
	ds_load_b128 v[58:61], v41 offset:4320
	v_fmac_f32_e32 v1, v69, v0
	v_add_f32_e32 v76, v66, v64
	v_mul_f32_e32 v66, v68, v3
	v_fma_f32 v0, v68, v2, -v62
	v_mul_f32_e32 v3, v51, v55
	v_mul_f32_e32 v68, v51, v57
	ds_load_b128 v[62:65], v41 offset:240
	v_dual_fmac_f32 v66, v69, v2 :: v_dual_add_f32 v77, v67, v0
	v_fma_f32 v67, v50, v54, -v3
	v_fma_f32 v50, v50, v56, -v68
	v_add_f32_e32 v72, v72, v78
	s_delay_alu instid0(VALU_DEP_4)
	v_add_f32_e32 v71, v71, v66
	v_add_f32_e32 v75, v75, v79
	;; [unrolled: 1-line block ×3, first 2 shown]
	ds_load_b128 v[66:69], v41 offset:4336
	v_add_f32_e32 v70, v70, v1
	ds_load_2addr_b64 v[0:3], v49 offset0:160 offset1:176
	v_add_f32_e32 v50, v74, v50
	s_wait_dscnt 0x3
	v_mul_f32_e32 v80, v59, v55
	v_dual_mul_f32 v51, v58, v55 :: v_dual_mul_f32 v74, v59, v57
	v_mul_f32_e32 v78, v58, v57
	s_delay_alu instid0(VALU_DEP_3) | instskip(NEXT) | instid1(VALU_DEP_3)
	v_fma_f32 v55, v58, v54, -v80
	v_fmac_f32_e32 v51, v59, v54
	s_delay_alu instid0(VALU_DEP_4) | instskip(NEXT) | instid1(VALU_DEP_4)
	v_fma_f32 v54, v58, v56, -v74
	v_fmac_f32_e32 v78, v59, v56
	s_delay_alu instid0(VALU_DEP_4) | instskip(NEXT) | instid1(VALU_DEP_4)
	v_add_f32_e32 v76, v76, v55
	v_add_f32_e32 v51, v70, v51
	s_delay_alu instid0(VALU_DEP_4) | instskip(NEXT) | instid1(VALU_DEP_4)
	v_add_f32_e32 v59, v77, v54
	v_add_f32_e32 v71, v71, v78
	s_wait_dscnt 0x0
	v_mul_f32_e32 v55, v53, v1
	v_mul_f32_e32 v58, v52, v1
	;; [unrolled: 1-line block ×3, first 2 shown]
	s_delay_alu instid0(VALU_DEP_3) | instskip(SKIP_4) | instid1(VALU_DEP_3)
	v_fma_f32 v70, v52, v0, -v55
	ds_load_2addr_b64 v[54:57], v49 offset0:192 offset1:208
	v_fmac_f32_e32 v58, v53, v0
	v_dual_add_f32 v70, v73, v70 :: v_dual_mul_f32 v73, v52, v3
	v_fma_f32 v52, v52, v2, -v74
	v_add_f32_e32 v58, v72, v58
	v_mul_f32_e32 v72, v61, v1
	v_mul_f32_e32 v1, v60, v1
	s_delay_alu instid0(VALU_DEP_4) | instskip(SKIP_1) | instid1(VALU_DEP_4)
	v_dual_fmac_f32 v73, v53, v2 :: v_dual_add_f32 v50, v50, v52
	v_mul_f32_e32 v52, v61, v3
	v_fma_f32 v53, v60, v0, -v72
	s_delay_alu instid0(VALU_DEP_3) | instskip(SKIP_1) | instid1(VALU_DEP_4)
	v_dual_fmac_f32 v1, v61, v0 :: v_dual_add_f32 v72, v75, v73
	v_mul_f32_e32 v73, v60, v3
	v_fma_f32 v0, v60, v2, -v52
	s_delay_alu instid0(VALU_DEP_4) | instskip(NEXT) | instid1(VALU_DEP_4)
	v_add_f32_e32 v52, v76, v53
	v_add_f32_e32 v51, v51, v1
	s_wait_dscnt 0x0
	v_mul_f32_e32 v53, v63, v55
	v_fmac_f32_e32 v73, v61, v2
	v_add_f32_e32 v59, v59, v0
	ds_load_2addr_b64 v[0:3], v49 offset0:224 offset1:240
	v_mul_f32_e32 v60, v62, v55
	v_fma_f32 v53, v62, v54, -v53
	v_add_f32_e32 v61, v71, v73
	v_mul_f32_e32 v71, v63, v57
	s_delay_alu instid0(VALU_DEP_4) | instskip(NEXT) | instid1(VALU_DEP_4)
	v_dual_mul_f32 v73, v62, v57 :: v_dual_fmac_f32 v60, v63, v54
	v_dual_add_f32 v53, v70, v53 :: v_dual_mul_f32 v70, v67, v55
	s_delay_alu instid0(VALU_DEP_3) | instskip(SKIP_1) | instid1(VALU_DEP_4)
	v_fma_f32 v62, v62, v56, -v71
	v_mul_f32_e32 v55, v66, v55
	v_add_f32_e32 v58, v58, v60
	v_fmac_f32_e32 v73, v63, v56
	v_fma_f32 v60, v66, v54, -v70
	v_add_f32_e32 v50, v50, v62
	v_mul_f32_e32 v62, v67, v57
	v_dual_fmac_f32 v55, v67, v54 :: v_dual_mul_f32 v54, v66, v57
	s_delay_alu instid0(VALU_DEP_4) | instskip(SKIP_1) | instid1(VALU_DEP_4)
	v_add_f32_e32 v52, v52, v60
	v_add_f32_e32 v63, v72, v73
	v_fma_f32 v57, v66, v56, -v62
	s_wait_dscnt 0x0
	v_mul_f32_e32 v60, v65, v1
	v_dual_mul_f32 v62, v64, v1 :: v_dual_add_f32 v51, v51, v55
	v_fmac_f32_e32 v54, v67, v56
	v_add_f32_e32 v59, v59, v57
	s_delay_alu instid0(VALU_DEP_4) | instskip(NEXT) | instid1(VALU_DEP_4)
	v_fma_f32 v55, v64, v0, -v60
	v_fmac_f32_e32 v62, v65, v0
	v_mul_f32_e32 v60, v65, v3
	v_dual_mul_f32 v66, v64, v3 :: v_dual_add_f32 v61, v61, v54
	s_delay_alu instid0(VALU_DEP_3) | instskip(NEXT) | instid1(VALU_DEP_3)
	v_dual_add_f32 v56, v53, v55 :: v_dual_add_f32 v57, v58, v62
	v_fma_f32 v53, v64, v2, -v60
	v_mul_f32_e32 v55, v69, v1
	v_dual_mul_f32 v1, v68, v1 :: v_dual_mul_f32 v58, v69, v3
	v_dual_mul_f32 v3, v68, v3 :: v_dual_fmac_f32 v66, v65, v2
	s_delay_alu instid0(VALU_DEP_4) | instskip(NEXT) | instid1(VALU_DEP_4)
	v_add_f32_e32 v54, v50, v53
	v_fma_f32 v50, v68, v0, -v55
	s_delay_alu instid0(VALU_DEP_4) | instskip(SKIP_3) | instid1(VALU_DEP_4)
	v_fmac_f32_e32 v1, v69, v0
	v_fma_f32 v0, v68, v2, -v58
	v_fmac_f32_e32 v3, v69, v2
	v_add_f32_e32 v55, v63, v66
	v_dual_add_f32 v52, v52, v50 :: v_dual_add_f32 v53, v51, v1
	s_delay_alu instid0(VALU_DEP_3)
	v_dual_add_f32 v51, v59, v0 :: v_dual_add_f32 v50, v61, v3
	s_wait_loadcnt 0x0
	s_barrier_signal -1
	s_barrier_wait -1
	global_inv scope:SCOPE_SE
	s_cbranch_scc1 .LBB91_59
.LBB91_10:                              ;   Parent Loop BB91_4 Depth=1
                                        ;     Parent Loop BB91_7 Depth=2
                                        ; =>    This Inner Loop Header: Depth=3
	s_wait_alu 0xfffe
	v_add_co_u32 v0, s5, v16, s52
	s_wait_alu 0xf1ff
	v_add_co_ci_u32_e64 v1, null, s53, v17, s5
	v_cmp_eq_u64_e64 s7, s[52:53], v[20:21]
	v_add_co_u32 v2, s8, v30, v22
	s_delay_alu instid0(VALU_DEP_3)
	v_cmp_lt_i64_e64 s5, v[0:1], v[18:19]
	v_cmp_le_i64_e64 s6, s[44:45], v[0:1]
	s_wait_alu 0xf1ff
	v_add_co_ci_u32_e64 v3, null, v31, v23, s8
	s_and_b32 s62, s56, s7
	s_or_b32 s8, vcc_lo, s5
	s_wait_alu 0xfffe
	s_or_b32 s7, s6, s8
	s_wait_alu 0xfffe
	s_nor_b32 s7, s7, s62
	s_wait_alu 0xfffe
	s_and_saveexec_b32 s8, s7
	s_wait_alu 0xfffe
	s_xor_b32 s7, exec_lo, s8
	s_cbranch_execz .LBB91_12
; %bb.11:                               ;   in Loop: Header=BB91_10 Depth=3
	global_load_b64 v[58:59], v[2:3], off
	s_wait_loadcnt 0x0
	ds_store_b64 v43, v[58:59]
.LBB91_12:                              ;   in Loop: Header=BB91_10 Depth=3
	s_wait_alu 0xfffe
	s_or_saveexec_b32 s7, s7
	s_xor_b32 s61, s62, -1
	s_wait_alu 0xfffe
	s_xor_b32 exec_lo, exec_lo, s7
	s_cbranch_execz .LBB91_18
; %bb.13:                               ;   in Loop: Header=BB91_10 Depth=3
	s_and_saveexec_b32 s8, s61
	s_wait_alu 0xfffe
	s_xor_b32 s8, exec_lo, s8
; %bb.14:                               ;   in Loop: Header=BB91_10 Depth=3
	v_dual_mov_b32 v58, v11 :: v_dual_mov_b32 v59, v11
	ds_store_b64 v43, v[58:59]
; %bb.15:                               ;   in Loop: Header=BB91_10 Depth=3
	s_wait_alu 0xfffe
	s_and_not1_saveexec_b32 s8, s8
; %bb.16:                               ;   in Loop: Header=BB91_10 Depth=3
	ds_store_b64 v43, v[10:11]
; %bb.17:                               ;   in Loop: Header=BB91_10 Depth=3
	s_wait_alu 0xfffe
	s_or_b32 exec_lo, exec_lo, s8
.LBB91_18:                              ;   in Loop: Header=BB91_10 Depth=3
	s_delay_alu instid0(SALU_CYCLE_1) | instskip(SKIP_4) | instid1(VALU_DEP_2)
	s_or_b32 exec_lo, exec_lo, s7
	v_add_co_u32 v58, s7, v0, 16
	s_wait_alu 0xf1ff
	v_add_co_ci_u32_e64 v59, null, 0, v1, s7
	v_cmp_eq_u64_e64 s9, s[52:53], v[36:37]
	v_cmp_lt_i64_e64 s8, v[58:59], v[18:19]
	v_cmp_le_i64_e64 s7, s[44:45], v[58:59]
	s_and_b32 s9, s56, s9
	s_or_b32 s8, vcc_lo, s8
	s_wait_alu 0xfffe
	s_or_b32 s8, s7, s8
	s_wait_alu 0xfffe
	s_nor_b32 s8, s8, s9
	s_wait_alu 0xfffe
	s_and_saveexec_b32 s63, s8
	s_delay_alu instid0(SALU_CYCLE_1)
	s_xor_b32 s63, exec_lo, s63
	s_cbranch_execz .LBB91_20
; %bb.19:                               ;   in Loop: Header=BB91_10 Depth=3
	v_add_co_u32 v58, s8, v28, v22
	s_wait_alu 0xf1ff
	v_add_co_ci_u32_e64 v59, null, v29, v23, s8
	global_load_b64 v[58:59], v[58:59], off
	s_wait_loadcnt 0x0
	ds_store_b64 v43, v[58:59] offset:128
.LBB91_20:                              ;   in Loop: Header=BB91_10 Depth=3
	s_and_not1_saveexec_b32 s8, s63
	s_cbranch_execz .LBB91_26
; %bb.21:                               ;   in Loop: Header=BB91_10 Depth=3
	s_xor_b32 s9, s9, -1
	s_wait_alu 0xfffe
	s_and_saveexec_b32 s63, s9
	s_delay_alu instid0(SALU_CYCLE_1)
	s_xor_b32 s9, exec_lo, s63
; %bb.22:                               ;   in Loop: Header=BB91_10 Depth=3
	v_dual_mov_b32 v58, v11 :: v_dual_mov_b32 v59, v11
	ds_store_b64 v43, v[58:59] offset:128
; %bb.23:                               ;   in Loop: Header=BB91_10 Depth=3
	s_wait_alu 0xfffe
	s_and_not1_saveexec_b32 s9, s9
; %bb.24:                               ;   in Loop: Header=BB91_10 Depth=3
	ds_store_b64 v43, v[10:11] offset:128
; %bb.25:                               ;   in Loop: Header=BB91_10 Depth=3
	s_wait_alu 0xfffe
	s_or_b32 exec_lo, exec_lo, s9
.LBB91_26:                              ;   in Loop: Header=BB91_10 Depth=3
	s_wait_alu 0xfffe
	s_or_b32 exec_lo, exec_lo, s8
	v_cmp_eq_u64_e64 s8, s[52:53], v[34:35]
	v_cmp_lt_i64_e64 s9, v[0:1], v[32:33]
	s_and_b32 s8, s56, s8
	s_or_b32 s9, s4, s9
	s_wait_alu 0xfffe
	s_or_b32 s9, s9, s8
	s_wait_alu 0xfffe
	s_nor_b32 s6, s6, s9
	s_wait_alu 0xfffe
	s_and_saveexec_b32 s9, s6
	s_wait_alu 0xfffe
	s_xor_b32 s6, exec_lo, s9
	s_cbranch_execz .LBB91_28
; %bb.27:                               ;   in Loop: Header=BB91_10 Depth=3
	global_load_b64 v[0:1], v[2:3], off offset:128
	s_wait_loadcnt 0x0
	ds_store_b64 v43, v[0:1] offset:4096
.LBB91_28:                              ;   in Loop: Header=BB91_10 Depth=3
	s_wait_alu 0xfffe
	s_and_not1_saveexec_b32 s6, s6
	s_cbranch_execz .LBB91_34
; %bb.29:                               ;   in Loop: Header=BB91_10 Depth=3
	s_xor_b32 s8, s8, -1
	s_wait_alu 0xfffe
	s_and_saveexec_b32 s9, s8
	s_wait_alu 0xfffe
	s_xor_b32 s8, exec_lo, s9
; %bb.30:                               ;   in Loop: Header=BB91_10 Depth=3
	v_dual_mov_b32 v0, v11 :: v_dual_mov_b32 v1, v11
	ds_store_b64 v43, v[0:1] offset:4096
; %bb.31:                               ;   in Loop: Header=BB91_10 Depth=3
	s_wait_alu 0xfffe
	s_and_not1_saveexec_b32 s8, s8
; %bb.32:                               ;   in Loop: Header=BB91_10 Depth=3
	ds_store_b64 v43, v[10:11] offset:4096
; %bb.33:                               ;   in Loop: Header=BB91_10 Depth=3
	s_wait_alu 0xfffe
	s_or_b32 exec_lo, exec_lo, s8
.LBB91_34:                              ;   in Loop: Header=BB91_10 Depth=3
	s_wait_alu 0xfffe
	s_or_b32 exec_lo, exec_lo, s6
	s_or_b32 s5, s4, s5
	s_wait_alu 0xfffe
	s_or_b32 s5, s7, s5
	s_wait_alu 0xfffe
	s_nor_b32 s5, s5, s62
	s_wait_alu 0xfffe
	s_and_saveexec_b32 s6, s5
	s_wait_alu 0xfffe
	s_xor_b32 s6, exec_lo, s6
	s_cbranch_execz .LBB91_36
; %bb.35:                               ;   in Loop: Header=BB91_10 Depth=3
	v_add_co_u32 v0, s5, v28, v22
	s_wait_alu 0xf1ff
	v_add_co_ci_u32_e64 v1, null, v29, v23, s5
	global_load_b64 v[0:1], v[0:1], off offset:128
	s_wait_loadcnt 0x0
	ds_store_b64 v43, v[0:1] offset:4224
.LBB91_36:                              ;   in Loop: Header=BB91_10 Depth=3
	s_wait_alu 0xfffe
	s_and_not1_saveexec_b32 s5, s6
	s_cbranch_execz .LBB91_42
; %bb.37:                               ;   in Loop: Header=BB91_10 Depth=3
	s_and_saveexec_b32 s6, s61
	s_wait_alu 0xfffe
	s_xor_b32 s6, exec_lo, s6
; %bb.38:                               ;   in Loop: Header=BB91_10 Depth=3
	v_dual_mov_b32 v0, v11 :: v_dual_mov_b32 v1, v11
	ds_store_b64 v43, v[0:1] offset:4224
; %bb.39:                               ;   in Loop: Header=BB91_10 Depth=3
	s_wait_alu 0xfffe
	s_and_not1_saveexec_b32 s6, s6
; %bb.40:                               ;   in Loop: Header=BB91_10 Depth=3
	ds_store_b64 v43, v[10:11] offset:4224
; %bb.41:                               ;   in Loop: Header=BB91_10 Depth=3
	s_wait_alu 0xfffe
	s_or_b32 exec_lo, exec_lo, s6
.LBB91_42:                              ;   in Loop: Header=BB91_10 Depth=3
	s_wait_alu 0xfffe
	s_or_b32 exec_lo, exec_lo, s5
	v_add_co_u32 v0, s5, v14, s52
	s_wait_alu 0xf1ff
	v_add_co_ci_u32_e64 v1, null, s53, v15, s5
	v_add_co_u32 v2, s6, v38, v24
	s_wait_alu 0xf1ff
	v_add_co_ci_u32_e64 v3, null, v39, v25, s6
	s_delay_alu instid0(VALU_DEP_3)
	v_cmp_le_i64_e64 s5, s[44:45], v[0:1]
	s_nor_b32 s6, s5, s2
	s_wait_alu 0xfffe
	s_and_saveexec_b32 s7, s6
	s_wait_alu 0xfffe
	s_xor_b32 s6, exec_lo, s7
	s_cbranch_execz .LBB91_44
; %bb.43:                               ;   in Loop: Header=BB91_10 Depth=3
	global_load_b64 v[58:59], v[2:3], off offset:-128
	s_wait_loadcnt 0x0
	ds_store_b64 v44, v[58:59]
.LBB91_44:                              ;   in Loop: Header=BB91_10 Depth=3
	s_wait_alu 0xfffe
	s_and_not1_saveexec_b32 s6, s6
; %bb.45:                               ;   in Loop: Header=BB91_10 Depth=3
	v_dual_mov_b32 v58, v11 :: v_dual_mov_b32 v59, v11
	ds_store_b64 v44, v[58:59]
; %bb.46:                               ;   in Loop: Header=BB91_10 Depth=3
	s_wait_alu 0xfffe
	s_or_b32 exec_lo, exec_lo, s6
	s_nor_b32 s5, s5, s3
	s_wait_alu 0xfffe
	s_and_saveexec_b32 s6, s5
	s_wait_alu 0xfffe
	s_xor_b32 s5, exec_lo, s6
	s_cbranch_execz .LBB91_48
; %bb.47:                               ;   in Loop: Header=BB91_10 Depth=3
	global_load_b64 v[2:3], v[2:3], off
	s_wait_loadcnt 0x0
	ds_store_b64 v44, v[2:3] offset:128
.LBB91_48:                              ;   in Loop: Header=BB91_10 Depth=3
	s_wait_alu 0xfffe
	s_and_not1_saveexec_b32 s5, s5
; %bb.49:                               ;   in Loop: Header=BB91_10 Depth=3
	v_dual_mov_b32 v2, v11 :: v_dual_mov_b32 v3, v11
	ds_store_b64 v44, v[2:3] offset:128
; %bb.50:                               ;   in Loop: Header=BB91_10 Depth=3
	s_wait_alu 0xfffe
	s_or_b32 exec_lo, exec_lo, s5
	v_cmp_le_i64_e64 s5, s[26:27], v[0:1]
	v_add_co_u32 v0, s6, v38, v26
	s_wait_alu 0xf1ff
	v_add_co_ci_u32_e64 v1, null, v39, v27, s6
	s_nor_b32 s6, s5, s2
	s_wait_alu 0xfffe
	s_and_saveexec_b32 s7, s6
	s_wait_alu 0xfffe
	s_xor_b32 s6, exec_lo, s7
	s_cbranch_execz .LBB91_52
; %bb.51:                               ;   in Loop: Header=BB91_10 Depth=3
	global_load_b64 v[2:3], v[0:1], off offset:-128
	s_wait_loadcnt 0x0
	ds_store_b64 v44, v[2:3] offset:4096
.LBB91_52:                              ;   in Loop: Header=BB91_10 Depth=3
	s_wait_alu 0xfffe
	s_and_not1_saveexec_b32 s6, s6
; %bb.53:                               ;   in Loop: Header=BB91_10 Depth=3
	v_dual_mov_b32 v2, v11 :: v_dual_mov_b32 v3, v11
	ds_store_b64 v44, v[2:3] offset:4096
; %bb.54:                               ;   in Loop: Header=BB91_10 Depth=3
	s_wait_alu 0xfffe
	s_or_b32 exec_lo, exec_lo, s6
	s_nor_b32 s5, s5, s3
	s_wait_alu 0xfffe
	s_and_saveexec_b32 s6, s5
	s_wait_alu 0xfffe
	s_xor_b32 s5, exec_lo, s6
	s_cbranch_execz .LBB91_56
; %bb.55:                               ;   in Loop: Header=BB91_10 Depth=3
	global_load_b64 v[0:1], v[0:1], off
	s_wait_loadcnt 0x0
	ds_store_b64 v44, v[0:1] offset:4224
.LBB91_56:                              ;   in Loop: Header=BB91_10 Depth=3
	s_wait_alu 0xfffe
	s_and_not1_saveexec_b32 s5, s5
	s_cbranch_execz .LBB91_9
; %bb.57:                               ;   in Loop: Header=BB91_10 Depth=3
	v_dual_mov_b32 v0, v11 :: v_dual_mov_b32 v1, v11
	ds_store_b64 v44, v[0:1] offset:4224
	s_branch .LBB91_9
.LBB91_58:                              ;   in Loop: Header=BB91_7 Depth=2
	v_dual_mov_b32 v56, 0 :: v_dual_mov_b32 v57, 0
	v_dual_mov_b32 v54, 0 :: v_dual_mov_b32 v55, 0
	;; [unrolled: 1-line block ×4, first 2 shown]
.LBB91_59:                              ;   in Loop: Header=BB91_7 Depth=2
	v_mul_lo_u32 v2, s29, v18
	v_mul_lo_u32 v3, s28, v19
	v_mad_co_u64_u32 v[0:1], null, s28, v18, 0
	v_cmp_gt_i32_e32 vcc_lo, s38, v18
	s_delay_alu instid0(VALU_DEP_2) | instskip(NEXT) | instid1(VALU_DEP_1)
	v_add3_u32 v1, v1, v3, v2
	v_lshlrev_b64_e32 v[0:1], 3, v[0:1]
	s_delay_alu instid0(VALU_DEP_1) | instskip(SKIP_1) | instid1(VALU_DEP_2)
	v_add_co_u32 v0, s4, s36, v0
	s_wait_alu 0xf1ff
	v_add_co_ci_u32_e64 v1, null, s37, v1, s4
	s_and_b32 s4, s0, vcc_lo
	s_wait_alu 0xfffe
	s_and_saveexec_b32 s5, s4
	s_cbranch_execz .LBB91_61
; %bb.60:                               ;   in Loop: Header=BB91_7 Depth=2
	v_add_co_u32 v2, s4, v0, v6
	s_wait_alu 0xf1ff
	v_add_co_ci_u32_e64 v3, null, v1, v7, s4
	v_mul_f32_e32 v17, s40, v57
	global_load_b64 v[19:20], v[2:3], off
	v_fmac_f32_e32 v17, s41, v56
	s_wait_loadcnt 0x0
	s_delay_alu instid0(VALU_DEP_1) | instskip(NEXT) | instid1(VALU_DEP_1)
	v_dual_mul_f32 v15, s41, v57 :: v_dual_add_f32 v20, v17, v20
	v_fma_f32 v15, v56, s40, -v15
	s_delay_alu instid0(VALU_DEP_1)
	v_add_f32_e32 v19, v19, v15
	global_store_b64 v[2:3], v[19:20], off
.LBB91_61:                              ;   in Loop: Header=BB91_7 Depth=2
	s_wait_alu 0xfffe
	s_or_b32 exec_lo, exec_lo, s5
	s_and_b32 s5, s1, vcc_lo
	s_wait_alu 0xfffe
	s_and_saveexec_b32 s4, s5
	s_cbranch_execz .LBB91_63
; %bb.62:                               ;   in Loop: Header=BB91_7 Depth=2
	v_lshlrev_b64_e32 v[2:3], 3, v[4:5]
	v_mul_f32_e32 v15, s41, v55
	v_mul_f32_e32 v17, s40, v55
	s_delay_alu instid0(VALU_DEP_2) | instskip(NEXT) | instid1(VALU_DEP_4)
	v_fma_f32 v15, v54, s40, -v15
	v_add_co_u32 v0, vcc_lo, v0, v2
	s_wait_alu 0xfffd
	v_add_co_ci_u32_e64 v1, null, v1, v3, vcc_lo
	global_load_b64 v[2:3], v[0:1], off
	s_wait_loadcnt 0x0
	v_dual_fmac_f32 v17, s41, v54 :: v_dual_add_f32 v2, v2, v15
	s_delay_alu instid0(VALU_DEP_1)
	v_add_f32_e32 v3, v17, v3
	global_store_b64 v[0:1], v[2:3], off
.LBB91_63:                              ;   in Loop: Header=BB91_7 Depth=2
	s_wait_alu 0xfffe
	s_or_b32 exec_lo, exec_lo, s4
	v_add_nc_u32_e32 v2, 16, v18
	s_delay_alu instid0(VALU_DEP_1) | instskip(SKIP_3) | instid1(VALU_DEP_4)
	v_ashrrev_i32_e32 v3, 31, v2
	v_mul_lo_u32 v15, s29, v2
	v_mad_co_u64_u32 v[0:1], null, s28, v2, 0
	v_cmp_gt_i32_e32 vcc_lo, s38, v2
	v_mul_lo_u32 v3, s28, v3
	s_delay_alu instid0(VALU_DEP_1) | instskip(NEXT) | instid1(VALU_DEP_1)
	v_add3_u32 v1, v1, v3, v15
	v_lshlrev_b64_e32 v[0:1], 3, v[0:1]
	s_delay_alu instid0(VALU_DEP_1) | instskip(SKIP_1) | instid1(VALU_DEP_2)
	v_add_co_u32 v0, s4, s36, v0
	s_wait_alu 0xf1ff
	v_add_co_ci_u32_e64 v1, null, s37, v1, s4
	s_and_b32 s4, s0, vcc_lo
	s_wait_alu 0xfffe
	s_and_saveexec_b32 s5, s4
	s_cbranch_execz .LBB91_65
; %bb.64:                               ;   in Loop: Header=BB91_7 Depth=2
	v_add_co_u32 v2, s4, v0, v6
	s_wait_alu 0xf1ff
	v_add_co_ci_u32_e64 v3, null, v1, v7, s4
	v_mul_f32_e32 v19, s40, v53
	global_load_b64 v[17:18], v[2:3], off
	v_fmac_f32_e32 v19, s41, v52
	s_wait_loadcnt 0x0
	s_delay_alu instid0(VALU_DEP_1) | instskip(NEXT) | instid1(VALU_DEP_1)
	v_dual_mul_f32 v15, s41, v53 :: v_dual_add_f32 v18, v19, v18
	v_fma_f32 v15, v52, s40, -v15
	s_delay_alu instid0(VALU_DEP_1)
	v_add_f32_e32 v17, v17, v15
	global_store_b64 v[2:3], v[17:18], off
.LBB91_65:                              ;   in Loop: Header=BB91_7 Depth=2
	s_wait_alu 0xfffe
	s_or_b32 exec_lo, exec_lo, s5
	s_and_b32 s5, s1, vcc_lo
	s_wait_alu 0xfffe
	s_and_saveexec_b32 s4, s5
	s_cbranch_execz .LBB91_6
; %bb.66:                               ;   in Loop: Header=BB91_7 Depth=2
	v_lshlrev_b64_e32 v[2:3], 3, v[4:5]
	v_mul_f32_e32 v15, s41, v50
	s_delay_alu instid0(VALU_DEP_1) | instskip(NEXT) | instid1(VALU_DEP_3)
	v_fma_f32 v15, v51, s40, -v15
	v_add_co_u32 v0, vcc_lo, v0, v2
	s_wait_alu 0xfffd
	s_delay_alu instid0(VALU_DEP_4) | instskip(SKIP_3) | instid1(VALU_DEP_1)
	v_add_co_ci_u32_e64 v1, null, v1, v3, vcc_lo
	global_load_b64 v[2:3], v[0:1], off
	s_wait_loadcnt 0x0
	v_dual_mul_f32 v17, s40, v50 :: v_dual_add_f32 v2, v2, v15
	v_fmac_f32_e32 v17, s41, v51
	s_delay_alu instid0(VALU_DEP_1)
	v_add_f32_e32 v3, v17, v3
	global_store_b64 v[0:1], v[2:3], off
	s_branch .LBB91_6
.LBB91_67:
	s_endpgm
	.section	.rodata,"a",@progbits
	.p2align	6, 0x0
	.amdhsa_kernel _ZL30rocblas_trmm_outofplace_kernelI19rocblas_complex_numIfELi32ELi2ELb0ELb1ELb1ELb0ES1_KS1_S1_Ev17rocblas_diagonal_iiT6_lPT7_lllS6_lllPT8_llli
		.amdhsa_group_segment_fixed_size 16384
		.amdhsa_private_segment_fixed_size 0
		.amdhsa_kernarg_size 392
		.amdhsa_user_sgpr_count 2
		.amdhsa_user_sgpr_dispatch_ptr 0
		.amdhsa_user_sgpr_queue_ptr 0
		.amdhsa_user_sgpr_kernarg_segment_ptr 1
		.amdhsa_user_sgpr_dispatch_id 0
		.amdhsa_user_sgpr_private_segment_size 0
		.amdhsa_wavefront_size32 1
		.amdhsa_uses_dynamic_stack 0
		.amdhsa_enable_private_segment 0
		.amdhsa_system_sgpr_workgroup_id_x 1
		.amdhsa_system_sgpr_workgroup_id_y 1
		.amdhsa_system_sgpr_workgroup_id_z 1
		.amdhsa_system_sgpr_workgroup_info 0
		.amdhsa_system_vgpr_workitem_id 1
		.amdhsa_next_free_vgpr 92
		.amdhsa_next_free_sgpr 64
		.amdhsa_reserve_vcc 1
		.amdhsa_float_round_mode_32 0
		.amdhsa_float_round_mode_16_64 0
		.amdhsa_float_denorm_mode_32 3
		.amdhsa_float_denorm_mode_16_64 3
		.amdhsa_fp16_overflow 0
		.amdhsa_workgroup_processor_mode 1
		.amdhsa_memory_ordered 1
		.amdhsa_forward_progress 1
		.amdhsa_inst_pref_size 60
		.amdhsa_round_robin_scheduling 0
		.amdhsa_exception_fp_ieee_invalid_op 0
		.amdhsa_exception_fp_denorm_src 0
		.amdhsa_exception_fp_ieee_div_zero 0
		.amdhsa_exception_fp_ieee_overflow 0
		.amdhsa_exception_fp_ieee_underflow 0
		.amdhsa_exception_fp_ieee_inexact 0
		.amdhsa_exception_int_div_zero 0
	.end_amdhsa_kernel
	.section	.text._ZL30rocblas_trmm_outofplace_kernelI19rocblas_complex_numIfELi32ELi2ELb0ELb1ELb1ELb0ES1_KS1_S1_Ev17rocblas_diagonal_iiT6_lPT7_lllS6_lllPT8_llli,"axG",@progbits,_ZL30rocblas_trmm_outofplace_kernelI19rocblas_complex_numIfELi32ELi2ELb0ELb1ELb1ELb0ES1_KS1_S1_Ev17rocblas_diagonal_iiT6_lPT7_lllS6_lllPT8_llli,comdat
.Lfunc_end91:
	.size	_ZL30rocblas_trmm_outofplace_kernelI19rocblas_complex_numIfELi32ELi2ELb0ELb1ELb1ELb0ES1_KS1_S1_Ev17rocblas_diagonal_iiT6_lPT7_lllS6_lllPT8_llli, .Lfunc_end91-_ZL30rocblas_trmm_outofplace_kernelI19rocblas_complex_numIfELi32ELi2ELb0ELb1ELb1ELb0ES1_KS1_S1_Ev17rocblas_diagonal_iiT6_lPT7_lllS6_lllPT8_llli
                                        ; -- End function
	.set _ZL30rocblas_trmm_outofplace_kernelI19rocblas_complex_numIfELi32ELi2ELb0ELb1ELb1ELb0ES1_KS1_S1_Ev17rocblas_diagonal_iiT6_lPT7_lllS6_lllPT8_llli.num_vgpr, 92
	.set _ZL30rocblas_trmm_outofplace_kernelI19rocblas_complex_numIfELi32ELi2ELb0ELb1ELb1ELb0ES1_KS1_S1_Ev17rocblas_diagonal_iiT6_lPT7_lllS6_lllPT8_llli.num_agpr, 0
	.set _ZL30rocblas_trmm_outofplace_kernelI19rocblas_complex_numIfELi32ELi2ELb0ELb1ELb1ELb0ES1_KS1_S1_Ev17rocblas_diagonal_iiT6_lPT7_lllS6_lllPT8_llli.numbered_sgpr, 64
	.set _ZL30rocblas_trmm_outofplace_kernelI19rocblas_complex_numIfELi32ELi2ELb0ELb1ELb1ELb0ES1_KS1_S1_Ev17rocblas_diagonal_iiT6_lPT7_lllS6_lllPT8_llli.num_named_barrier, 0
	.set _ZL30rocblas_trmm_outofplace_kernelI19rocblas_complex_numIfELi32ELi2ELb0ELb1ELb1ELb0ES1_KS1_S1_Ev17rocblas_diagonal_iiT6_lPT7_lllS6_lllPT8_llli.private_seg_size, 0
	.set _ZL30rocblas_trmm_outofplace_kernelI19rocblas_complex_numIfELi32ELi2ELb0ELb1ELb1ELb0ES1_KS1_S1_Ev17rocblas_diagonal_iiT6_lPT7_lllS6_lllPT8_llli.uses_vcc, 1
	.set _ZL30rocblas_trmm_outofplace_kernelI19rocblas_complex_numIfELi32ELi2ELb0ELb1ELb1ELb0ES1_KS1_S1_Ev17rocblas_diagonal_iiT6_lPT7_lllS6_lllPT8_llli.uses_flat_scratch, 0
	.set _ZL30rocblas_trmm_outofplace_kernelI19rocblas_complex_numIfELi32ELi2ELb0ELb1ELb1ELb0ES1_KS1_S1_Ev17rocblas_diagonal_iiT6_lPT7_lllS6_lllPT8_llli.has_dyn_sized_stack, 0
	.set _ZL30rocblas_trmm_outofplace_kernelI19rocblas_complex_numIfELi32ELi2ELb0ELb1ELb1ELb0ES1_KS1_S1_Ev17rocblas_diagonal_iiT6_lPT7_lllS6_lllPT8_llli.has_recursion, 0
	.set _ZL30rocblas_trmm_outofplace_kernelI19rocblas_complex_numIfELi32ELi2ELb0ELb1ELb1ELb0ES1_KS1_S1_Ev17rocblas_diagonal_iiT6_lPT7_lllS6_lllPT8_llli.has_indirect_call, 0
	.section	.AMDGPU.csdata,"",@progbits
; Kernel info:
; codeLenInByte = 7620
; TotalNumSgprs: 66
; NumVgprs: 92
; ScratchSize: 0
; MemoryBound: 1
; FloatMode: 240
; IeeeMode: 1
; LDSByteSize: 16384 bytes/workgroup (compile time only)
; SGPRBlocks: 0
; VGPRBlocks: 11
; NumSGPRsForWavesPerEU: 66
; NumVGPRsForWavesPerEU: 92
; Occupancy: 16
; WaveLimiterHint : 0
; COMPUTE_PGM_RSRC2:SCRATCH_EN: 0
; COMPUTE_PGM_RSRC2:USER_SGPR: 2
; COMPUTE_PGM_RSRC2:TRAP_HANDLER: 0
; COMPUTE_PGM_RSRC2:TGID_X_EN: 1
; COMPUTE_PGM_RSRC2:TGID_Y_EN: 1
; COMPUTE_PGM_RSRC2:TGID_Z_EN: 1
; COMPUTE_PGM_RSRC2:TIDIG_COMP_CNT: 1
	.section	.text._ZL30rocblas_trmm_outofplace_kernelI19rocblas_complex_numIfELi32ELi2ELb0ELb0ELb1ELb1EPKS1_S2_S1_Ev17rocblas_diagonal_iiT6_lPT7_lllS7_lllPT8_llli,"axG",@progbits,_ZL30rocblas_trmm_outofplace_kernelI19rocblas_complex_numIfELi32ELi2ELb0ELb0ELb1ELb1EPKS1_S2_S1_Ev17rocblas_diagonal_iiT6_lPT7_lllS7_lllPT8_llli,comdat
	.globl	_ZL30rocblas_trmm_outofplace_kernelI19rocblas_complex_numIfELi32ELi2ELb0ELb0ELb1ELb1EPKS1_S2_S1_Ev17rocblas_diagonal_iiT6_lPT7_lllS7_lllPT8_llli ; -- Begin function _ZL30rocblas_trmm_outofplace_kernelI19rocblas_complex_numIfELi32ELi2ELb0ELb0ELb1ELb1EPKS1_S2_S1_Ev17rocblas_diagonal_iiT6_lPT7_lllS7_lllPT8_llli
	.p2align	8
	.type	_ZL30rocblas_trmm_outofplace_kernelI19rocblas_complex_numIfELi32ELi2ELb0ELb0ELb1ELb1EPKS1_S2_S1_Ev17rocblas_diagonal_iiT6_lPT7_lllS7_lllPT8_llli,@function
_ZL30rocblas_trmm_outofplace_kernelI19rocblas_complex_numIfELi32ELi2ELb0ELb0ELb1ELb1EPKS1_S2_S1_Ev17rocblas_diagonal_iiT6_lPT7_lllS7_lllPT8_llli: ; @_ZL30rocblas_trmm_outofplace_kernelI19rocblas_complex_numIfELi32ELi2ELb0ELb0ELb1ELb1EPKS1_S2_S1_Ev17rocblas_diagonal_iiT6_lPT7_lllS7_lllPT8_llli
; %bb.0:
	s_load_b32 s33, s[0:1], 0x80
	s_lshr_b32 s34, ttmp7, 16
	s_wait_kmcnt 0x0
	s_cmp_ge_u32 s34, s33
	s_cbranch_scc1 .LBB92_67
; %bb.1:
	s_clause 0x3
	s_load_b96 s[36:38], s[0:1], 0x0
	s_load_b256 s[4:11], s[0:1], 0x50
	s_load_b512 s[12:27], s[0:1], 0x10
	s_load_b128 s[28:31], s[0:1], 0x70
	s_add_nc_u64 s[40:41], s[0:1], 0x88
	v_dual_mov_b32 v9, 0 :: v_dual_and_b32 v50, 0x3ff, v0
	v_bfe_u32 v51, v0, 10, 10
	s_and_b32 s39, ttmp7, 0xffff
	s_mov_b32 s35, 0
	s_delay_alu instid0(VALU_DEP_2) | instskip(SKIP_3) | instid1(VALU_DEP_4)
	v_lshl_add_u32 v0, ttmp9, 5, v50
	v_lshlrev_b32_e32 v2, 3, v50
	v_lshlrev_b32_e32 v52, 8, v51
	v_lshl_add_u32 v58, s39, 5, v51
	v_ashrrev_i32_e32 v1, 31, v0
	s_delay_alu instid0(VALU_DEP_4)
	v_add_nc_u32_e32 v8, 0x80, v2
	v_or_b32_e32 v53, 0x2000, v2
	v_add_nc_u32_e32 v54, v52, v2
	v_add_nc_u32_e32 v6, 16, v0
	s_wait_kmcnt 0x0
	s_add_co_i32 s0, s38, -1
	v_sub_co_u32 v4, vcc_lo, s37, v0
	s_wait_alu 0xfffe
	s_ashr_i32 s1, s0, 31
	v_mad_co_u64_u32 v[2:3], null, s20, v50, 0
	s_wait_alu 0xfffe
	s_lshr_b32 s1, s1, 27
	v_ashrrev_i32_e32 v7, 31, v6
	s_wait_alu 0xfffe
	s_add_co_i32 s2, s0, s1
	s_lshl_b64 s[0:1], s[10:11], 3
	s_ashr_i32 s48, s2, 5
	s_wait_alu 0xfffe
	s_add_nc_u64 s[42:43], s[8:9], s[0:1]
	s_cmp_le_i32 s39, s48
	v_lshlrev_b64_e32 v[20:21], 3, v[6:7]
	s_cselect_b32 s49, -1, 0
	s_cmp_eq_u32 s36, 0x84
	v_add_nc_u32_e32 v62, 0x1000, v53
	s_cselect_b32 s36, -1, 0
	s_ashr_i32 s0, s37, 31
	s_lshl_b64 s[2:3], s[18:19], 3
	s_wait_alu 0xfffe
	v_sub_co_ci_u32_e64 v5, null, s0, v1, vcc_lo
	s_add_nc_u64 s[8:9], s[16:17], s[2:3]
	v_cmp_gt_i32_e64 s2, s37, v0
	v_mad_co_u64_u32 v[10:11], null, s20, v8, s[8:9]
	v_cmp_gt_i64_e64 s0, 1, v[4:5]
	v_cmp_gt_i64_e64 s1, 17, v[4:5]
	v_mad_co_u64_u32 v[4:5], null, s4, v51, 0
	s_lshl_b64 s[46:47], s[4:5], 8
	v_sub_co_u32 v56, s16, 0, v50
	v_cmp_gt_i32_e64 s3, s37, v6
	v_sub_co_ci_u32_e64 v57, null, 0, 0, s16
	v_mad_co_u64_u32 v[12:13], null, s21, v50, v[3:4]
	v_mov_b32_e32 v3, v11
	s_mov_b32 s10, s38
	s_ashr_i32 s11, s38, 31
	s_lshl_b64 s[44:45], s[20:21], 8
	s_add_nc_u64 s[18:19], s[10:11], -16
	v_mad_co_u64_u32 v[14:15], null, s21, v8, v[3:4]
	s_delay_alu instid0(VALU_DEP_3) | instskip(SKIP_3) | instid1(VALU_DEP_4)
	v_mov_b32_e32 v3, v12
	v_mad_co_u64_u32 v[15:16], null, s5, v51, v[5:6]
	v_lshl_add_u32 v8, v51, 3, 0x80
	v_lshlrev_b64_e32 v[16:17], 3, v[0:1]
	v_lshlrev_b64_e32 v[2:3], 3, v[2:3]
	v_mov_b32_e32 v11, v14
	v_add_nc_u32_e32 v61, 0x800, v53
	v_mad_co_u64_u32 v[12:13], null, s4, v8, 0
	v_mov_b32_e32 v5, v15
	v_add_co_u32 v14, vcc_lo, s8, v2
	s_wait_alu 0xfffd
	v_add_co_ci_u32_e64 v15, null, s9, v3, vcc_lo
	s_delay_alu instid0(VALU_DEP_3)
	v_lshlrev_b64_e32 v[3:4], 3, v[4:5]
	v_mov_b32_e32 v2, v13
	s_lshl_b64 s[8:9], s[26:27], 3
	v_add_nc_u32_e32 v63, 0x1800, v53
	s_lshl_b64 s[16:17], s[22:23], 3
	s_lshl_b64 s[20:21], s[6:7], 3
	v_mad_co_u64_u32 v[0:1], null, s5, v8, v[2:3]
	v_add_co_u32 v13, vcc_lo, 0x80, v3
	s_wait_alu 0xfffe
	s_add_nc_u64 s[4:5], s[24:25], s[8:9]
	s_wait_alu 0xfffd
	v_add_co_ci_u32_e64 v59, null, 0, v4, vcc_lo
	s_wait_alu 0xfffe
	v_add_co_u32 v18, vcc_lo, s4, v16
	v_dual_mov_b32 v60, v0 :: v_dual_add_nc_u32 v55, v53, v52
	s_wait_alu 0xfffd
	v_add_co_ci_u32_e64 v19, null, s5, v17, vcc_lo
	v_mov_b32_e32 v8, 1.0
	s_branch .LBB92_4
.LBB92_2:                               ;   in Loop: Header=BB92_4 Depth=1
	s_add_co_i32 s34, s34, 0x10000
	s_wait_alu 0xfffe
	s_cmp_ge_u32 s34, s33
	s_cselect_b32 s4, -1, 0
.LBB92_3:                               ;   in Loop: Header=BB92_4 Depth=1
	s_wait_alu 0xfffe
	s_and_b32 vcc_lo, exec_lo, s4
	s_wait_alu 0xfffe
	s_cbranch_vccnz .LBB92_67
.LBB92_4:                               ; =>This Loop Header: Depth=1
                                        ;     Child Loop BB92_8 Depth 2
                                        ;       Child Loop BB92_11 Depth 3
	s_mul_u64 s[4:5], s[14:15], s[34:35]
	s_wait_alu 0xfffe
	s_lshl_b64 s[4:5], s[4:5], 3
	s_wait_alu 0xfffe
	s_add_nc_u64 s[4:5], s[12:13], s[4:5]
	global_load_b64 v[22:23], v9, s[4:5]
	s_mov_b32 s4, -1
	s_wait_loadcnt 0x0
	v_or_b32_e32 v0, v22, v23
	s_delay_alu instid0(VALU_DEP_1) | instskip(NEXT) | instid1(VALU_DEP_1)
	v_and_b32_e32 v0, 0x7fffffff, v0
	v_cmp_eq_u32_e32 vcc_lo, 0, v0
	s_cbranch_vccnz .LBB92_3
; %bb.5:                                ;   in Loop: Header=BB92_4 Depth=1
	s_and_not1_b32 vcc_lo, exec_lo, s49
	s_wait_alu 0xfffe
	s_cbranch_vccnz .LBB92_2
; %bb.6:                                ;   in Loop: Header=BB92_4 Depth=1
	v_mad_co_u64_u32 v[24:25], null, s20, s34, v[18:19]
	s_load_b32 s26, s[40:41], 0x4
	v_mad_co_u64_u32 v[26:27], null, s16, s34, v[10:11]
	s_mul_i32 s6, s17, s34
	v_mad_co_u64_u32 v[28:29], null, s16, s34, v[14:15]
	v_mov_b32_e32 v0, v25
	s_mul_u64 s[4:5], s[30:31], s[34:35]
	s_wait_alu 0xfffe
	v_dual_mov_b32 v30, v58 :: v_dual_add_nc_u32 v27, s6, v27
	s_lshl_b64 s[4:5], s[4:5], 3
	v_mad_co_u64_u32 v[0:1], null, s21, s34, v[0:1]
	s_delay_alu instid0(VALU_DEP_4) | instskip(SKIP_3) | instid1(VALU_DEP_2)
	v_add_nc_u32_e32 v29, s6, v29
	s_wait_alu 0xfffe
	s_add_nc_u64 s[22:23], s[42:43], s[4:5]
	s_mov_b32 s37, s39
	v_mov_b32_e32 v25, v0
	s_wait_kmcnt 0x0
	s_lshl_b32 s27, s26, 5
	s_branch .LBB92_8
.LBB92_7:                               ;   in Loop: Header=BB92_8 Depth=2
	s_wait_alu 0xfffe
	s_or_b32 exec_lo, exec_lo, s4
	v_add_nc_u32_e32 v30, s27, v30
	s_add_co_i32 s37, s26, s37
	s_wait_alu 0xfffe
	s_cmp_gt_i32 s37, s48
	s_cbranch_scc1 .LBB92_2
.LBB92_8:                               ;   Parent Loop BB92_4 Depth=1
                                        ; =>  This Loop Header: Depth=2
                                        ;       Child Loop BB92_11 Depth 3
	s_wait_alu 0xfffe
	s_lshl_b32 s50, s37, 5
	s_wait_alu 0xfffe
	v_dual_mov_b32 v69, 0 :: v_dual_add_nc_u32 v32, s50, v51
	v_dual_mov_b32 v70, 0 :: v_dual_mov_b32 v67, 0
	v_dual_mov_b32 v68, 0 :: v_dual_mov_b32 v65, 0
	s_delay_alu instid0(VALU_DEP_3)
	v_ashrrev_i32_e32 v33, 31, v32
	v_dual_mov_b32 v66, 0 :: v_dual_mov_b32 v31, 0
	v_mov_b32_e32 v64, 0
	s_cmp_lt_i32 s37, 0
	s_cbranch_scc1 .LBB92_59
; %bb.9:                                ;   in Loop: Header=BB92_8 Depth=2
	v_ashrrev_i32_e32 v31, 31, v30
	v_add_co_u32 v34, vcc_lo, v32, 16
	s_wait_alu 0xfffd
	v_add_co_ci_u32_e64 v35, null, 0, v33, vcc_lo
	v_add_co_u32 v36, vcc_lo, v56, v30
	s_wait_alu 0xfffd
	v_add_co_ci_u32_e64 v37, null, v57, v31, vcc_lo
	v_lshlrev_b64_e32 v[38:39], 3, v[30:31]
	s_delay_alu instid0(VALU_DEP_3) | instskip(SKIP_1) | instid1(VALU_DEP_3)
	v_add_co_u32 v40, s5, v36, 16
	s_wait_alu 0xf1ff
	v_add_co_ci_u32_e64 v41, null, 0, v37, s5
	v_add_co_u32 v42, s5, v36, -16
	v_cmp_le_i64_e64 s4, s[10:11], v[34:35]
	v_mov_b32_e32 v45, v25
	v_mov_b32_e32 v47, v29
	v_dual_mov_b32 v49, v27 :: v_dual_mov_b32 v64, 0
	s_wait_alu 0xf1ff
	v_add_co_ci_u32_e64 v43, null, -1, v37, s5
	v_dual_mov_b32 v31, 0 :: v_dual_mov_b32 v44, v24
	v_mov_b32_e32 v46, v28
	v_mov_b32_e32 v48, v26
	v_dual_mov_b32 v66, 0 :: v_dual_mov_b32 v65, 0
	v_dual_mov_b32 v68, 0 :: v_dual_mov_b32 v67, 0
	;; [unrolled: 1-line block ×3, first 2 shown]
	s_mov_b64 s[24:25], 0
	v_cmp_le_i32_e32 vcc_lo, s38, v32
	s_branch .LBB92_11
.LBB92_10:                              ;   in Loop: Header=BB92_11 Depth=3
	s_wait_alu 0xfffe
	s_or_b32 exec_lo, exec_lo, s5
	s_wait_dscnt 0x0
	s_barrier_signal -1
	s_barrier_wait -1
	global_inv scope:SCOPE_SE
	ds_load_b128 v[71:74], v52
	ds_load_b128 v[75:78], v52 offset:16
	ds_load_b128 v[4:7], v52 offset:32
	;; [unrolled: 1-line block ×3, first 2 shown]
	ds_load_2addr_b64 v[79:82], v53 offset1:16
	v_add_co_u32 v48, s5, v48, s44
	s_wait_alu 0xf1ff
	v_add_co_ci_u32_e64 v49, null, s45, v49, s5
	v_add_co_u32 v46, s5, v46, s44
	s_wait_alu 0xf1ff
	v_add_co_ci_u32_e64 v47, null, s45, v47, s5
	v_add_co_u32 v44, s5, v44, s46
	s_add_nc_u64 s[24:25], s[24:25], 32
	v_add_co_ci_u32_e64 v45, null, s47, v45, s5
	s_wait_alu 0xfffe
	s_sub_co_i32 s6, s24, 32
	s_wait_alu 0xfffe
	s_cmp_ge_i32 s6, s50
	s_wait_dscnt 0x0
	v_mul_f32_e32 v84, v71, v80
	v_mul_f32_e32 v83, v72, v80
	s_delay_alu instid0(VALU_DEP_2) | instskip(NEXT) | instid1(VALU_DEP_1)
	v_fmac_f32_e32 v84, v72, v79
	v_add_f32_e32 v84, v70, v84
	v_mul_f32_e32 v70, v71, v82
	s_delay_alu instid0(VALU_DEP_4) | instskip(NEXT) | instid1(VALU_DEP_1)
	v_fma_f32 v83, v71, v79, -v83
	v_dual_fmac_f32 v70, v72, v81 :: v_dual_add_f32 v83, v69, v83
	v_mul_f32_e32 v69, v72, v82
	s_delay_alu instid0(VALU_DEP_2) | instskip(NEXT) | instid1(VALU_DEP_2)
	v_add_f32_e32 v72, v68, v70
	v_fma_f32 v69, v71, v81, -v69
	s_delay_alu instid0(VALU_DEP_1) | instskip(SKIP_4) | instid1(VALU_DEP_1)
	v_add_f32_e32 v71, v67, v69
	ds_load_b128 v[67:70], v52 offset:4096
	s_wait_dscnt 0x0
	v_mul_f32_e32 v85, v68, v80
	v_mul_f32_e32 v80, v67, v80
	v_fmac_f32_e32 v80, v68, v79
	s_delay_alu instid0(VALU_DEP_1) | instskip(SKIP_2) | instid1(VALU_DEP_2)
	v_add_f32_e32 v80, v66, v80
	v_mul_f32_e32 v66, v67, v82
	v_fma_f32 v85, v67, v79, -v85
	v_fmac_f32_e32 v66, v68, v81
	s_delay_alu instid0(VALU_DEP_2) | instskip(SKIP_1) | instid1(VALU_DEP_3)
	v_add_f32_e32 v79, v65, v85
	v_mul_f32_e32 v65, v68, v82
	v_add_f32_e32 v31, v31, v66
	s_delay_alu instid0(VALU_DEP_2) | instskip(NEXT) | instid1(VALU_DEP_1)
	v_fma_f32 v65, v67, v81, -v65
	v_add_f32_e32 v68, v64, v65
	ds_load_2addr_b64 v[64:67], v53 offset0:32 offset1:48
	s_wait_dscnt 0x0
	v_mul_f32_e32 v81, v74, v65
	v_mul_f32_e32 v82, v73, v65
	s_delay_alu instid0(VALU_DEP_2) | instskip(NEXT) | instid1(VALU_DEP_1)
	v_fma_f32 v81, v73, v64, -v81
	v_add_f32_e32 v81, v83, v81
	v_mul_f32_e32 v83, v74, v67
	s_delay_alu instid0(VALU_DEP_1) | instskip(SKIP_1) | instid1(VALU_DEP_2)
	v_fma_f32 v83, v73, v66, -v83
	v_mul_f32_e32 v73, v73, v67
	v_add_f32_e32 v71, v71, v83
	s_delay_alu instid0(VALU_DEP_2) | instskip(SKIP_1) | instid1(VALU_DEP_2)
	v_fmac_f32_e32 v73, v74, v66
	v_fmac_f32_e32 v82, v74, v64
	v_add_f32_e32 v72, v72, v73
	s_delay_alu instid0(VALU_DEP_2) | instskip(SKIP_1) | instid1(VALU_DEP_2)
	v_dual_add_f32 v82, v84, v82 :: v_dual_mul_f32 v73, v70, v65
	v_mul_f32_e32 v65, v69, v65
	v_fma_f32 v73, v69, v64, -v73
	s_delay_alu instid0(VALU_DEP_2) | instskip(NEXT) | instid1(VALU_DEP_2)
	v_fmac_f32_e32 v65, v70, v64
	v_dual_mul_f32 v64, v70, v67 :: v_dual_add_f32 v73, v79, v73
	s_delay_alu instid0(VALU_DEP_2) | instskip(NEXT) | instid1(VALU_DEP_2)
	v_dual_add_f32 v74, v80, v65 :: v_dual_mul_f32 v65, v69, v67
	v_fma_f32 v64, v69, v66, -v64
	s_delay_alu instid0(VALU_DEP_2) | instskip(NEXT) | instid1(VALU_DEP_2)
	v_fmac_f32_e32 v65, v70, v66
	v_add_f32_e32 v79, v68, v64
	s_delay_alu instid0(VALU_DEP_2) | instskip(SKIP_4) | instid1(VALU_DEP_2)
	v_add_f32_e32 v31, v31, v65
	ds_load_2addr_b64 v[64:67], v53 offset0:64 offset1:80
	s_wait_dscnt 0x0
	v_mul_f32_e32 v68, v76, v65
	v_mul_f32_e32 v69, v75, v65
	v_fma_f32 v68, v75, v64, -v68
	s_delay_alu instid0(VALU_DEP_2) | instskip(NEXT) | instid1(VALU_DEP_1)
	v_fmac_f32_e32 v69, v76, v64
	v_dual_add_f32 v80, v81, v68 :: v_dual_add_f32 v81, v82, v69
	v_mul_f32_e32 v68, v76, v67
	v_mul_f32_e32 v69, v75, v67
	s_delay_alu instid0(VALU_DEP_2) | instskip(NEXT) | instid1(VALU_DEP_2)
	v_fma_f32 v68, v75, v66, -v68
	v_fmac_f32_e32 v69, v76, v66
	s_delay_alu instid0(VALU_DEP_1) | instskip(SKIP_4) | instid1(VALU_DEP_2)
	v_dual_add_f32 v75, v71, v68 :: v_dual_add_f32 v72, v72, v69
	ds_load_b128 v[68:71], v52 offset:4112
	s_wait_dscnt 0x0
	v_mul_f32_e32 v76, v69, v65
	v_mul_f32_e32 v65, v68, v65
	v_fma_f32 v76, v68, v64, -v76
	s_delay_alu instid0(VALU_DEP_2) | instskip(SKIP_1) | instid1(VALU_DEP_2)
	v_fmac_f32_e32 v65, v69, v64
	v_mul_f32_e32 v64, v69, v67
	v_dual_add_f32 v74, v74, v65 :: v_dual_mul_f32 v65, v68, v67
	s_delay_alu instid0(VALU_DEP_2) | instskip(SKIP_1) | instid1(VALU_DEP_2)
	v_fma_f32 v64, v68, v66, -v64
	v_add_f32_e32 v73, v73, v76
	v_dual_fmac_f32 v65, v69, v66 :: v_dual_add_f32 v68, v79, v64
	s_delay_alu instid0(VALU_DEP_1) | instskip(SKIP_3) | instid1(VALU_DEP_1)
	v_add_f32_e32 v31, v31, v65
	ds_load_2addr_b64 v[64:67], v53 offset0:96 offset1:112
	s_wait_dscnt 0x0
	v_dual_mul_f32 v76, v77, v65 :: v_dual_mul_f32 v79, v78, v67
	v_fmac_f32_e32 v76, v78, v64
	s_delay_alu instid0(VALU_DEP_2) | instskip(NEXT) | instid1(VALU_DEP_2)
	v_fma_f32 v79, v77, v66, -v79
	v_dual_add_f32 v76, v81, v76 :: v_dual_mul_f32 v69, v78, v65
	s_delay_alu instid0(VALU_DEP_1) | instskip(SKIP_1) | instid1(VALU_DEP_1)
	v_fma_f32 v69, v77, v64, -v69
	v_mul_f32_e32 v77, v77, v67
	v_fmac_f32_e32 v77, v78, v66
	s_delay_alu instid0(VALU_DEP_1) | instskip(SKIP_2) | instid1(VALU_DEP_2)
	v_add_f32_e32 v72, v72, v77
	v_mul_f32_e32 v77, v71, v65
	v_mul_f32_e32 v65, v70, v65
	v_fma_f32 v77, v70, v64, -v77
	s_delay_alu instid0(VALU_DEP_2) | instskip(SKIP_1) | instid1(VALU_DEP_2)
	v_fmac_f32_e32 v65, v71, v64
	v_mul_f32_e32 v64, v71, v67
	v_add_f32_e32 v74, v74, v65
	s_delay_alu instid0(VALU_DEP_2) | instskip(SKIP_1) | instid1(VALU_DEP_2)
	v_fma_f32 v64, v70, v66, -v64
	v_add_f32_e32 v73, v73, v77
	v_add_f32_e32 v77, v68, v64
	v_mul_f32_e32 v65, v70, v67
	s_delay_alu instid0(VALU_DEP_1) | instskip(NEXT) | instid1(VALU_DEP_1)
	v_fmac_f32_e32 v65, v71, v66
	v_add_f32_e32 v31, v31, v65
	ds_load_2addr_b64 v[64:67], v53 offset0:128 offset1:144
	v_add_f32_e32 v69, v80, v69
	s_wait_dscnt 0x0
	v_mul_f32_e32 v68, v5, v65
	v_mul_f32_e32 v70, v4, v65
	s_delay_alu instid0(VALU_DEP_2) | instskip(NEXT) | instid1(VALU_DEP_2)
	v_fma_f32 v68, v4, v64, -v68
	v_fmac_f32_e32 v70, v5, v64
	s_delay_alu instid0(VALU_DEP_2) | instskip(SKIP_1) | instid1(VALU_DEP_3)
	v_add_f32_e32 v78, v69, v68
	v_mul_f32_e32 v68, v5, v67
	v_add_f32_e32 v76, v76, v70
	s_delay_alu instid0(VALU_DEP_2) | instskip(SKIP_1) | instid1(VALU_DEP_1)
	v_fma_f32 v68, v4, v66, -v68
	v_mul_f32_e32 v4, v4, v67
	v_dual_add_f32 v75, v75, v79 :: v_dual_fmac_f32 v4, v5, v66
	s_delay_alu instid0(VALU_DEP_1)
	v_add_f32_e32 v5, v75, v68
	ds_load_b128 v[68:71], v52 offset:4128
	v_add_f32_e32 v4, v72, v4
	s_wait_dscnt 0x0
	v_mul_f32_e32 v72, v69, v65
	v_mul_f32_e32 v65, v68, v65
	s_delay_alu instid0(VALU_DEP_2) | instskip(NEXT) | instid1(VALU_DEP_2)
	v_fma_f32 v72, v68, v64, -v72
	v_fmac_f32_e32 v65, v69, v64
	v_mul_f32_e32 v64, v69, v67
	s_delay_alu instid0(VALU_DEP_2) | instskip(SKIP_1) | instid1(VALU_DEP_3)
	v_dual_add_f32 v72, v73, v72 :: v_dual_add_f32 v73, v74, v65
	v_mul_f32_e32 v65, v68, v67
	v_fma_f32 v64, v68, v66, -v64
	s_delay_alu instid0(VALU_DEP_2) | instskip(NEXT) | instid1(VALU_DEP_1)
	v_fmac_f32_e32 v65, v69, v66
	v_dual_add_f32 v68, v77, v64 :: v_dual_add_f32 v31, v31, v65
	ds_load_2addr_b64 v[64:67], v53 offset0:160 offset1:176
	s_wait_dscnt 0x0
	v_mul_f32_e32 v74, v6, v65
	v_mul_f32_e32 v69, v7, v65
	s_delay_alu instid0(VALU_DEP_2) | instskip(NEXT) | instid1(VALU_DEP_2)
	v_fmac_f32_e32 v74, v7, v64
	v_fma_f32 v69, v6, v64, -v69
	s_delay_alu instid0(VALU_DEP_2) | instskip(NEXT) | instid1(VALU_DEP_1)
	v_dual_add_f32 v74, v76, v74 :: v_dual_mul_f32 v75, v7, v67
	v_fma_f32 v75, v6, v66, -v75
	v_mul_f32_e32 v6, v6, v67
	s_delay_alu instid0(VALU_DEP_1) | instskip(NEXT) | instid1(VALU_DEP_1)
	v_dual_add_f32 v75, v5, v75 :: v_dual_fmac_f32 v6, v7, v66
	v_dual_mul_f32 v5, v70, v65 :: v_dual_add_f32 v76, v4, v6
	v_mul_f32_e32 v4, v71, v65
	s_delay_alu instid0(VALU_DEP_2) | instskip(NEXT) | instid1(VALU_DEP_2)
	v_fmac_f32_e32 v5, v71, v64
	v_fma_f32 v4, v70, v64, -v4
	s_delay_alu instid0(VALU_DEP_1) | instskip(NEXT) | instid1(VALU_DEP_3)
	v_add_f32_e32 v72, v72, v4
	v_dual_mul_f32 v4, v71, v67 :: v_dual_add_f32 v73, v73, v5
	s_delay_alu instid0(VALU_DEP_1) | instskip(NEXT) | instid1(VALU_DEP_1)
	v_fma_f32 v4, v70, v66, -v4
	v_dual_add_f32 v68, v68, v4 :: v_dual_mul_f32 v5, v70, v67
	s_delay_alu instid0(VALU_DEP_1) | instskip(NEXT) | instid1(VALU_DEP_1)
	v_fmac_f32_e32 v5, v71, v66
	v_add_f32_e32 v31, v31, v5
	ds_load_2addr_b64 v[4:7], v53 offset0:192 offset1:208
	v_add_f32_e32 v69, v78, v69
	s_wait_dscnt 0x0
	v_mul_f32_e32 v64, v1, v5
	v_mul_f32_e32 v65, v0, v5
	s_delay_alu instid0(VALU_DEP_2) | instskip(NEXT) | instid1(VALU_DEP_2)
	v_fma_f32 v64, v0, v4, -v64
	v_fmac_f32_e32 v65, v1, v4
	s_delay_alu instid0(VALU_DEP_2) | instskip(SKIP_1) | instid1(VALU_DEP_3)
	v_add_f32_e32 v69, v69, v64
	v_mul_f32_e32 v64, v1, v7
	v_add_f32_e32 v70, v74, v65
	s_delay_alu instid0(VALU_DEP_2) | instskip(SKIP_1) | instid1(VALU_DEP_1)
	v_fma_f32 v64, v0, v6, -v64
	v_mul_f32_e32 v0, v0, v7
	v_fmac_f32_e32 v0, v1, v6
	s_delay_alu instid0(VALU_DEP_1) | instskip(NEXT) | instid1(VALU_DEP_4)
	v_add_f32_e32 v0, v76, v0
	v_add_f32_e32 v1, v75, v64
	ds_load_b128 v[64:67], v52 offset:4144
	s_wait_dscnt 0x0
	v_mul_f32_e32 v71, v65, v5
	v_mul_f32_e32 v5, v64, v5
	s_delay_alu instid0(VALU_DEP_2) | instskip(NEXT) | instid1(VALU_DEP_2)
	v_fma_f32 v71, v64, v4, -v71
	v_fmac_f32_e32 v5, v65, v4
	v_mul_f32_e32 v4, v65, v7
	s_delay_alu instid0(VALU_DEP_2) | instskip(SKIP_1) | instid1(VALU_DEP_3)
	v_dual_add_f32 v71, v72, v71 :: v_dual_add_f32 v72, v73, v5
	v_mul_f32_e32 v5, v64, v7
	v_fma_f32 v4, v64, v6, -v4
	s_delay_alu instid0(VALU_DEP_1) | instskip(NEXT) | instid1(VALU_DEP_1)
	v_dual_fmac_f32 v5, v65, v6 :: v_dual_add_f32 v64, v68, v4
	v_add_f32_e32 v31, v31, v5
	ds_load_2addr_b64 v[4:7], v53 offset0:224 offset1:240
	s_wait_dscnt 0x0
	v_mul_f32_e32 v68, v2, v5
	s_delay_alu instid0(VALU_DEP_1) | instskip(NEXT) | instid1(VALU_DEP_1)
	v_fmac_f32_e32 v68, v3, v4
	v_dual_add_f32 v68, v70, v68 :: v_dual_mul_f32 v65, v3, v5
	s_delay_alu instid0(VALU_DEP_1) | instskip(NEXT) | instid1(VALU_DEP_1)
	v_fma_f32 v65, v2, v4, -v65
	v_add_f32_e32 v65, v69, v65
	v_mul_f32_e32 v69, v3, v7
	s_delay_alu instid0(VALU_DEP_1) | instskip(NEXT) | instid1(VALU_DEP_1)
	v_fma_f32 v69, v2, v6, -v69
	v_dual_mul_f32 v2, v2, v7 :: v_dual_add_f32 v69, v1, v69
	s_delay_alu instid0(VALU_DEP_1) | instskip(NEXT) | instid1(VALU_DEP_1)
	v_dual_fmac_f32 v2, v3, v6 :: v_dual_mul_f32 v1, v66, v5
	v_add_f32_e32 v70, v0, v2
	v_mul_f32_e32 v0, v67, v5
	s_delay_alu instid0(VALU_DEP_3) | instskip(NEXT) | instid1(VALU_DEP_2)
	v_fmac_f32_e32 v1, v67, v4
	v_fma_f32 v0, v66, v4, -v0
	s_delay_alu instid0(VALU_DEP_2) | instskip(NEXT) | instid1(VALU_DEP_2)
	v_dual_add_f32 v72, v72, v1 :: v_dual_mul_f32 v1, v66, v7
	v_add_f32_e32 v71, v71, v0
	v_mul_f32_e32 v0, v67, v7
	s_delay_alu instid0(VALU_DEP_1) | instskip(NEXT) | instid1(VALU_DEP_1)
	v_fma_f32 v0, v66, v6, -v0
	v_add_f32_e32 v73, v64, v0
	v_fmac_f32_e32 v1, v67, v6
	s_delay_alu instid0(VALU_DEP_1)
	v_add_f32_e32 v31, v31, v1
	ds_load_b128 v[0:3], v52 offset:64
	ds_load_2addr_b64 v[4:7], v61 offset1:16
	s_wait_dscnt 0x0
	v_mul_f32_e32 v64, v1, v5
	v_mul_f32_e32 v66, v0, v5
	s_delay_alu instid0(VALU_DEP_2) | instskip(NEXT) | instid1(VALU_DEP_2)
	v_fma_f32 v64, v0, v4, -v64
	v_fmac_f32_e32 v66, v1, v4
	s_delay_alu instid0(VALU_DEP_2) | instskip(SKIP_1) | instid1(VALU_DEP_3)
	v_add_f32_e32 v74, v65, v64
	v_mul_f32_e32 v64, v1, v7
	v_add_f32_e32 v68, v68, v66
	s_delay_alu instid0(VALU_DEP_2) | instskip(SKIP_1) | instid1(VALU_DEP_1)
	v_fma_f32 v64, v0, v6, -v64
	v_mul_f32_e32 v0, v0, v7
	v_fmac_f32_e32 v0, v1, v6
	s_delay_alu instid0(VALU_DEP_3) | instskip(SKIP_4) | instid1(VALU_DEP_2)
	v_add_f32_e32 v1, v69, v64
	ds_load_b128 v[64:67], v52 offset:4160
	s_wait_dscnt 0x0
	v_dual_add_f32 v0, v70, v0 :: v_dual_mul_f32 v69, v65, v5
	v_mul_f32_e32 v5, v64, v5
	v_fma_f32 v69, v64, v4, -v69
	s_delay_alu instid0(VALU_DEP_2) | instskip(NEXT) | instid1(VALU_DEP_2)
	v_fmac_f32_e32 v5, v65, v4
	v_dual_mul_f32 v4, v65, v7 :: v_dual_add_f32 v69, v71, v69
	s_delay_alu instid0(VALU_DEP_2) | instskip(SKIP_1) | instid1(VALU_DEP_3)
	v_add_f32_e32 v70, v72, v5
	v_mul_f32_e32 v5, v64, v7
	v_fma_f32 v4, v64, v6, -v4
	s_delay_alu instid0(VALU_DEP_2) | instskip(NEXT) | instid1(VALU_DEP_1)
	v_fmac_f32_e32 v5, v65, v6
	v_dual_add_f32 v64, v73, v4 :: v_dual_add_f32 v31, v31, v5
	ds_load_2addr_b64 v[4:7], v61 offset0:32 offset1:48
	s_wait_dscnt 0x0
	v_mul_f32_e32 v71, v2, v5
	v_mul_f32_e32 v65, v3, v5
	s_delay_alu instid0(VALU_DEP_2) | instskip(NEXT) | instid1(VALU_DEP_2)
	v_fmac_f32_e32 v71, v3, v4
	v_fma_f32 v65, v2, v4, -v65
	s_delay_alu instid0(VALU_DEP_2) | instskip(SKIP_1) | instid1(VALU_DEP_1)
	v_add_f32_e32 v68, v68, v71
	v_mul_f32_e32 v71, v3, v7
	v_fma_f32 v71, v2, v6, -v71
	v_mul_f32_e32 v2, v2, v7
	s_delay_alu instid0(VALU_DEP_1) | instskip(NEXT) | instid1(VALU_DEP_1)
	v_dual_fmac_f32 v2, v3, v6 :: v_dual_add_f32 v71, v1, v71
	v_dual_mul_f32 v1, v66, v5 :: v_dual_add_f32 v72, v0, v2
	v_mul_f32_e32 v0, v67, v5
	s_delay_alu instid0(VALU_DEP_2) | instskip(SKIP_1) | instid1(VALU_DEP_3)
	v_fmac_f32_e32 v1, v67, v4
	v_add_f32_e32 v65, v74, v65
	v_fma_f32 v0, v66, v4, -v0
	s_delay_alu instid0(VALU_DEP_1) | instskip(SKIP_1) | instid1(VALU_DEP_1)
	v_dual_add_f32 v70, v70, v1 :: v_dual_add_f32 v69, v69, v0
	v_mul_f32_e32 v0, v67, v7
	v_fma_f32 v0, v66, v6, -v0
	s_delay_alu instid0(VALU_DEP_1) | instskip(SKIP_1) | instid1(VALU_DEP_1)
	v_add_f32_e32 v73, v64, v0
	v_mul_f32_e32 v1, v66, v7
	v_fmac_f32_e32 v1, v67, v6
	s_delay_alu instid0(VALU_DEP_1)
	v_add_f32_e32 v31, v31, v1
	ds_load_b128 v[0:3], v52 offset:80
	ds_load_2addr_b64 v[4:7], v61 offset0:64 offset1:80
	s_wait_dscnt 0x0
	v_mul_f32_e32 v64, v1, v5
	v_mul_f32_e32 v66, v0, v5
	s_delay_alu instid0(VALU_DEP_2) | instskip(NEXT) | instid1(VALU_DEP_2)
	v_fma_f32 v64, v0, v4, -v64
	v_fmac_f32_e32 v66, v1, v4
	s_delay_alu instid0(VALU_DEP_2) | instskip(SKIP_1) | instid1(VALU_DEP_3)
	v_add_f32_e32 v74, v65, v64
	v_mul_f32_e32 v64, v1, v7
	v_add_f32_e32 v68, v68, v66
	s_delay_alu instid0(VALU_DEP_2) | instskip(SKIP_1) | instid1(VALU_DEP_1)
	v_fma_f32 v64, v0, v6, -v64
	v_mul_f32_e32 v0, v0, v7
	v_dual_fmac_f32 v0, v1, v6 :: v_dual_add_f32 v1, v71, v64
	ds_load_b128 v[64:67], v52 offset:4176
	s_wait_dscnt 0x0
	v_dual_add_f32 v0, v72, v0 :: v_dual_mul_f32 v71, v65, v5
	v_mul_f32_e32 v5, v64, v5
	s_delay_alu instid0(VALU_DEP_2) | instskip(NEXT) | instid1(VALU_DEP_2)
	v_fma_f32 v71, v64, v4, -v71
	v_fmac_f32_e32 v5, v65, v4
	v_mul_f32_e32 v4, v65, v7
	s_delay_alu instid0(VALU_DEP_2) | instskip(NEXT) | instid1(VALU_DEP_2)
	v_dual_add_f32 v70, v70, v5 :: v_dual_mul_f32 v5, v64, v7
	v_fma_f32 v4, v64, v6, -v4
	s_delay_alu instid0(VALU_DEP_2) | instskip(NEXT) | instid1(VALU_DEP_1)
	v_fmac_f32_e32 v5, v65, v6
	v_dual_add_f32 v64, v73, v4 :: v_dual_add_f32 v31, v31, v5
	ds_load_2addr_b64 v[4:7], v61 offset0:96 offset1:112
	v_add_f32_e32 v69, v69, v71
	s_wait_dscnt 0x0
	v_mul_f32_e32 v71, v2, v5
	v_mul_f32_e32 v65, v3, v5
	s_delay_alu instid0(VALU_DEP_2) | instskip(NEXT) | instid1(VALU_DEP_2)
	v_fmac_f32_e32 v71, v3, v4
	v_fma_f32 v65, v2, v4, -v65
	s_delay_alu instid0(VALU_DEP_2) | instskip(SKIP_1) | instid1(VALU_DEP_1)
	v_add_f32_e32 v68, v68, v71
	v_mul_f32_e32 v71, v3, v7
	v_fma_f32 v71, v2, v6, -v71
	v_mul_f32_e32 v2, v2, v7
	s_delay_alu instid0(VALU_DEP_1) | instskip(NEXT) | instid1(VALU_DEP_1)
	v_dual_add_f32 v71, v1, v71 :: v_dual_fmac_f32 v2, v3, v6
	v_dual_mul_f32 v1, v66, v5 :: v_dual_add_f32 v72, v0, v2
	v_mul_f32_e32 v0, v67, v5
	s_delay_alu instid0(VALU_DEP_2) | instskip(SKIP_1) | instid1(VALU_DEP_3)
	v_fmac_f32_e32 v1, v67, v4
	v_add_f32_e32 v65, v74, v65
	v_fma_f32 v0, v66, v4, -v0
	s_delay_alu instid0(VALU_DEP_1) | instskip(SKIP_1) | instid1(VALU_DEP_1)
	v_dual_add_f32 v70, v70, v1 :: v_dual_add_f32 v69, v69, v0
	v_mul_f32_e32 v0, v67, v7
	v_fma_f32 v0, v66, v6, -v0
	s_delay_alu instid0(VALU_DEP_1) | instskip(SKIP_1) | instid1(VALU_DEP_1)
	v_add_f32_e32 v73, v64, v0
	v_mul_f32_e32 v1, v66, v7
	v_fmac_f32_e32 v1, v67, v6
	s_delay_alu instid0(VALU_DEP_1)
	v_add_f32_e32 v31, v31, v1
	ds_load_b128 v[0:3], v52 offset:96
	ds_load_2addr_b64 v[4:7], v61 offset0:128 offset1:144
	s_wait_dscnt 0x0
	v_mul_f32_e32 v64, v1, v5
	v_mul_f32_e32 v66, v0, v5
	s_delay_alu instid0(VALU_DEP_2) | instskip(NEXT) | instid1(VALU_DEP_2)
	v_fma_f32 v64, v0, v4, -v64
	v_fmac_f32_e32 v66, v1, v4
	s_delay_alu instid0(VALU_DEP_2) | instskip(SKIP_1) | instid1(VALU_DEP_3)
	v_add_f32_e32 v74, v65, v64
	v_mul_f32_e32 v64, v1, v7
	v_add_f32_e32 v68, v68, v66
	s_delay_alu instid0(VALU_DEP_2) | instskip(SKIP_1) | instid1(VALU_DEP_1)
	v_fma_f32 v64, v0, v6, -v64
	v_mul_f32_e32 v0, v0, v7
	v_dual_fmac_f32 v0, v1, v6 :: v_dual_add_f32 v1, v71, v64
	ds_load_b128 v[64:67], v52 offset:4192
	s_wait_dscnt 0x0
	v_dual_add_f32 v0, v72, v0 :: v_dual_mul_f32 v71, v65, v5
	v_mul_f32_e32 v5, v64, v5
	s_delay_alu instid0(VALU_DEP_2) | instskip(NEXT) | instid1(VALU_DEP_2)
	v_fma_f32 v71, v64, v4, -v71
	v_fmac_f32_e32 v5, v65, v4
	v_mul_f32_e32 v4, v65, v7
	s_delay_alu instid0(VALU_DEP_2) | instskip(SKIP_1) | instid1(VALU_DEP_3)
	v_dual_add_f32 v69, v69, v71 :: v_dual_add_f32 v70, v70, v5
	v_mul_f32_e32 v5, v64, v7
	v_fma_f32 v4, v64, v6, -v4
	s_delay_alu instid0(VALU_DEP_2) | instskip(NEXT) | instid1(VALU_DEP_1)
	v_fmac_f32_e32 v5, v65, v6
	v_dual_add_f32 v64, v73, v4 :: v_dual_add_f32 v31, v31, v5
	ds_load_2addr_b64 v[4:7], v61 offset0:160 offset1:176
	s_wait_dscnt 0x0
	v_mul_f32_e32 v71, v2, v5
	v_mul_f32_e32 v65, v3, v5
	s_delay_alu instid0(VALU_DEP_2) | instskip(NEXT) | instid1(VALU_DEP_2)
	v_fmac_f32_e32 v71, v3, v4
	v_fma_f32 v65, v2, v4, -v65
	s_delay_alu instid0(VALU_DEP_2) | instskip(SKIP_1) | instid1(VALU_DEP_1)
	v_add_f32_e32 v68, v68, v71
	v_mul_f32_e32 v71, v3, v7
	v_fma_f32 v71, v2, v6, -v71
	v_mul_f32_e32 v2, v2, v7
	s_delay_alu instid0(VALU_DEP_1) | instskip(NEXT) | instid1(VALU_DEP_1)
	v_dual_add_f32 v71, v1, v71 :: v_dual_fmac_f32 v2, v3, v6
	v_dual_mul_f32 v1, v66, v5 :: v_dual_add_f32 v72, v0, v2
	v_mul_f32_e32 v0, v67, v5
	s_delay_alu instid0(VALU_DEP_2) | instskip(NEXT) | instid1(VALU_DEP_2)
	v_fmac_f32_e32 v1, v67, v4
	v_fma_f32 v0, v66, v4, -v0
	s_delay_alu instid0(VALU_DEP_2) | instskip(SKIP_1) | instid1(VALU_DEP_3)
	v_add_f32_e32 v70, v70, v1
	v_mul_f32_e32 v1, v66, v7
	v_dual_add_f32 v69, v69, v0 :: v_dual_mul_f32 v0, v67, v7
	s_delay_alu instid0(VALU_DEP_2) | instskip(NEXT) | instid1(VALU_DEP_2)
	v_fmac_f32_e32 v1, v67, v6
	v_fma_f32 v0, v66, v6, -v0
	s_delay_alu instid0(VALU_DEP_2) | instskip(NEXT) | instid1(VALU_DEP_2)
	v_add_f32_e32 v31, v31, v1
	v_add_f32_e32 v73, v64, v0
	ds_load_b128 v[0:3], v52 offset:112
	ds_load_2addr_b64 v[4:7], v61 offset0:192 offset1:208
	v_add_f32_e32 v65, v74, v65
	s_wait_dscnt 0x0
	v_mul_f32_e32 v64, v1, v5
	v_mul_f32_e32 v66, v0, v5
	s_delay_alu instid0(VALU_DEP_2) | instskip(NEXT) | instid1(VALU_DEP_2)
	v_fma_f32 v64, v0, v4, -v64
	v_fmac_f32_e32 v66, v1, v4
	s_delay_alu instid0(VALU_DEP_2) | instskip(SKIP_1) | instid1(VALU_DEP_3)
	v_add_f32_e32 v74, v65, v64
	v_mul_f32_e32 v64, v1, v7
	v_add_f32_e32 v68, v68, v66
	s_delay_alu instid0(VALU_DEP_2) | instskip(SKIP_1) | instid1(VALU_DEP_1)
	v_fma_f32 v64, v0, v6, -v64
	v_mul_f32_e32 v0, v0, v7
	v_dual_fmac_f32 v0, v1, v6 :: v_dual_add_f32 v1, v71, v64
	ds_load_b128 v[64:67], v52 offset:4208
	s_wait_dscnt 0x0
	v_dual_add_f32 v0, v72, v0 :: v_dual_mul_f32 v71, v65, v5
	v_mul_f32_e32 v5, v64, v5
	s_delay_alu instid0(VALU_DEP_2) | instskip(NEXT) | instid1(VALU_DEP_2)
	v_fma_f32 v71, v64, v4, -v71
	v_fmac_f32_e32 v5, v65, v4
	v_mul_f32_e32 v4, v65, v7
	s_delay_alu instid0(VALU_DEP_2) | instskip(SKIP_1) | instid1(VALU_DEP_3)
	v_dual_add_f32 v69, v69, v71 :: v_dual_add_f32 v70, v70, v5
	v_mul_f32_e32 v5, v64, v7
	v_fma_f32 v4, v64, v6, -v4
	s_delay_alu instid0(VALU_DEP_2) | instskip(NEXT) | instid1(VALU_DEP_1)
	v_fmac_f32_e32 v5, v65, v6
	v_dual_add_f32 v64, v73, v4 :: v_dual_add_f32 v31, v31, v5
	ds_load_2addr_b64 v[4:7], v61 offset0:224 offset1:240
	s_wait_dscnt 0x0
	v_mul_f32_e32 v71, v2, v5
	v_mul_f32_e32 v65, v3, v5
	s_delay_alu instid0(VALU_DEP_2) | instskip(NEXT) | instid1(VALU_DEP_2)
	v_fmac_f32_e32 v71, v3, v4
	v_fma_f32 v65, v2, v4, -v65
	s_delay_alu instid0(VALU_DEP_2) | instskip(SKIP_1) | instid1(VALU_DEP_1)
	v_add_f32_e32 v68, v68, v71
	v_mul_f32_e32 v71, v3, v7
	v_fma_f32 v71, v2, v6, -v71
	v_mul_f32_e32 v2, v2, v7
	s_delay_alu instid0(VALU_DEP_1) | instskip(NEXT) | instid1(VALU_DEP_1)
	v_dual_add_f32 v71, v1, v71 :: v_dual_fmac_f32 v2, v3, v6
	v_dual_mul_f32 v1, v66, v5 :: v_dual_add_f32 v72, v0, v2
	v_mul_f32_e32 v0, v67, v5
	s_delay_alu instid0(VALU_DEP_2) | instskip(NEXT) | instid1(VALU_DEP_2)
	v_fmac_f32_e32 v1, v67, v4
	v_fma_f32 v0, v66, v4, -v0
	s_delay_alu instid0(VALU_DEP_2) | instskip(SKIP_1) | instid1(VALU_DEP_3)
	v_add_f32_e32 v70, v70, v1
	v_mul_f32_e32 v1, v66, v7
	v_dual_add_f32 v69, v69, v0 :: v_dual_mul_f32 v0, v67, v7
	s_delay_alu instid0(VALU_DEP_2) | instskip(NEXT) | instid1(VALU_DEP_2)
	v_fmac_f32_e32 v1, v67, v6
	v_fma_f32 v0, v66, v6, -v0
	s_delay_alu instid0(VALU_DEP_2) | instskip(NEXT) | instid1(VALU_DEP_2)
	v_add_f32_e32 v31, v31, v1
	v_add_f32_e32 v73, v64, v0
	ds_load_b128 v[0:3], v52 offset:128
	ds_load_2addr_b64 v[4:7], v62 offset1:16
	v_add_f32_e32 v65, v74, v65
	s_wait_dscnt 0x0
	v_mul_f32_e32 v64, v1, v5
	v_mul_f32_e32 v66, v0, v5
	s_delay_alu instid0(VALU_DEP_2) | instskip(NEXT) | instid1(VALU_DEP_2)
	v_fma_f32 v64, v0, v4, -v64
	v_fmac_f32_e32 v66, v1, v4
	s_delay_alu instid0(VALU_DEP_2) | instskip(SKIP_1) | instid1(VALU_DEP_3)
	v_add_f32_e32 v74, v65, v64
	v_mul_f32_e32 v64, v1, v7
	v_add_f32_e32 v68, v68, v66
	s_delay_alu instid0(VALU_DEP_2) | instskip(SKIP_1) | instid1(VALU_DEP_1)
	v_fma_f32 v64, v0, v6, -v64
	v_mul_f32_e32 v0, v0, v7
	v_dual_fmac_f32 v0, v1, v6 :: v_dual_add_f32 v1, v71, v64
	ds_load_b128 v[64:67], v52 offset:4224
	s_wait_dscnt 0x0
	v_dual_add_f32 v0, v72, v0 :: v_dual_mul_f32 v71, v65, v5
	v_mul_f32_e32 v5, v64, v5
	s_delay_alu instid0(VALU_DEP_2) | instskip(NEXT) | instid1(VALU_DEP_2)
	v_fma_f32 v71, v64, v4, -v71
	v_fmac_f32_e32 v5, v65, v4
	v_mul_f32_e32 v4, v65, v7
	s_delay_alu instid0(VALU_DEP_2) | instskip(SKIP_1) | instid1(VALU_DEP_3)
	v_dual_add_f32 v69, v69, v71 :: v_dual_add_f32 v70, v70, v5
	v_mul_f32_e32 v5, v64, v7
	v_fma_f32 v4, v64, v6, -v4
	s_delay_alu instid0(VALU_DEP_2) | instskip(NEXT) | instid1(VALU_DEP_1)
	v_fmac_f32_e32 v5, v65, v6
	v_dual_add_f32 v64, v73, v4 :: v_dual_add_f32 v31, v31, v5
	ds_load_2addr_b64 v[4:7], v62 offset0:32 offset1:48
	s_wait_dscnt 0x0
	v_mul_f32_e32 v71, v2, v5
	v_mul_f32_e32 v65, v3, v5
	s_delay_alu instid0(VALU_DEP_2) | instskip(NEXT) | instid1(VALU_DEP_2)
	v_fmac_f32_e32 v71, v3, v4
	v_fma_f32 v65, v2, v4, -v65
	s_delay_alu instid0(VALU_DEP_2) | instskip(SKIP_1) | instid1(VALU_DEP_3)
	v_add_f32_e32 v68, v68, v71
	v_mul_f32_e32 v71, v3, v7
	v_add_f32_e32 v65, v74, v65
	s_delay_alu instid0(VALU_DEP_2) | instskip(SKIP_1) | instid1(VALU_DEP_1)
	v_fma_f32 v71, v2, v6, -v71
	v_mul_f32_e32 v2, v2, v7
	v_dual_add_f32 v71, v1, v71 :: v_dual_fmac_f32 v2, v3, v6
	s_delay_alu instid0(VALU_DEP_1) | instskip(SKIP_1) | instid1(VALU_DEP_2)
	v_dual_mul_f32 v1, v66, v5 :: v_dual_add_f32 v72, v0, v2
	v_mul_f32_e32 v0, v67, v5
	v_fmac_f32_e32 v1, v67, v4
	s_delay_alu instid0(VALU_DEP_2) | instskip(NEXT) | instid1(VALU_DEP_2)
	v_fma_f32 v0, v66, v4, -v0
	v_add_f32_e32 v70, v70, v1
	v_mul_f32_e32 v1, v66, v7
	s_delay_alu instid0(VALU_DEP_3) | instskip(NEXT) | instid1(VALU_DEP_2)
	v_dual_add_f32 v69, v69, v0 :: v_dual_mul_f32 v0, v67, v7
	v_fmac_f32_e32 v1, v67, v6
	s_delay_alu instid0(VALU_DEP_2) | instskip(NEXT) | instid1(VALU_DEP_2)
	v_fma_f32 v0, v66, v6, -v0
	v_add_f32_e32 v31, v31, v1
	s_delay_alu instid0(VALU_DEP_2)
	v_add_f32_e32 v73, v64, v0
	ds_load_b128 v[0:3], v52 offset:144
	ds_load_2addr_b64 v[4:7], v62 offset0:64 offset1:80
	s_wait_dscnt 0x0
	v_mul_f32_e32 v64, v1, v5
	v_mul_f32_e32 v66, v0, v5
	s_delay_alu instid0(VALU_DEP_2) | instskip(NEXT) | instid1(VALU_DEP_2)
	v_fma_f32 v64, v0, v4, -v64
	v_fmac_f32_e32 v66, v1, v4
	s_delay_alu instid0(VALU_DEP_2) | instskip(SKIP_1) | instid1(VALU_DEP_3)
	v_add_f32_e32 v74, v65, v64
	v_mul_f32_e32 v64, v1, v7
	v_add_f32_e32 v68, v68, v66
	s_delay_alu instid0(VALU_DEP_2) | instskip(SKIP_1) | instid1(VALU_DEP_1)
	v_fma_f32 v64, v0, v6, -v64
	v_mul_f32_e32 v0, v0, v7
	v_dual_fmac_f32 v0, v1, v6 :: v_dual_add_f32 v1, v71, v64
	ds_load_b128 v[64:67], v52 offset:4240
	s_wait_dscnt 0x0
	v_dual_add_f32 v0, v72, v0 :: v_dual_mul_f32 v71, v65, v5
	v_mul_f32_e32 v5, v64, v5
	s_delay_alu instid0(VALU_DEP_2) | instskip(NEXT) | instid1(VALU_DEP_2)
	v_fma_f32 v71, v64, v4, -v71
	v_fmac_f32_e32 v5, v65, v4
	v_mul_f32_e32 v4, v65, v7
	s_delay_alu instid0(VALU_DEP_2) | instskip(SKIP_1) | instid1(VALU_DEP_3)
	v_dual_add_f32 v69, v69, v71 :: v_dual_add_f32 v70, v70, v5
	v_mul_f32_e32 v5, v64, v7
	v_fma_f32 v4, v64, v6, -v4
	s_delay_alu instid0(VALU_DEP_2) | instskip(NEXT) | instid1(VALU_DEP_1)
	v_fmac_f32_e32 v5, v65, v6
	v_dual_add_f32 v64, v73, v4 :: v_dual_add_f32 v31, v31, v5
	ds_load_2addr_b64 v[4:7], v62 offset0:96 offset1:112
	s_wait_dscnt 0x0
	v_mul_f32_e32 v71, v2, v5
	v_mul_f32_e32 v65, v3, v5
	s_delay_alu instid0(VALU_DEP_2) | instskip(NEXT) | instid1(VALU_DEP_2)
	v_fmac_f32_e32 v71, v3, v4
	v_fma_f32 v65, v2, v4, -v65
	s_delay_alu instid0(VALU_DEP_2) | instskip(SKIP_1) | instid1(VALU_DEP_3)
	v_add_f32_e32 v68, v68, v71
	v_mul_f32_e32 v71, v3, v7
	v_add_f32_e32 v65, v74, v65
	s_delay_alu instid0(VALU_DEP_2) | instskip(SKIP_1) | instid1(VALU_DEP_1)
	v_fma_f32 v71, v2, v6, -v71
	v_mul_f32_e32 v2, v2, v7
	v_dual_add_f32 v71, v1, v71 :: v_dual_fmac_f32 v2, v3, v6
	s_delay_alu instid0(VALU_DEP_1) | instskip(SKIP_1) | instid1(VALU_DEP_2)
	v_dual_mul_f32 v1, v66, v5 :: v_dual_add_f32 v72, v0, v2
	v_mul_f32_e32 v0, v67, v5
	v_fmac_f32_e32 v1, v67, v4
	s_delay_alu instid0(VALU_DEP_2) | instskip(NEXT) | instid1(VALU_DEP_2)
	v_fma_f32 v0, v66, v4, -v0
	v_add_f32_e32 v70, v70, v1
	v_mul_f32_e32 v1, v66, v7
	s_delay_alu instid0(VALU_DEP_3) | instskip(NEXT) | instid1(VALU_DEP_2)
	v_dual_add_f32 v69, v69, v0 :: v_dual_mul_f32 v0, v67, v7
	v_fmac_f32_e32 v1, v67, v6
	s_delay_alu instid0(VALU_DEP_2) | instskip(NEXT) | instid1(VALU_DEP_2)
	v_fma_f32 v0, v66, v6, -v0
	v_add_f32_e32 v31, v31, v1
	s_delay_alu instid0(VALU_DEP_2)
	v_add_f32_e32 v73, v64, v0
	ds_load_b128 v[0:3], v52 offset:160
	ds_load_2addr_b64 v[4:7], v62 offset0:128 offset1:144
	;; [unrolled: 62-line block ×3, first 2 shown]
	s_wait_dscnt 0x0
	v_mul_f32_e32 v64, v1, v5
	v_mul_f32_e32 v66, v0, v5
	s_delay_alu instid0(VALU_DEP_2) | instskip(NEXT) | instid1(VALU_DEP_2)
	v_fma_f32 v64, v0, v4, -v64
	v_fmac_f32_e32 v66, v1, v4
	s_delay_alu instid0(VALU_DEP_2) | instskip(SKIP_1) | instid1(VALU_DEP_3)
	v_add_f32_e32 v74, v65, v64
	v_mul_f32_e32 v64, v1, v7
	v_add_f32_e32 v68, v68, v66
	s_delay_alu instid0(VALU_DEP_2) | instskip(SKIP_1) | instid1(VALU_DEP_1)
	v_fma_f32 v64, v0, v6, -v64
	v_mul_f32_e32 v0, v0, v7
	v_dual_fmac_f32 v0, v1, v6 :: v_dual_add_f32 v1, v71, v64
	ds_load_b128 v[64:67], v52 offset:4272
	s_wait_dscnt 0x0
	v_dual_add_f32 v0, v72, v0 :: v_dual_mul_f32 v71, v65, v5
	v_mul_f32_e32 v5, v64, v5
	s_delay_alu instid0(VALU_DEP_2) | instskip(NEXT) | instid1(VALU_DEP_2)
	v_fma_f32 v71, v64, v4, -v71
	v_fmac_f32_e32 v5, v65, v4
	v_mul_f32_e32 v4, v65, v7
	s_delay_alu instid0(VALU_DEP_2) | instskip(SKIP_1) | instid1(VALU_DEP_3)
	v_dual_add_f32 v69, v69, v71 :: v_dual_add_f32 v70, v70, v5
	v_mul_f32_e32 v5, v64, v7
	v_fma_f32 v4, v64, v6, -v4
	s_delay_alu instid0(VALU_DEP_2) | instskip(NEXT) | instid1(VALU_DEP_1)
	v_fmac_f32_e32 v5, v65, v6
	v_dual_add_f32 v64, v73, v4 :: v_dual_add_f32 v31, v31, v5
	ds_load_2addr_b64 v[4:7], v62 offset0:224 offset1:240
	s_wait_dscnt 0x0
	v_mul_f32_e32 v71, v2, v5
	v_mul_f32_e32 v65, v3, v5
	s_delay_alu instid0(VALU_DEP_2) | instskip(NEXT) | instid1(VALU_DEP_2)
	v_fmac_f32_e32 v71, v3, v4
	v_fma_f32 v65, v2, v4, -v65
	s_delay_alu instid0(VALU_DEP_2) | instskip(SKIP_1) | instid1(VALU_DEP_3)
	v_add_f32_e32 v68, v68, v71
	v_mul_f32_e32 v71, v3, v7
	v_add_f32_e32 v65, v74, v65
	s_delay_alu instid0(VALU_DEP_2) | instskip(SKIP_1) | instid1(VALU_DEP_1)
	v_fma_f32 v71, v2, v6, -v71
	v_mul_f32_e32 v2, v2, v7
	v_dual_add_f32 v71, v1, v71 :: v_dual_fmac_f32 v2, v3, v6
	s_delay_alu instid0(VALU_DEP_1) | instskip(SKIP_1) | instid1(VALU_DEP_2)
	v_dual_mul_f32 v1, v66, v5 :: v_dual_add_f32 v72, v0, v2
	v_mul_f32_e32 v0, v67, v5
	v_fmac_f32_e32 v1, v67, v4
	s_delay_alu instid0(VALU_DEP_2) | instskip(NEXT) | instid1(VALU_DEP_2)
	v_fma_f32 v0, v66, v4, -v0
	v_add_f32_e32 v70, v70, v1
	v_mul_f32_e32 v1, v66, v7
	s_delay_alu instid0(VALU_DEP_3) | instskip(NEXT) | instid1(VALU_DEP_2)
	v_dual_add_f32 v69, v69, v0 :: v_dual_mul_f32 v0, v67, v7
	v_fmac_f32_e32 v1, v67, v6
	s_delay_alu instid0(VALU_DEP_2) | instskip(NEXT) | instid1(VALU_DEP_2)
	v_fma_f32 v0, v66, v6, -v0
	v_add_f32_e32 v31, v31, v1
	s_delay_alu instid0(VALU_DEP_2)
	v_add_f32_e32 v73, v64, v0
	ds_load_b128 v[0:3], v52 offset:192
	ds_load_2addr_b64 v[4:7], v63 offset1:16
	s_wait_dscnt 0x0
	v_mul_f32_e32 v64, v1, v5
	v_mul_f32_e32 v66, v0, v5
	s_delay_alu instid0(VALU_DEP_2) | instskip(NEXT) | instid1(VALU_DEP_2)
	v_fma_f32 v64, v0, v4, -v64
	v_fmac_f32_e32 v66, v1, v4
	s_delay_alu instid0(VALU_DEP_2) | instskip(SKIP_1) | instid1(VALU_DEP_3)
	v_add_f32_e32 v74, v65, v64
	v_mul_f32_e32 v64, v1, v7
	v_add_f32_e32 v68, v68, v66
	s_delay_alu instid0(VALU_DEP_2) | instskip(SKIP_1) | instid1(VALU_DEP_1)
	v_fma_f32 v64, v0, v6, -v64
	v_mul_f32_e32 v0, v0, v7
	v_dual_fmac_f32 v0, v1, v6 :: v_dual_add_f32 v1, v71, v64
	ds_load_b128 v[64:67], v52 offset:4288
	s_wait_dscnt 0x0
	v_dual_add_f32 v0, v72, v0 :: v_dual_mul_f32 v71, v65, v5
	v_mul_f32_e32 v5, v64, v5
	s_delay_alu instid0(VALU_DEP_2) | instskip(NEXT) | instid1(VALU_DEP_2)
	v_fma_f32 v71, v64, v4, -v71
	v_fmac_f32_e32 v5, v65, v4
	v_mul_f32_e32 v4, v65, v7
	s_delay_alu instid0(VALU_DEP_2) | instskip(SKIP_1) | instid1(VALU_DEP_3)
	v_dual_add_f32 v69, v69, v71 :: v_dual_add_f32 v70, v70, v5
	v_mul_f32_e32 v5, v64, v7
	v_fma_f32 v4, v64, v6, -v4
	s_delay_alu instid0(VALU_DEP_2) | instskip(NEXT) | instid1(VALU_DEP_1)
	v_fmac_f32_e32 v5, v65, v6
	v_dual_add_f32 v64, v73, v4 :: v_dual_add_f32 v31, v31, v5
	ds_load_2addr_b64 v[4:7], v63 offset0:32 offset1:48
	s_wait_dscnt 0x0
	v_mul_f32_e32 v71, v2, v5
	v_mul_f32_e32 v65, v3, v5
	s_delay_alu instid0(VALU_DEP_2) | instskip(NEXT) | instid1(VALU_DEP_2)
	v_fmac_f32_e32 v71, v3, v4
	v_fma_f32 v65, v2, v4, -v65
	s_delay_alu instid0(VALU_DEP_2) | instskip(SKIP_1) | instid1(VALU_DEP_3)
	v_add_f32_e32 v68, v68, v71
	v_mul_f32_e32 v71, v3, v7
	v_add_f32_e32 v65, v74, v65
	s_delay_alu instid0(VALU_DEP_2) | instskip(SKIP_1) | instid1(VALU_DEP_1)
	v_fma_f32 v71, v2, v6, -v71
	v_mul_f32_e32 v2, v2, v7
	v_dual_add_f32 v71, v1, v71 :: v_dual_fmac_f32 v2, v3, v6
	s_delay_alu instid0(VALU_DEP_1) | instskip(SKIP_1) | instid1(VALU_DEP_2)
	v_dual_mul_f32 v1, v66, v5 :: v_dual_add_f32 v72, v0, v2
	v_mul_f32_e32 v0, v67, v5
	v_fmac_f32_e32 v1, v67, v4
	s_delay_alu instid0(VALU_DEP_2) | instskip(NEXT) | instid1(VALU_DEP_2)
	v_fma_f32 v0, v66, v4, -v0
	v_add_f32_e32 v70, v70, v1
	v_mul_f32_e32 v1, v66, v7
	s_delay_alu instid0(VALU_DEP_3) | instskip(NEXT) | instid1(VALU_DEP_2)
	v_dual_add_f32 v69, v69, v0 :: v_dual_mul_f32 v0, v67, v7
	v_fmac_f32_e32 v1, v67, v6
	s_delay_alu instid0(VALU_DEP_2) | instskip(NEXT) | instid1(VALU_DEP_2)
	v_fma_f32 v0, v66, v6, -v0
	v_add_f32_e32 v31, v31, v1
	s_delay_alu instid0(VALU_DEP_2)
	v_add_f32_e32 v73, v64, v0
	ds_load_b128 v[0:3], v52 offset:208
	ds_load_2addr_b64 v[4:7], v63 offset0:64 offset1:80
	s_wait_dscnt 0x0
	v_mul_f32_e32 v64, v1, v5
	v_mul_f32_e32 v66, v0, v5
	s_delay_alu instid0(VALU_DEP_2) | instskip(NEXT) | instid1(VALU_DEP_2)
	v_fma_f32 v64, v0, v4, -v64
	v_fmac_f32_e32 v66, v1, v4
	s_delay_alu instid0(VALU_DEP_2) | instskip(SKIP_1) | instid1(VALU_DEP_3)
	v_add_f32_e32 v74, v65, v64
	v_mul_f32_e32 v64, v1, v7
	v_add_f32_e32 v68, v68, v66
	s_delay_alu instid0(VALU_DEP_2) | instskip(SKIP_1) | instid1(VALU_DEP_1)
	v_fma_f32 v64, v0, v6, -v64
	v_mul_f32_e32 v0, v0, v7
	v_dual_fmac_f32 v0, v1, v6 :: v_dual_add_f32 v1, v71, v64
	ds_load_b128 v[64:67], v52 offset:4304
	s_wait_dscnt 0x0
	v_dual_add_f32 v0, v72, v0 :: v_dual_mul_f32 v71, v65, v5
	v_mul_f32_e32 v5, v64, v5
	s_delay_alu instid0(VALU_DEP_2) | instskip(NEXT) | instid1(VALU_DEP_2)
	v_fma_f32 v71, v64, v4, -v71
	v_fmac_f32_e32 v5, v65, v4
	v_mul_f32_e32 v4, v65, v7
	s_delay_alu instid0(VALU_DEP_2) | instskip(SKIP_1) | instid1(VALU_DEP_3)
	v_dual_add_f32 v69, v69, v71 :: v_dual_add_f32 v70, v70, v5
	v_mul_f32_e32 v5, v64, v7
	v_fma_f32 v4, v64, v6, -v4
	s_delay_alu instid0(VALU_DEP_2) | instskip(NEXT) | instid1(VALU_DEP_1)
	v_fmac_f32_e32 v5, v65, v6
	v_dual_add_f32 v64, v73, v4 :: v_dual_add_f32 v31, v31, v5
	ds_load_2addr_b64 v[4:7], v63 offset0:96 offset1:112
	s_wait_dscnt 0x0
	v_mul_f32_e32 v71, v2, v5
	v_mul_f32_e32 v65, v3, v5
	s_delay_alu instid0(VALU_DEP_2) | instskip(NEXT) | instid1(VALU_DEP_2)
	v_fmac_f32_e32 v71, v3, v4
	v_fma_f32 v65, v2, v4, -v65
	s_delay_alu instid0(VALU_DEP_2) | instskip(SKIP_1) | instid1(VALU_DEP_3)
	v_add_f32_e32 v68, v68, v71
	v_mul_f32_e32 v71, v3, v7
	v_add_f32_e32 v65, v74, v65
	s_delay_alu instid0(VALU_DEP_2) | instskip(SKIP_1) | instid1(VALU_DEP_1)
	v_fma_f32 v71, v2, v6, -v71
	v_mul_f32_e32 v2, v2, v7
	v_dual_add_f32 v71, v1, v71 :: v_dual_fmac_f32 v2, v3, v6
	s_delay_alu instid0(VALU_DEP_1) | instskip(SKIP_1) | instid1(VALU_DEP_2)
	v_dual_mul_f32 v1, v66, v5 :: v_dual_add_f32 v72, v0, v2
	v_mul_f32_e32 v0, v67, v5
	v_fmac_f32_e32 v1, v67, v4
	s_delay_alu instid0(VALU_DEP_2) | instskip(NEXT) | instid1(VALU_DEP_2)
	v_fma_f32 v0, v66, v4, -v0
	v_add_f32_e32 v70, v70, v1
	v_mul_f32_e32 v1, v66, v7
	s_delay_alu instid0(VALU_DEP_3) | instskip(NEXT) | instid1(VALU_DEP_2)
	v_dual_add_f32 v69, v69, v0 :: v_dual_mul_f32 v0, v67, v7
	v_fmac_f32_e32 v1, v67, v6
	s_delay_alu instid0(VALU_DEP_2) | instskip(NEXT) | instid1(VALU_DEP_2)
	v_fma_f32 v0, v66, v6, -v0
	v_add_f32_e32 v31, v31, v1
	s_delay_alu instid0(VALU_DEP_2)
	v_add_f32_e32 v73, v64, v0
	ds_load_b128 v[0:3], v52 offset:224
	ds_load_2addr_b64 v[4:7], v63 offset0:128 offset1:144
	s_wait_dscnt 0x0
	v_mul_f32_e32 v64, v1, v5
	v_mul_f32_e32 v66, v0, v5
	s_delay_alu instid0(VALU_DEP_2) | instskip(NEXT) | instid1(VALU_DEP_2)
	v_fma_f32 v64, v0, v4, -v64
	v_fmac_f32_e32 v66, v1, v4
	s_delay_alu instid0(VALU_DEP_2) | instskip(SKIP_1) | instid1(VALU_DEP_3)
	v_add_f32_e32 v74, v65, v64
	v_mul_f32_e32 v64, v1, v7
	v_add_f32_e32 v68, v68, v66
	s_delay_alu instid0(VALU_DEP_2) | instskip(SKIP_1) | instid1(VALU_DEP_1)
	v_fma_f32 v64, v0, v6, -v64
	v_mul_f32_e32 v0, v0, v7
	v_dual_fmac_f32 v0, v1, v6 :: v_dual_add_f32 v1, v71, v64
	ds_load_b128 v[64:67], v52 offset:4320
	s_wait_dscnt 0x0
	v_dual_add_f32 v0, v72, v0 :: v_dual_mul_f32 v71, v65, v5
	v_mul_f32_e32 v5, v64, v5
	s_delay_alu instid0(VALU_DEP_2) | instskip(NEXT) | instid1(VALU_DEP_2)
	v_fma_f32 v71, v64, v4, -v71
	v_fmac_f32_e32 v5, v65, v4
	v_mul_f32_e32 v4, v65, v7
	s_delay_alu instid0(VALU_DEP_2) | instskip(SKIP_1) | instid1(VALU_DEP_3)
	v_dual_add_f32 v69, v69, v71 :: v_dual_add_f32 v70, v70, v5
	v_mul_f32_e32 v5, v64, v7
	v_fma_f32 v4, v64, v6, -v4
	s_delay_alu instid0(VALU_DEP_2) | instskip(NEXT) | instid1(VALU_DEP_1)
	v_fmac_f32_e32 v5, v65, v6
	v_dual_add_f32 v64, v73, v4 :: v_dual_add_f32 v31, v31, v5
	ds_load_2addr_b64 v[4:7], v63 offset0:160 offset1:176
	s_wait_dscnt 0x0
	v_mul_f32_e32 v71, v2, v5
	v_mul_f32_e32 v65, v3, v5
	s_delay_alu instid0(VALU_DEP_2) | instskip(NEXT) | instid1(VALU_DEP_2)
	v_fmac_f32_e32 v71, v3, v4
	v_fma_f32 v65, v2, v4, -v65
	s_delay_alu instid0(VALU_DEP_2) | instskip(SKIP_1) | instid1(VALU_DEP_3)
	v_add_f32_e32 v68, v68, v71
	v_mul_f32_e32 v71, v3, v7
	v_add_f32_e32 v65, v74, v65
	s_delay_alu instid0(VALU_DEP_2) | instskip(SKIP_1) | instid1(VALU_DEP_1)
	v_fma_f32 v71, v2, v6, -v71
	v_mul_f32_e32 v2, v2, v7
	v_dual_add_f32 v71, v1, v71 :: v_dual_fmac_f32 v2, v3, v6
	s_delay_alu instid0(VALU_DEP_1) | instskip(SKIP_1) | instid1(VALU_DEP_2)
	v_dual_mul_f32 v1, v66, v5 :: v_dual_add_f32 v72, v0, v2
	v_mul_f32_e32 v0, v67, v5
	v_fmac_f32_e32 v1, v67, v4
	s_delay_alu instid0(VALU_DEP_2) | instskip(NEXT) | instid1(VALU_DEP_2)
	v_fma_f32 v0, v66, v4, -v0
	v_add_f32_e32 v74, v70, v1
	v_mul_f32_e32 v1, v66, v7
	s_delay_alu instid0(VALU_DEP_3) | instskip(NEXT) | instid1(VALU_DEP_2)
	v_dual_add_f32 v73, v69, v0 :: v_dual_mul_f32 v0, v67, v7
	v_fmac_f32_e32 v1, v67, v6
	s_delay_alu instid0(VALU_DEP_2) | instskip(NEXT) | instid1(VALU_DEP_1)
	v_fma_f32 v0, v66, v6, -v0
	v_dual_add_f32 v31, v31, v1 :: v_dual_add_f32 v64, v64, v0
	ds_load_b128 v[0:3], v52 offset:240
	ds_load_2addr_b64 v[4:7], v63 offset0:192 offset1:208
	s_wait_dscnt 0x0
	v_mul_f32_e32 v66, v1, v5
	v_mul_f32_e32 v67, v0, v5
	s_delay_alu instid0(VALU_DEP_2) | instskip(NEXT) | instid1(VALU_DEP_2)
	v_fma_f32 v66, v0, v4, -v66
	v_fmac_f32_e32 v67, v1, v4
	s_delay_alu instid0(VALU_DEP_1) | instskip(SKIP_1) | instid1(VALU_DEP_1)
	v_dual_add_f32 v65, v65, v66 :: v_dual_add_f32 v66, v68, v67
	v_mul_f32_e32 v67, v1, v7
	v_fma_f32 v67, v0, v6, -v67
	v_mul_f32_e32 v0, v0, v7
	s_delay_alu instid0(VALU_DEP_1) | instskip(NEXT) | instid1(VALU_DEP_1)
	v_dual_fmac_f32 v0, v1, v6 :: v_dual_add_f32 v1, v71, v67
	v_add_f32_e32 v0, v72, v0
	ds_load_b128 v[69:72], v52 offset:4336
	s_wait_dscnt 0x0
	v_mul_f32_e32 v67, v70, v5
	v_mul_f32_e32 v5, v69, v5
	s_delay_alu instid0(VALU_DEP_2) | instskip(NEXT) | instid1(VALU_DEP_2)
	v_fma_f32 v67, v69, v4, -v67
	v_fmac_f32_e32 v5, v70, v4
	v_mul_f32_e32 v4, v70, v7
	s_delay_alu instid0(VALU_DEP_2) | instskip(SKIP_1) | instid1(VALU_DEP_3)
	v_dual_add_f32 v73, v73, v67 :: v_dual_add_f32 v74, v74, v5
	v_mul_f32_e32 v5, v69, v7
	v_fma_f32 v4, v69, v6, -v4
	s_delay_alu instid0(VALU_DEP_1) | instskip(NEXT) | instid1(VALU_DEP_1)
	v_dual_fmac_f32 v5, v70, v6 :: v_dual_add_f32 v64, v64, v4
	v_add_f32_e32 v31, v31, v5
	ds_load_2addr_b64 v[4:7], v63 offset0:224 offset1:240
	s_wait_loadcnt_dscnt 0x0
	s_barrier_signal -1
	s_barrier_wait -1
	global_inv scope:SCOPE_SE
	v_mul_f32_e32 v67, v3, v5
	v_mul_f32_e32 v68, v2, v5
	s_delay_alu instid0(VALU_DEP_2) | instskip(NEXT) | instid1(VALU_DEP_1)
	v_fma_f32 v67, v2, v4, -v67
	v_dual_fmac_f32 v68, v3, v4 :: v_dual_add_f32 v69, v65, v67
	s_delay_alu instid0(VALU_DEP_1) | instskip(NEXT) | instid1(VALU_DEP_1)
	v_dual_mul_f32 v65, v3, v7 :: v_dual_add_f32 v70, v66, v68
	v_fma_f32 v65, v2, v6, -v65
	s_delay_alu instid0(VALU_DEP_1) | instskip(NEXT) | instid1(VALU_DEP_1)
	v_dual_mul_f32 v2, v2, v7 :: v_dual_add_f32 v67, v1, v65
	v_fmac_f32_e32 v2, v3, v6
	s_delay_alu instid0(VALU_DEP_1) | instskip(SKIP_1) | instid1(VALU_DEP_2)
	v_dual_mul_f32 v1, v71, v5 :: v_dual_add_f32 v68, v0, v2
	v_mul_f32_e32 v0, v72, v5
	v_fmac_f32_e32 v1, v72, v4
	s_delay_alu instid0(VALU_DEP_2) | instskip(NEXT) | instid1(VALU_DEP_2)
	v_fma_f32 v0, v71, v4, -v0
	v_dual_add_f32 v66, v74, v1 :: v_dual_mul_f32 v1, v71, v7
	s_delay_alu instid0(VALU_DEP_2) | instskip(NEXT) | instid1(VALU_DEP_2)
	v_dual_add_f32 v65, v73, v0 :: v_dual_mul_f32 v0, v72, v7
	v_fmac_f32_e32 v1, v72, v6
	s_delay_alu instid0(VALU_DEP_2) | instskip(NEXT) | instid1(VALU_DEP_1)
	v_fma_f32 v0, v71, v6, -v0
	v_dual_add_f32 v31, v31, v1 :: v_dual_add_f32 v64, v64, v0
	s_cbranch_scc1 .LBB92_59
.LBB92_11:                              ;   Parent Loop BB92_4 Depth=1
                                        ;     Parent Loop BB92_8 Depth=2
                                        ; =>    This Inner Loop Header: Depth=3
	s_wait_alu 0xfffe
	v_add_co_u32 v0, s5, v50, s24
	s_wait_alu 0xf1ff
	v_add_co_ci_u32_e64 v1, null, 0, s25, s5
	v_cmp_eq_u64_e64 s7, s[24:25], v[36:37]
	s_delay_alu instid0(VALU_DEP_2)
	v_cmp_gt_i64_e64 s5, v[0:1], v[32:33]
	v_cmp_le_i64_e64 s6, s[10:11], v[0:1]
	s_and_b32 s52, s36, s7
	v_add_co_u32 v2, s7, v46, v38
	s_or_b32 s8, vcc_lo, s5
	v_add_co_ci_u32_e64 v3, null, v47, v39, s7
	s_wait_alu 0xfffe
	s_or_b32 s7, s8, s52
	s_wait_alu 0xfffe
	s_nor_b32 s7, s6, s7
	s_wait_alu 0xfffe
	s_and_saveexec_b32 s8, s7
	s_wait_alu 0xfffe
	s_xor_b32 s7, exec_lo, s8
	s_cbranch_execz .LBB92_13
; %bb.12:                               ;   in Loop: Header=BB92_11 Depth=3
	global_load_b64 v[4:5], v[2:3], off
	s_wait_loadcnt 0x0
	v_xor_b32_e32 v5, 0x80000000, v5
	ds_store_b64 v54, v[4:5]
.LBB92_13:                              ;   in Loop: Header=BB92_11 Depth=3
	s_wait_alu 0xfffe
	s_or_saveexec_b32 s7, s7
	s_xor_b32 s51, s52, -1
	s_wait_alu 0xfffe
	s_xor_b32 exec_lo, exec_lo, s7
	s_cbranch_execz .LBB92_19
; %bb.14:                               ;   in Loop: Header=BB92_11 Depth=3
	s_and_saveexec_b32 s8, s51
	s_wait_alu 0xfffe
	s_xor_b32 s8, exec_lo, s8
; %bb.15:                               ;   in Loop: Header=BB92_11 Depth=3
	v_dual_mov_b32 v4, v9 :: v_dual_mov_b32 v5, v9
	ds_store_b64 v54, v[4:5]
; %bb.16:                               ;   in Loop: Header=BB92_11 Depth=3
	s_wait_alu 0xfffe
	s_and_not1_saveexec_b32 s8, s8
; %bb.17:                               ;   in Loop: Header=BB92_11 Depth=3
	ds_store_b64 v54, v[8:9]
; %bb.18:                               ;   in Loop: Header=BB92_11 Depth=3
	s_wait_alu 0xfffe
	s_or_b32 exec_lo, exec_lo, s8
.LBB92_19:                              ;   in Loop: Header=BB92_11 Depth=3
	s_delay_alu instid0(SALU_CYCLE_1) | instskip(SKIP_4) | instid1(VALU_DEP_2)
	s_or_b32 exec_lo, exec_lo, s7
	v_add_co_u32 v4, s7, v0, 16
	s_wait_alu 0xf1ff
	v_add_co_ci_u32_e64 v5, null, 0, v1, s7
	v_cmp_eq_u64_e64 s8, s[24:25], v[42:43]
	v_cmp_gt_i64_e64 s9, v[4:5], v[32:33]
	v_cmp_le_i64_e64 s7, s[10:11], v[4:5]
	s_and_b32 s53, s36, s8
	s_or_b32 s8, vcc_lo, s9
	s_wait_alu 0xfffe
	s_or_b32 s8, s8, s53
	s_wait_alu 0xfffe
	s_nor_b32 s8, s7, s8
	s_wait_alu 0xfffe
	s_and_saveexec_b32 s9, s8
	s_wait_alu 0xfffe
	s_xor_b32 s9, exec_lo, s9
	s_cbranch_execz .LBB92_21
; %bb.20:                               ;   in Loop: Header=BB92_11 Depth=3
	v_add_co_u32 v4, s8, v48, v38
	s_wait_alu 0xf1ff
	v_add_co_ci_u32_e64 v5, null, v49, v39, s8
	global_load_b64 v[4:5], v[4:5], off
	s_wait_loadcnt 0x0
	v_xor_b32_e32 v5, 0x80000000, v5
	ds_store_b64 v54, v[4:5] offset:128
.LBB92_21:                              ;   in Loop: Header=BB92_11 Depth=3
	s_wait_alu 0xfffe
	s_and_not1_saveexec_b32 s8, s9
	s_cbranch_execz .LBB92_27
; %bb.22:                               ;   in Loop: Header=BB92_11 Depth=3
	s_xor_b32 s9, s53, -1
	s_wait_alu 0xfffe
	s_and_saveexec_b32 s53, s9
	s_delay_alu instid0(SALU_CYCLE_1)
	s_xor_b32 s9, exec_lo, s53
; %bb.23:                               ;   in Loop: Header=BB92_11 Depth=3
	v_dual_mov_b32 v4, v9 :: v_dual_mov_b32 v5, v9
	ds_store_b64 v54, v[4:5] offset:128
; %bb.24:                               ;   in Loop: Header=BB92_11 Depth=3
	s_wait_alu 0xfffe
	s_and_not1_saveexec_b32 s9, s9
; %bb.25:                               ;   in Loop: Header=BB92_11 Depth=3
	ds_store_b64 v54, v[8:9] offset:128
; %bb.26:                               ;   in Loop: Header=BB92_11 Depth=3
	s_wait_alu 0xfffe
	s_or_b32 exec_lo, exec_lo, s9
.LBB92_27:                              ;   in Loop: Header=BB92_11 Depth=3
	s_wait_alu 0xfffe
	s_or_b32 exec_lo, exec_lo, s8
	v_cmp_eq_u64_e64 s8, s[24:25], v[40:41]
	v_cmp_gt_i64_e64 s9, v[0:1], v[34:35]
	s_and_b32 s8, s36, s8
	s_or_b32 s9, s4, s9
	s_wait_alu 0xfffe
	s_or_b32 s9, s9, s8
	s_wait_alu 0xfffe
	s_nor_b32 s6, s6, s9
	s_wait_alu 0xfffe
	s_and_saveexec_b32 s9, s6
	s_wait_alu 0xfffe
	s_xor_b32 s6, exec_lo, s9
	s_cbranch_execz .LBB92_29
; %bb.28:                               ;   in Loop: Header=BB92_11 Depth=3
	global_load_b64 v[0:1], v[2:3], off offset:128
	s_wait_loadcnt 0x0
	v_xor_b32_e32 v1, 0x80000000, v1
	ds_store_b64 v54, v[0:1] offset:4096
.LBB92_29:                              ;   in Loop: Header=BB92_11 Depth=3
	s_wait_alu 0xfffe
	s_and_not1_saveexec_b32 s6, s6
	s_cbranch_execz .LBB92_35
; %bb.30:                               ;   in Loop: Header=BB92_11 Depth=3
	s_xor_b32 s8, s8, -1
	s_wait_alu 0xfffe
	s_and_saveexec_b32 s9, s8
	s_wait_alu 0xfffe
	s_xor_b32 s8, exec_lo, s9
; %bb.31:                               ;   in Loop: Header=BB92_11 Depth=3
	v_dual_mov_b32 v0, v9 :: v_dual_mov_b32 v1, v9
	ds_store_b64 v54, v[0:1] offset:4096
; %bb.32:                               ;   in Loop: Header=BB92_11 Depth=3
	s_wait_alu 0xfffe
	s_and_not1_saveexec_b32 s8, s8
; %bb.33:                               ;   in Loop: Header=BB92_11 Depth=3
	ds_store_b64 v54, v[8:9] offset:4096
; %bb.34:                               ;   in Loop: Header=BB92_11 Depth=3
	s_wait_alu 0xfffe
	s_or_b32 exec_lo, exec_lo, s8
.LBB92_35:                              ;   in Loop: Header=BB92_11 Depth=3
	s_wait_alu 0xfffe
	s_or_b32 exec_lo, exec_lo, s6
	s_or_b32 s5, s4, s5
	s_wait_alu 0xfffe
	s_or_b32 s5, s5, s52
	s_wait_alu 0xfffe
	s_nor_b32 s5, s7, s5
	s_wait_alu 0xfffe
	s_and_saveexec_b32 s6, s5
	s_wait_alu 0xfffe
	s_xor_b32 s6, exec_lo, s6
	s_cbranch_execz .LBB92_37
; %bb.36:                               ;   in Loop: Header=BB92_11 Depth=3
	v_add_co_u32 v0, s5, v48, v38
	s_wait_alu 0xf1ff
	v_add_co_ci_u32_e64 v1, null, v49, v39, s5
	global_load_b64 v[0:1], v[0:1], off offset:128
	s_wait_loadcnt 0x0
	v_xor_b32_e32 v1, 0x80000000, v1
	ds_store_b64 v54, v[0:1] offset:4224
.LBB92_37:                              ;   in Loop: Header=BB92_11 Depth=3
	s_wait_alu 0xfffe
	s_and_not1_saveexec_b32 s5, s6
	s_cbranch_execz .LBB92_43
; %bb.38:                               ;   in Loop: Header=BB92_11 Depth=3
	s_and_saveexec_b32 s6, s51
	s_wait_alu 0xfffe
	s_xor_b32 s6, exec_lo, s6
; %bb.39:                               ;   in Loop: Header=BB92_11 Depth=3
	v_dual_mov_b32 v0, v9 :: v_dual_mov_b32 v1, v9
	ds_store_b64 v54, v[0:1] offset:4224
; %bb.40:                               ;   in Loop: Header=BB92_11 Depth=3
	s_wait_alu 0xfffe
	s_and_not1_saveexec_b32 s6, s6
; %bb.41:                               ;   in Loop: Header=BB92_11 Depth=3
	ds_store_b64 v54, v[8:9] offset:4224
; %bb.42:                               ;   in Loop: Header=BB92_11 Depth=3
	s_wait_alu 0xfffe
	s_or_b32 exec_lo, exec_lo, s6
.LBB92_43:                              ;   in Loop: Header=BB92_11 Depth=3
	s_wait_alu 0xfffe
	s_or_b32 exec_lo, exec_lo, s5
	v_add_co_u32 v0, s5, v51, s24
	s_wait_alu 0xf1ff
	v_add_co_ci_u32_e64 v1, null, 0, s25, s5
	v_add_co_u32 v2, s6, v44, v13
	s_wait_alu 0xf1ff
	v_add_co_ci_u32_e64 v3, null, v45, v59, s6
	s_delay_alu instid0(VALU_DEP_3)
	v_cmp_le_i64_e64 s5, s[10:11], v[0:1]
	s_nor_b32 s6, s5, s0
	s_wait_alu 0xfffe
	s_and_saveexec_b32 s7, s6
	s_wait_alu 0xfffe
	s_xor_b32 s6, exec_lo, s7
	s_cbranch_execz .LBB92_45
; %bb.44:                               ;   in Loop: Header=BB92_11 Depth=3
	global_load_b64 v[4:5], v[2:3], off offset:-128
	s_wait_loadcnt 0x0
	ds_store_b64 v55, v[4:5]
.LBB92_45:                              ;   in Loop: Header=BB92_11 Depth=3
	s_wait_alu 0xfffe
	s_and_not1_saveexec_b32 s6, s6
; %bb.46:                               ;   in Loop: Header=BB92_11 Depth=3
	v_dual_mov_b32 v4, v9 :: v_dual_mov_b32 v5, v9
	ds_store_b64 v55, v[4:5]
; %bb.47:                               ;   in Loop: Header=BB92_11 Depth=3
	s_wait_alu 0xfffe
	s_or_b32 exec_lo, exec_lo, s6
	s_nor_b32 s5, s5, s1
	s_wait_alu 0xfffe
	s_and_saveexec_b32 s6, s5
	s_wait_alu 0xfffe
	s_xor_b32 s5, exec_lo, s6
	s_cbranch_execz .LBB92_49
; %bb.48:                               ;   in Loop: Header=BB92_11 Depth=3
	global_load_b64 v[2:3], v[2:3], off
	s_wait_loadcnt 0x0
	ds_store_b64 v55, v[2:3] offset:128
.LBB92_49:                              ;   in Loop: Header=BB92_11 Depth=3
	s_wait_alu 0xfffe
	s_and_not1_saveexec_b32 s5, s5
; %bb.50:                               ;   in Loop: Header=BB92_11 Depth=3
	v_dual_mov_b32 v2, v9 :: v_dual_mov_b32 v3, v9
	ds_store_b64 v55, v[2:3] offset:128
; %bb.51:                               ;   in Loop: Header=BB92_11 Depth=3
	s_wait_alu 0xfffe
	s_or_b32 exec_lo, exec_lo, s5
	v_cmp_le_i64_e64 s5, s[18:19], v[0:1]
	v_add_co_u32 v0, s6, v44, v12
	s_wait_alu 0xf1ff
	v_add_co_ci_u32_e64 v1, null, v45, v60, s6
	s_nor_b32 s6, s5, s0
	s_wait_alu 0xfffe
	s_and_saveexec_b32 s7, s6
	s_wait_alu 0xfffe
	s_xor_b32 s6, exec_lo, s7
	s_cbranch_execz .LBB92_53
; %bb.52:                               ;   in Loop: Header=BB92_11 Depth=3
	global_load_b64 v[2:3], v[0:1], off
	s_wait_loadcnt 0x0
	ds_store_b64 v55, v[2:3] offset:4096
.LBB92_53:                              ;   in Loop: Header=BB92_11 Depth=3
	s_wait_alu 0xfffe
	s_and_not1_saveexec_b32 s6, s6
; %bb.54:                               ;   in Loop: Header=BB92_11 Depth=3
	v_dual_mov_b32 v2, v9 :: v_dual_mov_b32 v3, v9
	ds_store_b64 v55, v[2:3] offset:4096
; %bb.55:                               ;   in Loop: Header=BB92_11 Depth=3
	s_wait_alu 0xfffe
	s_or_b32 exec_lo, exec_lo, s6
	s_nor_b32 s5, s5, s1
	s_wait_alu 0xfffe
	s_and_saveexec_b32 s6, s5
	s_wait_alu 0xfffe
	s_xor_b32 s5, exec_lo, s6
	s_cbranch_execz .LBB92_57
; %bb.56:                               ;   in Loop: Header=BB92_11 Depth=3
	global_load_b64 v[0:1], v[0:1], off offset:128
	s_wait_loadcnt 0x0
	ds_store_b64 v55, v[0:1] offset:4224
.LBB92_57:                              ;   in Loop: Header=BB92_11 Depth=3
	s_wait_alu 0xfffe
	s_and_not1_saveexec_b32 s5, s5
	s_cbranch_execz .LBB92_10
; %bb.58:                               ;   in Loop: Header=BB92_11 Depth=3
	v_dual_mov_b32 v0, v9 :: v_dual_mov_b32 v1, v9
	ds_store_b64 v55, v[0:1] offset:4224
	s_branch .LBB92_10
.LBB92_59:                              ;   in Loop: Header=BB92_8 Depth=2
	v_mul_lo_u32 v2, s29, v32
	v_mul_lo_u32 v3, s28, v33
	v_mad_co_u64_u32 v[0:1], null, s28, v32, 0
	v_cmp_gt_i32_e32 vcc_lo, s38, v32
	s_delay_alu instid0(VALU_DEP_2) | instskip(NEXT) | instid1(VALU_DEP_1)
	v_add3_u32 v1, v1, v3, v2
	v_lshlrev_b64_e32 v[0:1], 3, v[0:1]
	s_delay_alu instid0(VALU_DEP_1) | instskip(SKIP_1) | instid1(VALU_DEP_2)
	v_add_co_u32 v0, s4, s22, v0
	s_wait_alu 0xf1ff
	v_add_co_ci_u32_e64 v1, null, s23, v1, s4
	s_and_b32 s4, s2, vcc_lo
	s_wait_alu 0xfffe
	s_and_saveexec_b32 s5, s4
	s_cbranch_execz .LBB92_61
; %bb.60:                               ;   in Loop: Header=BB92_8 Depth=2
	v_add_co_u32 v2, s4, v0, v16
	s_wait_alu 0xf1ff
	v_add_co_ci_u32_e64 v3, null, v1, v17, s4
	v_mul_f32_e32 v7, v70, v22
	global_load_b64 v[4:5], v[2:3], off
	v_fmac_f32_e32 v7, v69, v23
	s_wait_loadcnt 0x0
	s_delay_alu instid0(VALU_DEP_1) | instskip(NEXT) | instid1(VALU_DEP_1)
	v_dual_mul_f32 v6, v70, v23 :: v_dual_add_f32 v5, v7, v5
	v_fma_f32 v6, v69, v22, -v6
	s_delay_alu instid0(VALU_DEP_1)
	v_add_f32_e32 v4, v4, v6
	global_store_b64 v[2:3], v[4:5], off
.LBB92_61:                              ;   in Loop: Header=BB92_8 Depth=2
	s_wait_alu 0xfffe
	s_or_b32 exec_lo, exec_lo, s5
	s_and_b32 s5, s3, vcc_lo
	s_wait_alu 0xfffe
	s_and_saveexec_b32 s4, s5
	s_cbranch_execz .LBB92_63
; %bb.62:                               ;   in Loop: Header=BB92_8 Depth=2
	v_add_co_u32 v0, vcc_lo, v0, v20
	s_wait_alu 0xfffd
	v_add_co_ci_u32_e64 v1, null, v1, v21, vcc_lo
	v_mul_f32_e32 v4, v68, v23
	global_load_b64 v[2:3], v[0:1], off
	v_fma_f32 v4, v67, v22, -v4
	s_wait_loadcnt 0x0
	s_delay_alu instid0(VALU_DEP_1) | instskip(NEXT) | instid1(VALU_DEP_1)
	v_dual_mul_f32 v5, v68, v22 :: v_dual_add_f32 v2, v2, v4
	v_fmac_f32_e32 v5, v67, v23
	s_delay_alu instid0(VALU_DEP_1)
	v_add_f32_e32 v3, v5, v3
	global_store_b64 v[0:1], v[2:3], off
.LBB92_63:                              ;   in Loop: Header=BB92_8 Depth=2
	s_wait_alu 0xfffe
	s_or_b32 exec_lo, exec_lo, s4
	v_add_nc_u32_e32 v2, 16, v32
	s_delay_alu instid0(VALU_DEP_1) | instskip(SKIP_3) | instid1(VALU_DEP_4)
	v_ashrrev_i32_e32 v3, 31, v2
	v_mul_lo_u32 v4, s29, v2
	v_mad_co_u64_u32 v[0:1], null, s28, v2, 0
	v_cmp_gt_i32_e32 vcc_lo, s38, v2
	v_mul_lo_u32 v3, s28, v3
	s_delay_alu instid0(VALU_DEP_1) | instskip(NEXT) | instid1(VALU_DEP_1)
	v_add3_u32 v1, v1, v3, v4
	v_lshlrev_b64_e32 v[0:1], 3, v[0:1]
	s_delay_alu instid0(VALU_DEP_1) | instskip(SKIP_1) | instid1(VALU_DEP_2)
	v_add_co_u32 v0, s4, s22, v0
	s_wait_alu 0xf1ff
	v_add_co_ci_u32_e64 v1, null, s23, v1, s4
	s_and_b32 s4, s2, vcc_lo
	s_wait_alu 0xfffe
	s_and_saveexec_b32 s5, s4
	s_cbranch_execz .LBB92_65
; %bb.64:                               ;   in Loop: Header=BB92_8 Depth=2
	v_add_co_u32 v2, s4, v0, v16
	s_wait_alu 0xf1ff
	v_add_co_ci_u32_e64 v3, null, v1, v17, s4
	v_mul_f32_e32 v7, v66, v22
	global_load_b64 v[4:5], v[2:3], off
	v_fmac_f32_e32 v7, v65, v23
	s_wait_loadcnt 0x0
	s_delay_alu instid0(VALU_DEP_1) | instskip(NEXT) | instid1(VALU_DEP_1)
	v_dual_mul_f32 v6, v66, v23 :: v_dual_add_f32 v5, v7, v5
	v_fma_f32 v6, v65, v22, -v6
	s_delay_alu instid0(VALU_DEP_1)
	v_add_f32_e32 v4, v4, v6
	global_store_b64 v[2:3], v[4:5], off
.LBB92_65:                              ;   in Loop: Header=BB92_8 Depth=2
	s_wait_alu 0xfffe
	s_or_b32 exec_lo, exec_lo, s5
	s_and_b32 s5, s3, vcc_lo
	s_wait_alu 0xfffe
	s_and_saveexec_b32 s4, s5
	s_cbranch_execz .LBB92_7
; %bb.66:                               ;   in Loop: Header=BB92_8 Depth=2
	v_add_co_u32 v0, vcc_lo, v0, v20
	s_wait_alu 0xfffd
	v_add_co_ci_u32_e64 v1, null, v1, v21, vcc_lo
	v_mul_f32_e32 v4, v31, v23
	global_load_b64 v[2:3], v[0:1], off
	v_fma_f32 v4, v64, v22, -v4
	s_wait_loadcnt 0x0
	s_delay_alu instid0(VALU_DEP_1) | instskip(NEXT) | instid1(VALU_DEP_1)
	v_dual_mul_f32 v5, v31, v22 :: v_dual_add_f32 v2, v2, v4
	v_fmac_f32_e32 v5, v64, v23
	s_delay_alu instid0(VALU_DEP_1)
	v_add_f32_e32 v3, v5, v3
	global_store_b64 v[0:1], v[2:3], off
	s_branch .LBB92_7
.LBB92_67:
	s_endpgm
	.section	.rodata,"a",@progbits
	.p2align	6, 0x0
	.amdhsa_kernel _ZL30rocblas_trmm_outofplace_kernelI19rocblas_complex_numIfELi32ELi2ELb0ELb0ELb1ELb1EPKS1_S2_S1_Ev17rocblas_diagonal_iiT6_lPT7_lllS7_lllPT8_llli
		.amdhsa_group_segment_fixed_size 16384
		.amdhsa_private_segment_fixed_size 0
		.amdhsa_kernarg_size 392
		.amdhsa_user_sgpr_count 2
		.amdhsa_user_sgpr_dispatch_ptr 0
		.amdhsa_user_sgpr_queue_ptr 0
		.amdhsa_user_sgpr_kernarg_segment_ptr 1
		.amdhsa_user_sgpr_dispatch_id 0
		.amdhsa_user_sgpr_private_segment_size 0
		.amdhsa_wavefront_size32 1
		.amdhsa_uses_dynamic_stack 0
		.amdhsa_enable_private_segment 0
		.amdhsa_system_sgpr_workgroup_id_x 1
		.amdhsa_system_sgpr_workgroup_id_y 1
		.amdhsa_system_sgpr_workgroup_id_z 1
		.amdhsa_system_sgpr_workgroup_info 0
		.amdhsa_system_vgpr_workitem_id 1
		.amdhsa_next_free_vgpr 86
		.amdhsa_next_free_sgpr 54
		.amdhsa_reserve_vcc 1
		.amdhsa_float_round_mode_32 0
		.amdhsa_float_round_mode_16_64 0
		.amdhsa_float_denorm_mode_32 3
		.amdhsa_float_denorm_mode_16_64 3
		.amdhsa_fp16_overflow 0
		.amdhsa_workgroup_processor_mode 1
		.amdhsa_memory_ordered 1
		.amdhsa_forward_progress 1
		.amdhsa_inst_pref_size 64
		.amdhsa_round_robin_scheduling 0
		.amdhsa_exception_fp_ieee_invalid_op 0
		.amdhsa_exception_fp_denorm_src 0
		.amdhsa_exception_fp_ieee_div_zero 0
		.amdhsa_exception_fp_ieee_overflow 0
		.amdhsa_exception_fp_ieee_underflow 0
		.amdhsa_exception_fp_ieee_inexact 0
		.amdhsa_exception_int_div_zero 0
	.end_amdhsa_kernel
	.section	.text._ZL30rocblas_trmm_outofplace_kernelI19rocblas_complex_numIfELi32ELi2ELb0ELb0ELb1ELb1EPKS1_S2_S1_Ev17rocblas_diagonal_iiT6_lPT7_lllS7_lllPT8_llli,"axG",@progbits,_ZL30rocblas_trmm_outofplace_kernelI19rocblas_complex_numIfELi32ELi2ELb0ELb0ELb1ELb1EPKS1_S2_S1_Ev17rocblas_diagonal_iiT6_lPT7_lllS7_lllPT8_llli,comdat
.Lfunc_end92:
	.size	_ZL30rocblas_trmm_outofplace_kernelI19rocblas_complex_numIfELi32ELi2ELb0ELb0ELb1ELb1EPKS1_S2_S1_Ev17rocblas_diagonal_iiT6_lPT7_lllS7_lllPT8_llli, .Lfunc_end92-_ZL30rocblas_trmm_outofplace_kernelI19rocblas_complex_numIfELi32ELi2ELb0ELb0ELb1ELb1EPKS1_S2_S1_Ev17rocblas_diagonal_iiT6_lPT7_lllS7_lllPT8_llli
                                        ; -- End function
	.set _ZL30rocblas_trmm_outofplace_kernelI19rocblas_complex_numIfELi32ELi2ELb0ELb0ELb1ELb1EPKS1_S2_S1_Ev17rocblas_diagonal_iiT6_lPT7_lllS7_lllPT8_llli.num_vgpr, 86
	.set _ZL30rocblas_trmm_outofplace_kernelI19rocblas_complex_numIfELi32ELi2ELb0ELb0ELb1ELb1EPKS1_S2_S1_Ev17rocblas_diagonal_iiT6_lPT7_lllS7_lllPT8_llli.num_agpr, 0
	.set _ZL30rocblas_trmm_outofplace_kernelI19rocblas_complex_numIfELi32ELi2ELb0ELb0ELb1ELb1EPKS1_S2_S1_Ev17rocblas_diagonal_iiT6_lPT7_lllS7_lllPT8_llli.numbered_sgpr, 54
	.set _ZL30rocblas_trmm_outofplace_kernelI19rocblas_complex_numIfELi32ELi2ELb0ELb0ELb1ELb1EPKS1_S2_S1_Ev17rocblas_diagonal_iiT6_lPT7_lllS7_lllPT8_llli.num_named_barrier, 0
	.set _ZL30rocblas_trmm_outofplace_kernelI19rocblas_complex_numIfELi32ELi2ELb0ELb0ELb1ELb1EPKS1_S2_S1_Ev17rocblas_diagonal_iiT6_lPT7_lllS7_lllPT8_llli.private_seg_size, 0
	.set _ZL30rocblas_trmm_outofplace_kernelI19rocblas_complex_numIfELi32ELi2ELb0ELb0ELb1ELb1EPKS1_S2_S1_Ev17rocblas_diagonal_iiT6_lPT7_lllS7_lllPT8_llli.uses_vcc, 1
	.set _ZL30rocblas_trmm_outofplace_kernelI19rocblas_complex_numIfELi32ELi2ELb0ELb0ELb1ELb1EPKS1_S2_S1_Ev17rocblas_diagonal_iiT6_lPT7_lllS7_lllPT8_llli.uses_flat_scratch, 0
	.set _ZL30rocblas_trmm_outofplace_kernelI19rocblas_complex_numIfELi32ELi2ELb0ELb0ELb1ELb1EPKS1_S2_S1_Ev17rocblas_diagonal_iiT6_lPT7_lllS7_lllPT8_llli.has_dyn_sized_stack, 0
	.set _ZL30rocblas_trmm_outofplace_kernelI19rocblas_complex_numIfELi32ELi2ELb0ELb0ELb1ELb1EPKS1_S2_S1_Ev17rocblas_diagonal_iiT6_lPT7_lllS7_lllPT8_llli.has_recursion, 0
	.set _ZL30rocblas_trmm_outofplace_kernelI19rocblas_complex_numIfELi32ELi2ELb0ELb0ELb1ELb1EPKS1_S2_S1_Ev17rocblas_diagonal_iiT6_lPT7_lllS7_lllPT8_llli.has_indirect_call, 0
	.section	.AMDGPU.csdata,"",@progbits
; Kernel info:
; codeLenInByte = 8116
; TotalNumSgprs: 56
; NumVgprs: 86
; ScratchSize: 0
; MemoryBound: 0
; FloatMode: 240
; IeeeMode: 1
; LDSByteSize: 16384 bytes/workgroup (compile time only)
; SGPRBlocks: 0
; VGPRBlocks: 10
; NumSGPRsForWavesPerEU: 56
; NumVGPRsForWavesPerEU: 86
; Occupancy: 16
; WaveLimiterHint : 0
; COMPUTE_PGM_RSRC2:SCRATCH_EN: 0
; COMPUTE_PGM_RSRC2:USER_SGPR: 2
; COMPUTE_PGM_RSRC2:TRAP_HANDLER: 0
; COMPUTE_PGM_RSRC2:TGID_X_EN: 1
; COMPUTE_PGM_RSRC2:TGID_Y_EN: 1
; COMPUTE_PGM_RSRC2:TGID_Z_EN: 1
; COMPUTE_PGM_RSRC2:TIDIG_COMP_CNT: 1
	.section	.text._ZL30rocblas_trmm_outofplace_kernelI19rocblas_complex_numIfELi32ELi2ELb0ELb0ELb1ELb1ES1_KS1_S1_Ev17rocblas_diagonal_iiT6_lPT7_lllS6_lllPT8_llli,"axG",@progbits,_ZL30rocblas_trmm_outofplace_kernelI19rocblas_complex_numIfELi32ELi2ELb0ELb0ELb1ELb1ES1_KS1_S1_Ev17rocblas_diagonal_iiT6_lPT7_lllS6_lllPT8_llli,comdat
	.globl	_ZL30rocblas_trmm_outofplace_kernelI19rocblas_complex_numIfELi32ELi2ELb0ELb0ELb1ELb1ES1_KS1_S1_Ev17rocblas_diagonal_iiT6_lPT7_lllS6_lllPT8_llli ; -- Begin function _ZL30rocblas_trmm_outofplace_kernelI19rocblas_complex_numIfELi32ELi2ELb0ELb0ELb1ELb1ES1_KS1_S1_Ev17rocblas_diagonal_iiT6_lPT7_lllS6_lllPT8_llli
	.p2align	8
	.type	_ZL30rocblas_trmm_outofplace_kernelI19rocblas_complex_numIfELi32ELi2ELb0ELb0ELb1ELb1ES1_KS1_S1_Ev17rocblas_diagonal_iiT6_lPT7_lllS6_lllPT8_llli,@function
_ZL30rocblas_trmm_outofplace_kernelI19rocblas_complex_numIfELi32ELi2ELb0ELb0ELb1ELb1ES1_KS1_S1_Ev17rocblas_diagonal_iiT6_lPT7_lllS6_lllPT8_llli: ; @_ZL30rocblas_trmm_outofplace_kernelI19rocblas_complex_numIfELi32ELi2ELb0ELb0ELb1ELb1ES1_KS1_S1_Ev17rocblas_diagonal_iiT6_lPT7_lllS6_lllPT8_llli
; %bb.0:
	s_load_b32 s31, s[0:1], 0x80
	s_lshr_b32 s34, ttmp7, 16
	s_wait_kmcnt 0x0
	s_cmp_ge_u32 s34, s31
	s_cbranch_scc1 .LBB93_66
; %bb.1:
	s_load_b64 s[36:37], s[0:1], 0xc
	s_mov_b32 s35, 0
	s_wait_kmcnt 0x0
	s_or_b32 s2, s36, s37
	s_delay_alu instid0(SALU_CYCLE_1) | instskip(NEXT) | instid1(SALU_CYCLE_1)
	s_bitset0_b32 s2, 31
	s_cmp_eq_u32 s2, 0
	s_cbranch_scc1 .LBB93_66
; %bb.2:
	s_clause 0x2
	s_load_b96 s[28:30], s[0:1], 0x0
	s_load_b512 s[4:19], s[0:1], 0x20
	s_load_b256 s[20:27], s[0:1], 0x60
	s_add_nc_u64 s[38:39], s[0:1], 0x88
	v_dual_mov_b32 v9, 0 :: v_dual_and_b32 v48, 0x3ff, v0
	v_bfe_u32 v49, v0, 10, 10
	s_and_b32 s33, ttmp7, 0xffff
	s_delay_alu instid0(VALU_DEP_2) | instskip(SKIP_1) | instid1(VALU_DEP_3)
	v_lshl_add_u32 v0, ttmp9, 5, v48
	v_lshlrev_b32_e32 v2, 3, v48
	v_lshlrev_b32_e32 v50, 8, v49
	v_lshl_add_u32 v56, s33, 5, v49
	s_delay_alu instid0(VALU_DEP_4) | instskip(NEXT) | instid1(VALU_DEP_4)
	v_ashrrev_i32_e32 v1, 31, v0
	v_add_nc_u32_e32 v8, 0x80, v2
	v_or_b32_e32 v51, 0x2000, v2
	v_add_nc_u32_e32 v52, v50, v2
	v_add_nc_u32_e32 v6, 16, v0
	s_wait_kmcnt 0x0
	s_add_co_i32 s0, s30, -1
	v_sub_co_u32 v4, vcc_lo, s29, v0
	s_wait_alu 0xfffe
	s_ashr_i32 s1, s0, 31
	v_mad_co_u64_u32 v[2:3], null, s8, v48, 0
	s_wait_alu 0xfffe
	s_lshr_b32 s1, s1, 27
	v_ashrrev_i32_e32 v7, 31, v6
	s_wait_alu 0xfffe
	s_add_co_i32 s0, s0, s1
	v_add_nc_u32_e32 v60, 0x1000, v51
	s_wait_alu 0xfffe
	s_ashr_i32 s46, s0, 5
	s_mov_b32 s40, s30
	s_cmp_le_i32 s33, s46
	v_lshlrev_b64_e32 v[20:21], 3, v[6:7]
	s_cselect_b32 s47, -1, 0
	s_cmp_eq_u32 s28, 0x84
	v_add_nc_u32_e32 v61, 0x1800, v51
	s_cselect_b32 s28, -1, 0
	s_ashr_i32 s0, s29, 31
	s_lshl_b64 s[2:3], s[6:7], 3
	s_wait_alu 0xfffe
	v_sub_co_ci_u32_e64 v5, null, s0, v1, vcc_lo
	s_lshl_b64 s[0:1], s[22:23], 3
	s_add_nc_u64 s[4:5], s[4:5], s[2:3]
	s_wait_alu 0xfffe
	s_add_nc_u64 s[20:21], s[20:21], s[0:1]
	v_cmp_gt_i64_e64 s0, 1, v[4:5]
	v_cmp_gt_i64_e64 s1, 17, v[4:5]
	v_mad_co_u64_u32 v[4:5], null, s16, v49, 0
	v_mad_co_u64_u32 v[10:11], null, s8, v8, s[4:5]
	v_cmp_gt_i32_e64 s2, s29, v0
	v_sub_co_u32 v54, s6, 0, v48
	v_cmp_gt_i32_e64 s3, s29, v6
	v_mad_co_u64_u32 v[12:13], null, s9, v48, v[3:4]
	v_mov_b32_e32 v3, v11
	v_sub_co_ci_u32_e64 v55, null, 0, 0, s6
	s_ashr_i32 s41, s30, 31
	s_lshl_b64 s[42:43], s[8:9], 8
	v_mad_co_u64_u32 v[14:15], null, s9, v8, v[3:4]
	v_mov_b32_e32 v3, v12
	v_mad_co_u64_u32 v[15:16], null, s17, v49, v[5:6]
	v_lshl_add_u32 v8, v49, 3, 0x80
	v_lshlrev_b64_e32 v[16:17], 3, v[0:1]
	s_delay_alu instid0(VALU_DEP_4) | instskip(SKIP_4) | instid1(VALU_DEP_4)
	v_lshlrev_b64_e32 v[2:3], 3, v[2:3]
	v_mov_b32_e32 v11, v14
	s_lshl_b64 s[44:45], s[16:17], 8
	v_mad_co_u64_u32 v[12:13], null, s16, v8, 0
	v_mov_b32_e32 v5, v15
	v_add_co_u32 v14, vcc_lo, s4, v2
	s_wait_alu 0xfffd
	v_add_co_ci_u32_e64 v15, null, s5, v3, vcc_lo
	s_delay_alu instid0(VALU_DEP_3)
	v_lshlrev_b64_e32 v[3:4], 3, v[4:5]
	v_dual_mov_b32 v2, v13 :: v_dual_add_nc_u32 v53, v51, v50
	s_lshl_b64 s[4:5], s[14:15], 3
	s_lshl_b64 s[10:11], s[10:11], 3
	s_wait_alu 0xfffe
	s_add_nc_u64 s[4:5], s[12:13], s[4:5]
	v_add_co_u32 v13, vcc_lo, 0x80, v3
	v_mad_co_u64_u32 v[0:1], null, s17, v8, v[2:3]
	s_wait_alu 0xfffd
	v_add_co_ci_u32_e64 v57, null, 0, v4, vcc_lo
	s_wait_alu 0xfffe
	v_add_co_u32 v18, vcc_lo, s4, v16
	s_wait_alu 0xfffd
	v_add_co_ci_u32_e64 v19, null, s5, v17, vcc_lo
	s_delay_alu instid0(VALU_DEP_4)
	v_dual_mov_b32 v58, v0 :: v_dual_add_nc_u32 v59, 0x800, v51
	v_mov_b32_e32 v8, 1.0
	s_add_nc_u64 s[12:13], s[40:41], -16
	s_lshl_b64 s[14:15], s[18:19], 3
	s_branch .LBB93_4
.LBB93_3:                               ;   in Loop: Header=BB93_4 Depth=1
	s_add_co_i32 s34, s34, 0x10000
	s_wait_alu 0xfffe
	s_cmp_ge_u32 s34, s31
	s_cbranch_scc1 .LBB93_66
.LBB93_4:                               ; =>This Loop Header: Depth=1
                                        ;     Child Loop BB93_7 Depth 2
                                        ;       Child Loop BB93_10 Depth 3
	s_and_not1_b32 vcc_lo, exec_lo, s47
	s_wait_alu 0xfffe
	s_cbranch_vccnz .LBB93_3
; %bb.5:                                ;   in Loop: Header=BB93_4 Depth=1
	v_mad_co_u64_u32 v[22:23], null, s14, s34, v[18:19]
	s_load_b32 s22, s[38:39], 0x4
	v_mad_co_u64_u32 v[24:25], null, s10, s34, v[10:11]
	s_mul_i32 s6, s11, s34
	v_mad_co_u64_u32 v[26:27], null, s10, s34, v[14:15]
	v_mov_b32_e32 v0, v23
	s_mul_u64 s[4:5], s[26:27], s[34:35]
	s_wait_alu 0xfffe
	v_dual_mov_b32 v28, v56 :: v_dual_add_nc_u32 v25, s6, v25
	s_lshl_b64 s[4:5], s[4:5], 3
	v_mad_co_u64_u32 v[0:1], null, s15, s34, v[0:1]
	s_delay_alu instid0(VALU_DEP_4) | instskip(SKIP_3) | instid1(VALU_DEP_2)
	v_add_nc_u32_e32 v27, s6, v27
	s_wait_alu 0xfffe
	s_add_nc_u64 s[16:17], s[20:21], s[4:5]
	s_mov_b32 s29, s33
	v_mov_b32_e32 v23, v0
	s_wait_kmcnt 0x0
	s_lshl_b32 s23, s22, 5
	s_branch .LBB93_7
.LBB93_6:                               ;   in Loop: Header=BB93_7 Depth=2
	s_wait_alu 0xfffe
	s_or_b32 exec_lo, exec_lo, s4
	v_add_nc_u32_e32 v28, s23, v28
	s_add_co_i32 s29, s22, s29
	s_wait_alu 0xfffe
	s_cmp_gt_i32 s29, s46
	s_cbranch_scc1 .LBB93_3
.LBB93_7:                               ;   Parent Loop BB93_4 Depth=1
                                        ; =>  This Loop Header: Depth=2
                                        ;       Child Loop BB93_10 Depth 3
	s_wait_alu 0xfffe
	s_lshl_b32 s48, s29, 5
	s_wait_alu 0xfffe
	v_dual_mov_b32 v67, 0 :: v_dual_add_nc_u32 v30, s48, v49
	v_dual_mov_b32 v68, 0 :: v_dual_mov_b32 v65, 0
	v_dual_mov_b32 v66, 0 :: v_dual_mov_b32 v63, 0
	s_delay_alu instid0(VALU_DEP_3)
	v_ashrrev_i32_e32 v31, 31, v30
	v_dual_mov_b32 v64, 0 :: v_dual_mov_b32 v29, 0
	v_mov_b32_e32 v62, 0
	s_cmp_lt_i32 s29, 0
	s_cbranch_scc1 .LBB93_58
; %bb.8:                                ;   in Loop: Header=BB93_7 Depth=2
	v_ashrrev_i32_e32 v29, 31, v28
	v_add_co_u32 v32, vcc_lo, v30, 16
	s_wait_alu 0xfffd
	v_add_co_ci_u32_e64 v33, null, 0, v31, vcc_lo
	v_add_co_u32 v34, vcc_lo, v54, v28
	s_wait_alu 0xfffd
	v_add_co_ci_u32_e64 v35, null, v55, v29, vcc_lo
	v_lshlrev_b64_e32 v[36:37], 3, v[28:29]
	s_delay_alu instid0(VALU_DEP_3) | instskip(SKIP_1) | instid1(VALU_DEP_3)
	v_add_co_u32 v38, s5, v34, 16
	s_wait_alu 0xf1ff
	v_add_co_ci_u32_e64 v39, null, 0, v35, s5
	v_add_co_u32 v40, s5, v34, -16
	v_cmp_le_i64_e64 s4, s[40:41], v[32:33]
	v_mov_b32_e32 v43, v23
	v_mov_b32_e32 v45, v27
	v_dual_mov_b32 v47, v25 :: v_dual_mov_b32 v62, 0
	s_wait_alu 0xf1ff
	v_add_co_ci_u32_e64 v41, null, -1, v35, s5
	v_dual_mov_b32 v29, 0 :: v_dual_mov_b32 v42, v22
	v_mov_b32_e32 v44, v26
	v_mov_b32_e32 v46, v24
	v_dual_mov_b32 v64, 0 :: v_dual_mov_b32 v63, 0
	v_dual_mov_b32 v66, 0 :: v_dual_mov_b32 v65, 0
	;; [unrolled: 1-line block ×3, first 2 shown]
	s_mov_b64 s[18:19], 0
	v_cmp_le_i32_e32 vcc_lo, s30, v30
	s_branch .LBB93_10
.LBB93_9:                               ;   in Loop: Header=BB93_10 Depth=3
	s_wait_alu 0xfffe
	s_or_b32 exec_lo, exec_lo, s5
	s_wait_dscnt 0x0
	s_barrier_signal -1
	s_barrier_wait -1
	global_inv scope:SCOPE_SE
	ds_load_b128 v[69:72], v50
	ds_load_b128 v[73:76], v50 offset:16
	ds_load_b128 v[4:7], v50 offset:32
	;; [unrolled: 1-line block ×3, first 2 shown]
	ds_load_2addr_b64 v[77:80], v51 offset1:16
	v_add_co_u32 v46, s5, v46, s42
	s_wait_alu 0xf1ff
	v_add_co_ci_u32_e64 v47, null, s43, v47, s5
	v_add_co_u32 v44, s5, v44, s42
	s_wait_alu 0xf1ff
	v_add_co_ci_u32_e64 v45, null, s43, v45, s5
	v_add_co_u32 v42, s5, v42, s44
	s_add_nc_u64 s[18:19], s[18:19], 32
	v_add_co_ci_u32_e64 v43, null, s45, v43, s5
	s_wait_alu 0xfffe
	s_sub_co_i32 s6, s18, 32
	s_wait_alu 0xfffe
	s_cmp_ge_i32 s6, s48
	s_wait_dscnt 0x0
	v_mul_f32_e32 v82, v69, v78
	v_mul_f32_e32 v81, v70, v78
	s_delay_alu instid0(VALU_DEP_2) | instskip(NEXT) | instid1(VALU_DEP_1)
	v_fmac_f32_e32 v82, v70, v77
	v_add_f32_e32 v82, v68, v82
	v_mul_f32_e32 v68, v69, v80
	s_delay_alu instid0(VALU_DEP_4) | instskip(NEXT) | instid1(VALU_DEP_1)
	v_fma_f32 v81, v69, v77, -v81
	v_dual_fmac_f32 v68, v70, v79 :: v_dual_add_f32 v81, v67, v81
	v_mul_f32_e32 v67, v70, v80
	s_delay_alu instid0(VALU_DEP_2) | instskip(NEXT) | instid1(VALU_DEP_2)
	v_add_f32_e32 v70, v66, v68
	v_fma_f32 v67, v69, v79, -v67
	s_delay_alu instid0(VALU_DEP_1) | instskip(SKIP_4) | instid1(VALU_DEP_1)
	v_add_f32_e32 v69, v65, v67
	ds_load_b128 v[65:68], v50 offset:4096
	s_wait_dscnt 0x0
	v_mul_f32_e32 v83, v66, v78
	v_mul_f32_e32 v78, v65, v78
	v_fmac_f32_e32 v78, v66, v77
	s_delay_alu instid0(VALU_DEP_1) | instskip(SKIP_2) | instid1(VALU_DEP_2)
	v_add_f32_e32 v78, v64, v78
	v_mul_f32_e32 v64, v65, v80
	v_fma_f32 v83, v65, v77, -v83
	v_fmac_f32_e32 v64, v66, v79
	s_delay_alu instid0(VALU_DEP_2) | instskip(SKIP_1) | instid1(VALU_DEP_3)
	v_add_f32_e32 v77, v63, v83
	v_mul_f32_e32 v63, v66, v80
	v_add_f32_e32 v29, v29, v64
	s_delay_alu instid0(VALU_DEP_2) | instskip(NEXT) | instid1(VALU_DEP_1)
	v_fma_f32 v63, v65, v79, -v63
	v_add_f32_e32 v66, v62, v63
	ds_load_2addr_b64 v[62:65], v51 offset0:32 offset1:48
	s_wait_dscnt 0x0
	v_mul_f32_e32 v79, v72, v63
	v_mul_f32_e32 v80, v71, v63
	s_delay_alu instid0(VALU_DEP_2) | instskip(NEXT) | instid1(VALU_DEP_1)
	v_fma_f32 v79, v71, v62, -v79
	v_add_f32_e32 v79, v81, v79
	v_mul_f32_e32 v81, v72, v65
	s_delay_alu instid0(VALU_DEP_1) | instskip(SKIP_1) | instid1(VALU_DEP_2)
	v_fma_f32 v81, v71, v64, -v81
	v_mul_f32_e32 v71, v71, v65
	v_add_f32_e32 v69, v69, v81
	s_delay_alu instid0(VALU_DEP_2) | instskip(SKIP_1) | instid1(VALU_DEP_2)
	v_fmac_f32_e32 v71, v72, v64
	v_fmac_f32_e32 v80, v72, v62
	v_add_f32_e32 v70, v70, v71
	s_delay_alu instid0(VALU_DEP_2) | instskip(SKIP_1) | instid1(VALU_DEP_2)
	v_dual_add_f32 v80, v82, v80 :: v_dual_mul_f32 v71, v68, v63
	v_mul_f32_e32 v63, v67, v63
	v_fma_f32 v71, v67, v62, -v71
	s_delay_alu instid0(VALU_DEP_2) | instskip(NEXT) | instid1(VALU_DEP_2)
	v_fmac_f32_e32 v63, v68, v62
	v_dual_mul_f32 v62, v68, v65 :: v_dual_add_f32 v71, v77, v71
	s_delay_alu instid0(VALU_DEP_2) | instskip(NEXT) | instid1(VALU_DEP_2)
	v_dual_add_f32 v72, v78, v63 :: v_dual_mul_f32 v63, v67, v65
	v_fma_f32 v62, v67, v64, -v62
	s_delay_alu instid0(VALU_DEP_2) | instskip(NEXT) | instid1(VALU_DEP_2)
	v_fmac_f32_e32 v63, v68, v64
	v_add_f32_e32 v77, v66, v62
	s_delay_alu instid0(VALU_DEP_2) | instskip(SKIP_4) | instid1(VALU_DEP_2)
	v_add_f32_e32 v29, v29, v63
	ds_load_2addr_b64 v[62:65], v51 offset0:64 offset1:80
	s_wait_dscnt 0x0
	v_mul_f32_e32 v66, v74, v63
	v_mul_f32_e32 v67, v73, v63
	v_fma_f32 v66, v73, v62, -v66
	s_delay_alu instid0(VALU_DEP_2) | instskip(NEXT) | instid1(VALU_DEP_1)
	v_fmac_f32_e32 v67, v74, v62
	v_dual_add_f32 v78, v79, v66 :: v_dual_add_f32 v79, v80, v67
	v_mul_f32_e32 v66, v74, v65
	v_mul_f32_e32 v67, v73, v65
	s_delay_alu instid0(VALU_DEP_2) | instskip(NEXT) | instid1(VALU_DEP_2)
	v_fma_f32 v66, v73, v64, -v66
	v_fmac_f32_e32 v67, v74, v64
	s_delay_alu instid0(VALU_DEP_1) | instskip(SKIP_4) | instid1(VALU_DEP_2)
	v_dual_add_f32 v73, v69, v66 :: v_dual_add_f32 v70, v70, v67
	ds_load_b128 v[66:69], v50 offset:4112
	s_wait_dscnt 0x0
	v_mul_f32_e32 v74, v67, v63
	v_mul_f32_e32 v63, v66, v63
	v_fma_f32 v74, v66, v62, -v74
	s_delay_alu instid0(VALU_DEP_2) | instskip(SKIP_1) | instid1(VALU_DEP_2)
	v_fmac_f32_e32 v63, v67, v62
	v_mul_f32_e32 v62, v67, v65
	v_dual_add_f32 v72, v72, v63 :: v_dual_mul_f32 v63, v66, v65
	s_delay_alu instid0(VALU_DEP_2) | instskip(SKIP_1) | instid1(VALU_DEP_2)
	v_fma_f32 v62, v66, v64, -v62
	v_add_f32_e32 v71, v71, v74
	v_dual_fmac_f32 v63, v67, v64 :: v_dual_add_f32 v66, v77, v62
	s_delay_alu instid0(VALU_DEP_1) | instskip(SKIP_3) | instid1(VALU_DEP_1)
	v_add_f32_e32 v29, v29, v63
	ds_load_2addr_b64 v[62:65], v51 offset0:96 offset1:112
	s_wait_dscnt 0x0
	v_dual_mul_f32 v74, v75, v63 :: v_dual_mul_f32 v77, v76, v65
	v_fmac_f32_e32 v74, v76, v62
	s_delay_alu instid0(VALU_DEP_2) | instskip(NEXT) | instid1(VALU_DEP_2)
	v_fma_f32 v77, v75, v64, -v77
	v_dual_add_f32 v74, v79, v74 :: v_dual_mul_f32 v67, v76, v63
	s_delay_alu instid0(VALU_DEP_1) | instskip(SKIP_1) | instid1(VALU_DEP_1)
	v_fma_f32 v67, v75, v62, -v67
	v_mul_f32_e32 v75, v75, v65
	v_fmac_f32_e32 v75, v76, v64
	s_delay_alu instid0(VALU_DEP_1) | instskip(SKIP_2) | instid1(VALU_DEP_2)
	v_add_f32_e32 v70, v70, v75
	v_mul_f32_e32 v75, v69, v63
	v_mul_f32_e32 v63, v68, v63
	v_fma_f32 v75, v68, v62, -v75
	s_delay_alu instid0(VALU_DEP_2) | instskip(SKIP_1) | instid1(VALU_DEP_2)
	v_fmac_f32_e32 v63, v69, v62
	v_mul_f32_e32 v62, v69, v65
	v_add_f32_e32 v72, v72, v63
	s_delay_alu instid0(VALU_DEP_4) | instskip(NEXT) | instid1(VALU_DEP_3)
	v_add_f32_e32 v71, v71, v75
	v_fma_f32 v62, v68, v64, -v62
	v_mul_f32_e32 v63, v68, v65
	s_delay_alu instid0(VALU_DEP_2) | instskip(NEXT) | instid1(VALU_DEP_2)
	v_add_f32_e32 v75, v66, v62
	v_fmac_f32_e32 v63, v69, v64
	s_delay_alu instid0(VALU_DEP_1)
	v_add_f32_e32 v29, v29, v63
	ds_load_2addr_b64 v[62:65], v51 offset0:128 offset1:144
	v_add_f32_e32 v67, v78, v67
	s_wait_dscnt 0x0
	v_mul_f32_e32 v66, v5, v63
	v_mul_f32_e32 v68, v4, v63
	s_delay_alu instid0(VALU_DEP_2) | instskip(NEXT) | instid1(VALU_DEP_2)
	v_fma_f32 v66, v4, v62, -v66
	v_fmac_f32_e32 v68, v5, v62
	s_delay_alu instid0(VALU_DEP_2) | instskip(SKIP_1) | instid1(VALU_DEP_3)
	v_add_f32_e32 v76, v67, v66
	v_mul_f32_e32 v66, v5, v65
	v_add_f32_e32 v74, v74, v68
	s_delay_alu instid0(VALU_DEP_2) | instskip(SKIP_1) | instid1(VALU_DEP_1)
	v_fma_f32 v66, v4, v64, -v66
	v_mul_f32_e32 v4, v4, v65
	v_fmac_f32_e32 v4, v5, v64
	s_delay_alu instid0(VALU_DEP_1) | instskip(NEXT) | instid1(VALU_DEP_1)
	v_dual_add_f32 v73, v73, v77 :: v_dual_add_f32 v4, v70, v4
	v_add_f32_e32 v5, v73, v66
	ds_load_b128 v[66:69], v50 offset:4128
	s_wait_dscnt 0x0
	v_mul_f32_e32 v70, v67, v63
	v_mul_f32_e32 v63, v66, v63
	s_delay_alu instid0(VALU_DEP_2) | instskip(NEXT) | instid1(VALU_DEP_2)
	v_fma_f32 v70, v66, v62, -v70
	v_fmac_f32_e32 v63, v67, v62
	v_mul_f32_e32 v62, v67, v65
	s_delay_alu instid0(VALU_DEP_2) | instskip(SKIP_1) | instid1(VALU_DEP_3)
	v_dual_add_f32 v70, v71, v70 :: v_dual_add_f32 v71, v72, v63
	v_mul_f32_e32 v63, v66, v65
	v_fma_f32 v62, v66, v64, -v62
	s_delay_alu instid0(VALU_DEP_2) | instskip(NEXT) | instid1(VALU_DEP_1)
	v_fmac_f32_e32 v63, v67, v64
	v_dual_add_f32 v66, v75, v62 :: v_dual_add_f32 v29, v29, v63
	ds_load_2addr_b64 v[62:65], v51 offset0:160 offset1:176
	s_wait_dscnt 0x0
	v_mul_f32_e32 v67, v7, v63
	v_dual_mul_f32 v73, v7, v65 :: v_dual_mul_f32 v72, v6, v63
	s_delay_alu instid0(VALU_DEP_2) | instskip(NEXT) | instid1(VALU_DEP_2)
	v_fma_f32 v67, v6, v62, -v67
	v_fma_f32 v73, v6, v64, -v73
	v_mul_f32_e32 v6, v6, v65
	s_delay_alu instid0(VALU_DEP_4) | instskip(NEXT) | instid1(VALU_DEP_2)
	v_fmac_f32_e32 v72, v7, v62
	v_fmac_f32_e32 v6, v7, v64
	s_delay_alu instid0(VALU_DEP_2) | instskip(NEXT) | instid1(VALU_DEP_2)
	v_dual_add_f32 v72, v74, v72 :: v_dual_add_f32 v73, v5, v73
	v_add_f32_e32 v74, v4, v6
	v_mul_f32_e32 v4, v69, v63
	v_mul_f32_e32 v5, v68, v63
	s_delay_alu instid0(VALU_DEP_2) | instskip(NEXT) | instid1(VALU_DEP_1)
	v_fma_f32 v4, v68, v62, -v4
	v_dual_fmac_f32 v5, v69, v62 :: v_dual_add_f32 v70, v70, v4
	v_mul_f32_e32 v4, v69, v65
	s_delay_alu instid0(VALU_DEP_1) | instskip(NEXT) | instid1(VALU_DEP_1)
	v_fma_f32 v4, v68, v64, -v4
	v_dual_add_f32 v66, v66, v4 :: v_dual_add_f32 v71, v71, v5
	v_mul_f32_e32 v5, v68, v65
	s_delay_alu instid0(VALU_DEP_1) | instskip(NEXT) | instid1(VALU_DEP_1)
	v_fmac_f32_e32 v5, v69, v64
	v_add_f32_e32 v29, v29, v5
	ds_load_2addr_b64 v[4:7], v51 offset0:192 offset1:208
	s_wait_dscnt 0x0
	v_dual_add_f32 v67, v76, v67 :: v_dual_mul_f32 v62, v1, v5
	v_mul_f32_e32 v63, v0, v5
	s_delay_alu instid0(VALU_DEP_2) | instskip(NEXT) | instid1(VALU_DEP_2)
	v_fma_f32 v62, v0, v4, -v62
	v_fmac_f32_e32 v63, v1, v4
	s_delay_alu instid0(VALU_DEP_2) | instskip(NEXT) | instid1(VALU_DEP_2)
	v_dual_add_f32 v67, v67, v62 :: v_dual_mul_f32 v62, v1, v7
	v_add_f32_e32 v68, v72, v63
	s_delay_alu instid0(VALU_DEP_2) | instskip(SKIP_1) | instid1(VALU_DEP_1)
	v_fma_f32 v62, v0, v6, -v62
	v_mul_f32_e32 v0, v0, v7
	v_fmac_f32_e32 v0, v1, v6
	s_delay_alu instid0(VALU_DEP_3) | instskip(SKIP_4) | instid1(VALU_DEP_2)
	v_add_f32_e32 v1, v73, v62
	ds_load_b128 v[62:65], v50 offset:4144
	s_wait_dscnt 0x0
	v_dual_add_f32 v0, v74, v0 :: v_dual_mul_f32 v69, v63, v5
	v_mul_f32_e32 v5, v62, v5
	v_fma_f32 v69, v62, v4, -v69
	s_delay_alu instid0(VALU_DEP_2) | instskip(NEXT) | instid1(VALU_DEP_2)
	v_fmac_f32_e32 v5, v63, v4
	v_dual_mul_f32 v4, v63, v7 :: v_dual_add_f32 v69, v70, v69
	s_delay_alu instid0(VALU_DEP_2) | instskip(NEXT) | instid1(VALU_DEP_2)
	v_dual_add_f32 v70, v71, v5 :: v_dual_mul_f32 v5, v62, v7
	v_fma_f32 v4, v62, v6, -v4
	s_delay_alu instid0(VALU_DEP_1) | instskip(NEXT) | instid1(VALU_DEP_1)
	v_dual_fmac_f32 v5, v63, v6 :: v_dual_add_f32 v62, v66, v4
	v_add_f32_e32 v29, v29, v5
	ds_load_2addr_b64 v[4:7], v51 offset0:224 offset1:240
	s_wait_dscnt 0x0
	v_mul_f32_e32 v63, v3, v5
	v_mul_f32_e32 v66, v2, v5
	s_delay_alu instid0(VALU_DEP_2) | instskip(NEXT) | instid1(VALU_DEP_2)
	v_fma_f32 v63, v2, v4, -v63
	v_fmac_f32_e32 v66, v3, v4
	s_delay_alu instid0(VALU_DEP_2) | instskip(NEXT) | instid1(VALU_DEP_2)
	v_add_f32_e32 v63, v67, v63
	v_dual_mul_f32 v67, v3, v7 :: v_dual_add_f32 v66, v68, v66
	s_delay_alu instid0(VALU_DEP_1) | instskip(SKIP_1) | instid1(VALU_DEP_1)
	v_fma_f32 v67, v2, v6, -v67
	v_mul_f32_e32 v2, v2, v7
	v_fmac_f32_e32 v2, v3, v6
	s_delay_alu instid0(VALU_DEP_1) | instskip(SKIP_2) | instid1(VALU_DEP_2)
	v_dual_add_f32 v68, v0, v2 :: v_dual_add_f32 v67, v1, v67
	v_mul_f32_e32 v0, v65, v5
	v_mul_f32_e32 v1, v64, v5
	v_fma_f32 v0, v64, v4, -v0
	s_delay_alu instid0(VALU_DEP_2) | instskip(NEXT) | instid1(VALU_DEP_1)
	v_fmac_f32_e32 v1, v65, v4
	v_dual_add_f32 v70, v70, v1 :: v_dual_add_f32 v69, v69, v0
	v_mul_f32_e32 v0, v65, v7
	s_delay_alu instid0(VALU_DEP_1) | instskip(NEXT) | instid1(VALU_DEP_1)
	v_fma_f32 v0, v64, v6, -v0
	v_add_f32_e32 v71, v62, v0
	v_mul_f32_e32 v1, v64, v7
	s_delay_alu instid0(VALU_DEP_1) | instskip(NEXT) | instid1(VALU_DEP_1)
	v_fmac_f32_e32 v1, v65, v6
	v_add_f32_e32 v29, v29, v1
	ds_load_b128 v[0:3], v50 offset:64
	ds_load_2addr_b64 v[4:7], v59 offset1:16
	s_wait_dscnt 0x0
	v_mul_f32_e32 v62, v1, v5
	v_mul_f32_e32 v64, v0, v5
	s_delay_alu instid0(VALU_DEP_2) | instskip(NEXT) | instid1(VALU_DEP_2)
	v_fma_f32 v62, v0, v4, -v62
	v_fmac_f32_e32 v64, v1, v4
	s_delay_alu instid0(VALU_DEP_2) | instskip(SKIP_1) | instid1(VALU_DEP_3)
	v_add_f32_e32 v72, v63, v62
	v_mul_f32_e32 v62, v1, v7
	v_add_f32_e32 v66, v66, v64
	s_delay_alu instid0(VALU_DEP_2) | instskip(SKIP_1) | instid1(VALU_DEP_1)
	v_fma_f32 v62, v0, v6, -v62
	v_mul_f32_e32 v0, v0, v7
	v_fmac_f32_e32 v0, v1, v6
	s_delay_alu instid0(VALU_DEP_1) | instskip(SKIP_4) | instid1(VALU_DEP_2)
	v_dual_add_f32 v0, v68, v0 :: v_dual_add_f32 v1, v67, v62
	ds_load_b128 v[62:65], v50 offset:4160
	s_wait_dscnt 0x0
	v_mul_f32_e32 v67, v63, v5
	v_mul_f32_e32 v5, v62, v5
	v_fma_f32 v67, v62, v4, -v67
	s_delay_alu instid0(VALU_DEP_2) | instskip(SKIP_1) | instid1(VALU_DEP_2)
	v_fmac_f32_e32 v5, v63, v4
	v_mul_f32_e32 v4, v63, v7
	v_add_f32_e32 v68, v70, v5
	v_mul_f32_e32 v5, v62, v7
	s_delay_alu instid0(VALU_DEP_3) | instskip(SKIP_1) | instid1(VALU_DEP_3)
	v_fma_f32 v4, v62, v6, -v4
	v_add_f32_e32 v67, v69, v67
	v_fmac_f32_e32 v5, v63, v6
	s_delay_alu instid0(VALU_DEP_1) | instskip(SKIP_3) | instid1(VALU_DEP_1)
	v_dual_add_f32 v62, v71, v4 :: v_dual_add_f32 v29, v29, v5
	ds_load_2addr_b64 v[4:7], v59 offset0:32 offset1:48
	s_wait_dscnt 0x0
	v_mul_f32_e32 v69, v2, v5
	v_fmac_f32_e32 v69, v3, v4
	s_delay_alu instid0(VALU_DEP_1) | instskip(SKIP_2) | instid1(VALU_DEP_2)
	v_add_f32_e32 v66, v66, v69
	v_mul_f32_e32 v63, v3, v5
	v_mul_f32_e32 v69, v3, v7
	v_fma_f32 v63, v2, v4, -v63
	s_delay_alu instid0(VALU_DEP_2) | instskip(SKIP_1) | instid1(VALU_DEP_1)
	v_fma_f32 v69, v2, v6, -v69
	v_mul_f32_e32 v2, v2, v7
	v_fmac_f32_e32 v2, v3, v6
	s_delay_alu instid0(VALU_DEP_1) | instskip(SKIP_3) | instid1(VALU_DEP_3)
	v_add_f32_e32 v70, v0, v2
	v_mul_f32_e32 v0, v65, v5
	v_add_f32_e32 v69, v1, v69
	v_mul_f32_e32 v1, v64, v5
	v_fma_f32 v0, v64, v4, -v0
	s_delay_alu instid0(VALU_DEP_2) | instskip(NEXT) | instid1(VALU_DEP_2)
	v_fmac_f32_e32 v1, v65, v4
	v_dual_add_f32 v67, v67, v0 :: v_dual_mul_f32 v0, v65, v7
	s_delay_alu instid0(VALU_DEP_2) | instskip(NEXT) | instid1(VALU_DEP_2)
	v_add_f32_e32 v68, v68, v1
	v_fma_f32 v0, v64, v6, -v0
	s_delay_alu instid0(VALU_DEP_1) | instskip(SKIP_1) | instid1(VALU_DEP_1)
	v_add_f32_e32 v71, v62, v0
	v_mul_f32_e32 v1, v64, v7
	v_fmac_f32_e32 v1, v65, v6
	s_delay_alu instid0(VALU_DEP_1)
	v_add_f32_e32 v29, v29, v1
	ds_load_b128 v[0:3], v50 offset:80
	ds_load_2addr_b64 v[4:7], v59 offset0:64 offset1:80
	s_wait_dscnt 0x0
	v_dual_add_f32 v63, v72, v63 :: v_dual_mul_f32 v62, v1, v5
	v_mul_f32_e32 v64, v0, v5
	s_delay_alu instid0(VALU_DEP_2) | instskip(NEXT) | instid1(VALU_DEP_2)
	v_fma_f32 v62, v0, v4, -v62
	v_fmac_f32_e32 v64, v1, v4
	s_delay_alu instid0(VALU_DEP_2) | instskip(SKIP_1) | instid1(VALU_DEP_3)
	v_add_f32_e32 v72, v63, v62
	v_mul_f32_e32 v62, v1, v7
	v_add_f32_e32 v66, v66, v64
	s_delay_alu instid0(VALU_DEP_2) | instskip(SKIP_1) | instid1(VALU_DEP_1)
	v_fma_f32 v62, v0, v6, -v62
	v_mul_f32_e32 v0, v0, v7
	v_fmac_f32_e32 v0, v1, v6
	s_delay_alu instid0(VALU_DEP_3) | instskip(SKIP_4) | instid1(VALU_DEP_2)
	v_add_f32_e32 v1, v69, v62
	ds_load_b128 v[62:65], v50 offset:4176
	s_wait_dscnt 0x0
	v_dual_add_f32 v0, v70, v0 :: v_dual_mul_f32 v69, v63, v5
	v_mul_f32_e32 v5, v62, v5
	v_fma_f32 v69, v62, v4, -v69
	s_delay_alu instid0(VALU_DEP_2) | instskip(SKIP_1) | instid1(VALU_DEP_3)
	v_fmac_f32_e32 v5, v63, v4
	v_mul_f32_e32 v4, v63, v7
	v_add_f32_e32 v67, v67, v69
	s_delay_alu instid0(VALU_DEP_3) | instskip(NEXT) | instid1(VALU_DEP_3)
	v_dual_add_f32 v68, v68, v5 :: v_dual_mul_f32 v5, v62, v7
	v_fma_f32 v4, v62, v6, -v4
	s_delay_alu instid0(VALU_DEP_2) | instskip(NEXT) | instid1(VALU_DEP_1)
	v_fmac_f32_e32 v5, v63, v6
	v_dual_add_f32 v62, v71, v4 :: v_dual_add_f32 v29, v29, v5
	ds_load_2addr_b64 v[4:7], v59 offset0:96 offset1:112
	s_wait_dscnt 0x0
	v_mul_f32_e32 v69, v2, v5
	v_mul_f32_e32 v63, v3, v5
	s_delay_alu instid0(VALU_DEP_2) | instskip(NEXT) | instid1(VALU_DEP_2)
	v_fmac_f32_e32 v69, v3, v4
	v_fma_f32 v63, v2, v4, -v63
	s_delay_alu instid0(VALU_DEP_2) | instskip(NEXT) | instid1(VALU_DEP_1)
	v_dual_add_f32 v66, v66, v69 :: v_dual_mul_f32 v69, v3, v7
	v_fma_f32 v69, v2, v6, -v69
	v_mul_f32_e32 v2, v2, v7
	s_delay_alu instid0(VALU_DEP_1) | instskip(NEXT) | instid1(VALU_DEP_1)
	v_fmac_f32_e32 v2, v3, v6
	v_add_f32_e32 v70, v0, v2
	v_mul_f32_e32 v0, v65, v5
	s_delay_alu instid0(VALU_DEP_1) | instskip(NEXT) | instid1(VALU_DEP_1)
	v_fma_f32 v0, v64, v4, -v0
	v_dual_add_f32 v67, v67, v0 :: v_dual_mul_f32 v0, v65, v7
	s_delay_alu instid0(VALU_DEP_1) | instskip(NEXT) | instid1(VALU_DEP_1)
	v_fma_f32 v0, v64, v6, -v0
	v_add_f32_e32 v71, v62, v0
	v_add_f32_e32 v69, v1, v69
	v_mul_f32_e32 v1, v64, v5
	s_delay_alu instid0(VALU_DEP_1) | instskip(NEXT) | instid1(VALU_DEP_1)
	v_fmac_f32_e32 v1, v65, v4
	v_add_f32_e32 v68, v68, v1
	v_mul_f32_e32 v1, v64, v7
	s_delay_alu instid0(VALU_DEP_1) | instskip(NEXT) | instid1(VALU_DEP_1)
	v_fmac_f32_e32 v1, v65, v6
	v_add_f32_e32 v29, v29, v1
	ds_load_b128 v[0:3], v50 offset:96
	ds_load_2addr_b64 v[4:7], v59 offset0:128 offset1:144
	s_wait_dscnt 0x0
	v_dual_add_f32 v63, v72, v63 :: v_dual_mul_f32 v62, v1, v5
	v_mul_f32_e32 v64, v0, v5
	s_delay_alu instid0(VALU_DEP_2) | instskip(NEXT) | instid1(VALU_DEP_2)
	v_fma_f32 v62, v0, v4, -v62
	v_fmac_f32_e32 v64, v1, v4
	s_delay_alu instid0(VALU_DEP_2) | instskip(SKIP_1) | instid1(VALU_DEP_3)
	v_add_f32_e32 v72, v63, v62
	v_mul_f32_e32 v62, v1, v7
	v_add_f32_e32 v66, v66, v64
	s_delay_alu instid0(VALU_DEP_2) | instskip(SKIP_1) | instid1(VALU_DEP_1)
	v_fma_f32 v62, v0, v6, -v62
	v_mul_f32_e32 v0, v0, v7
	v_fmac_f32_e32 v0, v1, v6
	s_delay_alu instid0(VALU_DEP_3) | instskip(SKIP_4) | instid1(VALU_DEP_2)
	v_add_f32_e32 v1, v69, v62
	ds_load_b128 v[62:65], v50 offset:4192
	s_wait_dscnt 0x0
	v_dual_add_f32 v0, v70, v0 :: v_dual_mul_f32 v69, v63, v5
	v_mul_f32_e32 v5, v62, v5
	v_fma_f32 v69, v62, v4, -v69
	s_delay_alu instid0(VALU_DEP_2) | instskip(SKIP_1) | instid1(VALU_DEP_3)
	v_fmac_f32_e32 v5, v63, v4
	v_mul_f32_e32 v4, v63, v7
	v_add_f32_e32 v67, v67, v69
	s_delay_alu instid0(VALU_DEP_3) | instskip(NEXT) | instid1(VALU_DEP_3)
	v_dual_add_f32 v68, v68, v5 :: v_dual_mul_f32 v5, v62, v7
	v_fma_f32 v4, v62, v6, -v4
	s_delay_alu instid0(VALU_DEP_2) | instskip(NEXT) | instid1(VALU_DEP_1)
	v_fmac_f32_e32 v5, v63, v6
	v_dual_add_f32 v62, v71, v4 :: v_dual_add_f32 v29, v29, v5
	ds_load_2addr_b64 v[4:7], v59 offset0:160 offset1:176
	s_wait_dscnt 0x0
	v_mul_f32_e32 v69, v2, v5
	v_mul_f32_e32 v63, v3, v5
	s_delay_alu instid0(VALU_DEP_2) | instskip(NEXT) | instid1(VALU_DEP_2)
	v_fmac_f32_e32 v69, v3, v4
	v_fma_f32 v63, v2, v4, -v63
	s_delay_alu instid0(VALU_DEP_2) | instskip(NEXT) | instid1(VALU_DEP_1)
	v_dual_add_f32 v66, v66, v69 :: v_dual_mul_f32 v69, v3, v7
	v_fma_f32 v69, v2, v6, -v69
	v_mul_f32_e32 v2, v2, v7
	s_delay_alu instid0(VALU_DEP_1) | instskip(NEXT) | instid1(VALU_DEP_1)
	v_fmac_f32_e32 v2, v3, v6
	v_add_f32_e32 v70, v0, v2
	v_mul_f32_e32 v0, v65, v5
	s_delay_alu instid0(VALU_DEP_1) | instskip(NEXT) | instid1(VALU_DEP_1)
	v_fma_f32 v0, v64, v4, -v0
	v_dual_add_f32 v67, v67, v0 :: v_dual_mul_f32 v0, v65, v7
	s_delay_alu instid0(VALU_DEP_1) | instskip(NEXT) | instid1(VALU_DEP_1)
	v_fma_f32 v0, v64, v6, -v0
	v_add_f32_e32 v71, v62, v0
	v_add_f32_e32 v69, v1, v69
	v_mul_f32_e32 v1, v64, v5
	s_delay_alu instid0(VALU_DEP_1) | instskip(NEXT) | instid1(VALU_DEP_1)
	v_fmac_f32_e32 v1, v65, v4
	v_add_f32_e32 v68, v68, v1
	v_mul_f32_e32 v1, v64, v7
	s_delay_alu instid0(VALU_DEP_1) | instskip(NEXT) | instid1(VALU_DEP_1)
	v_fmac_f32_e32 v1, v65, v6
	v_add_f32_e32 v29, v29, v1
	ds_load_b128 v[0:3], v50 offset:112
	ds_load_2addr_b64 v[4:7], v59 offset0:192 offset1:208
	s_wait_dscnt 0x0
	v_dual_add_f32 v63, v72, v63 :: v_dual_mul_f32 v62, v1, v5
	v_mul_f32_e32 v64, v0, v5
	s_delay_alu instid0(VALU_DEP_2) | instskip(NEXT) | instid1(VALU_DEP_2)
	v_fma_f32 v62, v0, v4, -v62
	v_fmac_f32_e32 v64, v1, v4
	s_delay_alu instid0(VALU_DEP_2) | instskip(SKIP_1) | instid1(VALU_DEP_3)
	v_add_f32_e32 v72, v63, v62
	v_mul_f32_e32 v62, v1, v7
	v_add_f32_e32 v66, v66, v64
	s_delay_alu instid0(VALU_DEP_2) | instskip(SKIP_1) | instid1(VALU_DEP_1)
	v_fma_f32 v62, v0, v6, -v62
	v_mul_f32_e32 v0, v0, v7
	v_fmac_f32_e32 v0, v1, v6
	s_delay_alu instid0(VALU_DEP_3) | instskip(SKIP_4) | instid1(VALU_DEP_2)
	v_add_f32_e32 v1, v69, v62
	ds_load_b128 v[62:65], v50 offset:4208
	s_wait_dscnt 0x0
	v_dual_add_f32 v0, v70, v0 :: v_dual_mul_f32 v69, v63, v5
	v_mul_f32_e32 v5, v62, v5
	v_fma_f32 v69, v62, v4, -v69
	s_delay_alu instid0(VALU_DEP_2) | instskip(SKIP_1) | instid1(VALU_DEP_3)
	v_fmac_f32_e32 v5, v63, v4
	v_mul_f32_e32 v4, v63, v7
	v_add_f32_e32 v67, v67, v69
	s_delay_alu instid0(VALU_DEP_3) | instskip(NEXT) | instid1(VALU_DEP_3)
	v_dual_add_f32 v68, v68, v5 :: v_dual_mul_f32 v5, v62, v7
	v_fma_f32 v4, v62, v6, -v4
	s_delay_alu instid0(VALU_DEP_2) | instskip(NEXT) | instid1(VALU_DEP_1)
	v_fmac_f32_e32 v5, v63, v6
	v_dual_add_f32 v62, v71, v4 :: v_dual_add_f32 v29, v29, v5
	ds_load_2addr_b64 v[4:7], v59 offset0:224 offset1:240
	s_wait_dscnt 0x0
	v_mul_f32_e32 v69, v2, v5
	v_mul_f32_e32 v63, v3, v5
	s_delay_alu instid0(VALU_DEP_2) | instskip(NEXT) | instid1(VALU_DEP_2)
	v_fmac_f32_e32 v69, v3, v4
	v_fma_f32 v63, v2, v4, -v63
	s_delay_alu instid0(VALU_DEP_2) | instskip(NEXT) | instid1(VALU_DEP_1)
	v_dual_add_f32 v66, v66, v69 :: v_dual_mul_f32 v69, v3, v7
	v_fma_f32 v69, v2, v6, -v69
	s_delay_alu instid0(VALU_DEP_1) | instskip(NEXT) | instid1(VALU_DEP_1)
	v_dual_mul_f32 v2, v2, v7 :: v_dual_add_f32 v69, v1, v69
	v_dual_fmac_f32 v2, v3, v6 :: v_dual_mul_f32 v1, v64, v5
	s_delay_alu instid0(VALU_DEP_1) | instskip(SKIP_1) | instid1(VALU_DEP_3)
	v_add_f32_e32 v70, v0, v2
	v_mul_f32_e32 v0, v65, v5
	v_fmac_f32_e32 v1, v65, v4
	s_delay_alu instid0(VALU_DEP_2) | instskip(NEXT) | instid1(VALU_DEP_2)
	v_fma_f32 v0, v64, v4, -v0
	v_add_f32_e32 v68, v68, v1
	v_mul_f32_e32 v1, v64, v7
	s_delay_alu instid0(VALU_DEP_3) | instskip(NEXT) | instid1(VALU_DEP_2)
	v_dual_add_f32 v67, v67, v0 :: v_dual_mul_f32 v0, v65, v7
	v_fmac_f32_e32 v1, v65, v6
	s_delay_alu instid0(VALU_DEP_2) | instskip(NEXT) | instid1(VALU_DEP_2)
	v_fma_f32 v0, v64, v6, -v0
	v_add_f32_e32 v29, v29, v1
	s_delay_alu instid0(VALU_DEP_2)
	v_add_f32_e32 v71, v62, v0
	ds_load_b128 v[0:3], v50 offset:128
	ds_load_2addr_b64 v[4:7], v60 offset1:16
	s_wait_dscnt 0x0
	v_mul_f32_e32 v64, v0, v5
	v_mul_f32_e32 v62, v1, v5
	s_delay_alu instid0(VALU_DEP_2) | instskip(NEXT) | instid1(VALU_DEP_2)
	v_fmac_f32_e32 v64, v1, v4
	v_fma_f32 v62, v0, v4, -v62
	s_delay_alu instid0(VALU_DEP_2) | instskip(NEXT) | instid1(VALU_DEP_1)
	v_dual_add_f32 v66, v66, v64 :: v_dual_add_f32 v63, v72, v63
	v_add_f32_e32 v72, v63, v62
	v_mul_f32_e32 v62, v1, v7
	s_delay_alu instid0(VALU_DEP_1) | instskip(SKIP_1) | instid1(VALU_DEP_1)
	v_fma_f32 v62, v0, v6, -v62
	v_mul_f32_e32 v0, v0, v7
	v_fmac_f32_e32 v0, v1, v6
	s_delay_alu instid0(VALU_DEP_3) | instskip(SKIP_4) | instid1(VALU_DEP_2)
	v_add_f32_e32 v1, v69, v62
	ds_load_b128 v[62:65], v50 offset:4224
	s_wait_dscnt 0x0
	v_dual_add_f32 v0, v70, v0 :: v_dual_mul_f32 v69, v63, v5
	v_mul_f32_e32 v5, v62, v5
	v_fma_f32 v69, v62, v4, -v69
	s_delay_alu instid0(VALU_DEP_2) | instskip(SKIP_1) | instid1(VALU_DEP_3)
	v_fmac_f32_e32 v5, v63, v4
	v_mul_f32_e32 v4, v63, v7
	v_add_f32_e32 v67, v67, v69
	s_delay_alu instid0(VALU_DEP_3) | instskip(NEXT) | instid1(VALU_DEP_3)
	v_dual_add_f32 v68, v68, v5 :: v_dual_mul_f32 v5, v62, v7
	v_fma_f32 v4, v62, v6, -v4
	s_delay_alu instid0(VALU_DEP_2) | instskip(NEXT) | instid1(VALU_DEP_1)
	v_fmac_f32_e32 v5, v63, v6
	v_dual_add_f32 v62, v71, v4 :: v_dual_add_f32 v29, v29, v5
	ds_load_2addr_b64 v[4:7], v60 offset0:32 offset1:48
	s_wait_dscnt 0x0
	v_mul_f32_e32 v69, v2, v5
	v_mul_f32_e32 v63, v3, v5
	s_delay_alu instid0(VALU_DEP_2) | instskip(NEXT) | instid1(VALU_DEP_2)
	v_fmac_f32_e32 v69, v3, v4
	v_fma_f32 v63, v2, v4, -v63
	s_delay_alu instid0(VALU_DEP_2) | instskip(NEXT) | instid1(VALU_DEP_2)
	v_dual_add_f32 v66, v66, v69 :: v_dual_mul_f32 v69, v3, v7
	v_add_f32_e32 v63, v72, v63
	s_delay_alu instid0(VALU_DEP_2) | instskip(NEXT) | instid1(VALU_DEP_1)
	v_fma_f32 v69, v2, v6, -v69
	v_dual_mul_f32 v2, v2, v7 :: v_dual_add_f32 v69, v1, v69
	s_delay_alu instid0(VALU_DEP_1) | instskip(NEXT) | instid1(VALU_DEP_1)
	v_dual_fmac_f32 v2, v3, v6 :: v_dual_mul_f32 v1, v64, v5
	v_add_f32_e32 v70, v0, v2
	v_mul_f32_e32 v0, v65, v5
	s_delay_alu instid0(VALU_DEP_3) | instskip(NEXT) | instid1(VALU_DEP_2)
	v_fmac_f32_e32 v1, v65, v4
	v_fma_f32 v0, v64, v4, -v0
	s_delay_alu instid0(VALU_DEP_2) | instskip(SKIP_1) | instid1(VALU_DEP_3)
	v_add_f32_e32 v68, v68, v1
	v_mul_f32_e32 v1, v64, v7
	v_dual_add_f32 v67, v67, v0 :: v_dual_mul_f32 v0, v65, v7
	s_delay_alu instid0(VALU_DEP_2) | instskip(NEXT) | instid1(VALU_DEP_2)
	v_fmac_f32_e32 v1, v65, v6
	v_fma_f32 v0, v64, v6, -v0
	s_delay_alu instid0(VALU_DEP_2) | instskip(NEXT) | instid1(VALU_DEP_2)
	v_add_f32_e32 v29, v29, v1
	v_add_f32_e32 v71, v62, v0
	ds_load_b128 v[0:3], v50 offset:144
	ds_load_2addr_b64 v[4:7], v60 offset0:64 offset1:80
	s_wait_dscnt 0x0
	v_mul_f32_e32 v62, v1, v5
	v_mul_f32_e32 v64, v0, v5
	s_delay_alu instid0(VALU_DEP_2) | instskip(NEXT) | instid1(VALU_DEP_2)
	v_fma_f32 v62, v0, v4, -v62
	v_fmac_f32_e32 v64, v1, v4
	s_delay_alu instid0(VALU_DEP_2) | instskip(SKIP_1) | instid1(VALU_DEP_3)
	v_add_f32_e32 v72, v63, v62
	v_mul_f32_e32 v62, v1, v7
	v_add_f32_e32 v66, v66, v64
	s_delay_alu instid0(VALU_DEP_2) | instskip(SKIP_1) | instid1(VALU_DEP_1)
	v_fma_f32 v62, v0, v6, -v62
	v_mul_f32_e32 v0, v0, v7
	v_fmac_f32_e32 v0, v1, v6
	s_delay_alu instid0(VALU_DEP_3) | instskip(SKIP_4) | instid1(VALU_DEP_2)
	v_add_f32_e32 v1, v69, v62
	ds_load_b128 v[62:65], v50 offset:4240
	s_wait_dscnt 0x0
	v_dual_add_f32 v0, v70, v0 :: v_dual_mul_f32 v69, v63, v5
	v_mul_f32_e32 v5, v62, v5
	v_fma_f32 v69, v62, v4, -v69
	s_delay_alu instid0(VALU_DEP_2) | instskip(SKIP_1) | instid1(VALU_DEP_3)
	v_fmac_f32_e32 v5, v63, v4
	v_mul_f32_e32 v4, v63, v7
	v_add_f32_e32 v67, v67, v69
	s_delay_alu instid0(VALU_DEP_3) | instskip(NEXT) | instid1(VALU_DEP_3)
	v_dual_add_f32 v68, v68, v5 :: v_dual_mul_f32 v5, v62, v7
	v_fma_f32 v4, v62, v6, -v4
	s_delay_alu instid0(VALU_DEP_2) | instskip(NEXT) | instid1(VALU_DEP_1)
	v_fmac_f32_e32 v5, v63, v6
	v_dual_add_f32 v62, v71, v4 :: v_dual_add_f32 v29, v29, v5
	ds_load_2addr_b64 v[4:7], v60 offset0:96 offset1:112
	s_wait_dscnt 0x0
	v_mul_f32_e32 v69, v2, v5
	v_mul_f32_e32 v63, v3, v5
	s_delay_alu instid0(VALU_DEP_2) | instskip(NEXT) | instid1(VALU_DEP_2)
	v_fmac_f32_e32 v69, v3, v4
	v_fma_f32 v63, v2, v4, -v63
	s_delay_alu instid0(VALU_DEP_2) | instskip(NEXT) | instid1(VALU_DEP_2)
	v_dual_add_f32 v66, v66, v69 :: v_dual_mul_f32 v69, v3, v7
	v_add_f32_e32 v63, v72, v63
	s_delay_alu instid0(VALU_DEP_2) | instskip(NEXT) | instid1(VALU_DEP_1)
	v_fma_f32 v69, v2, v6, -v69
	v_dual_mul_f32 v2, v2, v7 :: v_dual_add_f32 v69, v1, v69
	s_delay_alu instid0(VALU_DEP_1) | instskip(NEXT) | instid1(VALU_DEP_1)
	v_dual_fmac_f32 v2, v3, v6 :: v_dual_mul_f32 v1, v64, v5
	v_add_f32_e32 v70, v0, v2
	v_mul_f32_e32 v0, v65, v5
	s_delay_alu instid0(VALU_DEP_3) | instskip(NEXT) | instid1(VALU_DEP_2)
	v_fmac_f32_e32 v1, v65, v4
	v_fma_f32 v0, v64, v4, -v0
	s_delay_alu instid0(VALU_DEP_2) | instskip(SKIP_1) | instid1(VALU_DEP_3)
	v_add_f32_e32 v68, v68, v1
	v_mul_f32_e32 v1, v64, v7
	v_dual_add_f32 v67, v67, v0 :: v_dual_mul_f32 v0, v65, v7
	s_delay_alu instid0(VALU_DEP_2) | instskip(NEXT) | instid1(VALU_DEP_2)
	v_fmac_f32_e32 v1, v65, v6
	v_fma_f32 v0, v64, v6, -v0
	s_delay_alu instid0(VALU_DEP_2) | instskip(NEXT) | instid1(VALU_DEP_2)
	v_add_f32_e32 v29, v29, v1
	v_add_f32_e32 v71, v62, v0
	ds_load_b128 v[0:3], v50 offset:160
	ds_load_2addr_b64 v[4:7], v60 offset0:128 offset1:144
	s_wait_dscnt 0x0
	v_mul_f32_e32 v62, v1, v5
	v_mul_f32_e32 v64, v0, v5
	s_delay_alu instid0(VALU_DEP_2) | instskip(NEXT) | instid1(VALU_DEP_2)
	v_fma_f32 v62, v0, v4, -v62
	v_fmac_f32_e32 v64, v1, v4
	s_delay_alu instid0(VALU_DEP_2) | instskip(SKIP_1) | instid1(VALU_DEP_3)
	v_add_f32_e32 v72, v63, v62
	v_mul_f32_e32 v62, v1, v7
	v_add_f32_e32 v66, v66, v64
	s_delay_alu instid0(VALU_DEP_2) | instskip(SKIP_1) | instid1(VALU_DEP_1)
	;; [unrolled: 63-line block ×3, first 2 shown]
	v_fma_f32 v62, v0, v6, -v62
	v_mul_f32_e32 v0, v0, v7
	v_fmac_f32_e32 v0, v1, v6
	s_delay_alu instid0(VALU_DEP_3) | instskip(SKIP_4) | instid1(VALU_DEP_2)
	v_add_f32_e32 v1, v69, v62
	ds_load_b128 v[62:65], v50 offset:4272
	s_wait_dscnt 0x0
	v_dual_add_f32 v0, v70, v0 :: v_dual_mul_f32 v69, v63, v5
	v_mul_f32_e32 v5, v62, v5
	v_fma_f32 v69, v62, v4, -v69
	s_delay_alu instid0(VALU_DEP_2) | instskip(SKIP_1) | instid1(VALU_DEP_3)
	v_fmac_f32_e32 v5, v63, v4
	v_mul_f32_e32 v4, v63, v7
	v_add_f32_e32 v67, v67, v69
	s_delay_alu instid0(VALU_DEP_3) | instskip(NEXT) | instid1(VALU_DEP_3)
	v_dual_add_f32 v68, v68, v5 :: v_dual_mul_f32 v5, v62, v7
	v_fma_f32 v4, v62, v6, -v4
	s_delay_alu instid0(VALU_DEP_2) | instskip(NEXT) | instid1(VALU_DEP_1)
	v_fmac_f32_e32 v5, v63, v6
	v_dual_add_f32 v62, v71, v4 :: v_dual_add_f32 v29, v29, v5
	ds_load_2addr_b64 v[4:7], v60 offset0:224 offset1:240
	s_wait_dscnt 0x0
	v_mul_f32_e32 v69, v2, v5
	v_mul_f32_e32 v63, v3, v5
	s_delay_alu instid0(VALU_DEP_2) | instskip(NEXT) | instid1(VALU_DEP_2)
	v_fmac_f32_e32 v69, v3, v4
	v_fma_f32 v63, v2, v4, -v63
	s_delay_alu instid0(VALU_DEP_2) | instskip(NEXT) | instid1(VALU_DEP_2)
	v_dual_add_f32 v66, v66, v69 :: v_dual_mul_f32 v69, v3, v7
	v_add_f32_e32 v63, v72, v63
	s_delay_alu instid0(VALU_DEP_2) | instskip(NEXT) | instid1(VALU_DEP_1)
	v_fma_f32 v69, v2, v6, -v69
	v_dual_mul_f32 v2, v2, v7 :: v_dual_add_f32 v69, v1, v69
	s_delay_alu instid0(VALU_DEP_1) | instskip(NEXT) | instid1(VALU_DEP_1)
	v_dual_fmac_f32 v2, v3, v6 :: v_dual_mul_f32 v1, v64, v5
	v_add_f32_e32 v70, v0, v2
	v_mul_f32_e32 v0, v65, v5
	s_delay_alu instid0(VALU_DEP_3) | instskip(NEXT) | instid1(VALU_DEP_2)
	v_fmac_f32_e32 v1, v65, v4
	v_fma_f32 v0, v64, v4, -v0
	s_delay_alu instid0(VALU_DEP_2) | instskip(SKIP_1) | instid1(VALU_DEP_3)
	v_add_f32_e32 v68, v68, v1
	v_mul_f32_e32 v1, v64, v7
	v_dual_add_f32 v67, v67, v0 :: v_dual_mul_f32 v0, v65, v7
	s_delay_alu instid0(VALU_DEP_2) | instskip(NEXT) | instid1(VALU_DEP_2)
	v_fmac_f32_e32 v1, v65, v6
	v_fma_f32 v0, v64, v6, -v0
	s_delay_alu instid0(VALU_DEP_2) | instskip(NEXT) | instid1(VALU_DEP_2)
	v_add_f32_e32 v29, v29, v1
	v_add_f32_e32 v71, v62, v0
	ds_load_b128 v[0:3], v50 offset:192
	ds_load_2addr_b64 v[4:7], v61 offset1:16
	s_wait_dscnt 0x0
	v_mul_f32_e32 v62, v1, v5
	v_mul_f32_e32 v64, v0, v5
	s_delay_alu instid0(VALU_DEP_2) | instskip(NEXT) | instid1(VALU_DEP_2)
	v_fma_f32 v62, v0, v4, -v62
	v_fmac_f32_e32 v64, v1, v4
	s_delay_alu instid0(VALU_DEP_2) | instskip(SKIP_1) | instid1(VALU_DEP_3)
	v_add_f32_e32 v72, v63, v62
	v_mul_f32_e32 v62, v1, v7
	v_add_f32_e32 v66, v66, v64
	s_delay_alu instid0(VALU_DEP_2) | instskip(SKIP_1) | instid1(VALU_DEP_1)
	v_fma_f32 v62, v0, v6, -v62
	v_mul_f32_e32 v0, v0, v7
	v_fmac_f32_e32 v0, v1, v6
	s_delay_alu instid0(VALU_DEP_3) | instskip(SKIP_4) | instid1(VALU_DEP_2)
	v_add_f32_e32 v1, v69, v62
	ds_load_b128 v[62:65], v50 offset:4288
	s_wait_dscnt 0x0
	v_dual_add_f32 v0, v70, v0 :: v_dual_mul_f32 v69, v63, v5
	v_mul_f32_e32 v5, v62, v5
	v_fma_f32 v69, v62, v4, -v69
	s_delay_alu instid0(VALU_DEP_2) | instskip(SKIP_1) | instid1(VALU_DEP_3)
	v_fmac_f32_e32 v5, v63, v4
	v_mul_f32_e32 v4, v63, v7
	v_add_f32_e32 v67, v67, v69
	s_delay_alu instid0(VALU_DEP_3) | instskip(NEXT) | instid1(VALU_DEP_3)
	v_dual_add_f32 v68, v68, v5 :: v_dual_mul_f32 v5, v62, v7
	v_fma_f32 v4, v62, v6, -v4
	s_delay_alu instid0(VALU_DEP_2) | instskip(NEXT) | instid1(VALU_DEP_1)
	v_fmac_f32_e32 v5, v63, v6
	v_dual_add_f32 v62, v71, v4 :: v_dual_add_f32 v29, v29, v5
	ds_load_2addr_b64 v[4:7], v61 offset0:32 offset1:48
	s_wait_dscnt 0x0
	v_mul_f32_e32 v69, v2, v5
	v_mul_f32_e32 v63, v3, v5
	s_delay_alu instid0(VALU_DEP_2) | instskip(NEXT) | instid1(VALU_DEP_2)
	v_fmac_f32_e32 v69, v3, v4
	v_fma_f32 v63, v2, v4, -v63
	s_delay_alu instid0(VALU_DEP_2) | instskip(NEXT) | instid1(VALU_DEP_2)
	v_dual_add_f32 v66, v66, v69 :: v_dual_mul_f32 v69, v3, v7
	v_add_f32_e32 v63, v72, v63
	s_delay_alu instid0(VALU_DEP_2) | instskip(NEXT) | instid1(VALU_DEP_1)
	v_fma_f32 v69, v2, v6, -v69
	v_dual_mul_f32 v2, v2, v7 :: v_dual_add_f32 v69, v1, v69
	s_delay_alu instid0(VALU_DEP_1) | instskip(NEXT) | instid1(VALU_DEP_1)
	v_dual_fmac_f32 v2, v3, v6 :: v_dual_mul_f32 v1, v64, v5
	v_add_f32_e32 v70, v0, v2
	v_mul_f32_e32 v0, v65, v5
	s_delay_alu instid0(VALU_DEP_3) | instskip(NEXT) | instid1(VALU_DEP_2)
	v_fmac_f32_e32 v1, v65, v4
	v_fma_f32 v0, v64, v4, -v0
	s_delay_alu instid0(VALU_DEP_2) | instskip(SKIP_1) | instid1(VALU_DEP_3)
	v_add_f32_e32 v68, v68, v1
	v_mul_f32_e32 v1, v64, v7
	v_dual_add_f32 v67, v67, v0 :: v_dual_mul_f32 v0, v65, v7
	s_delay_alu instid0(VALU_DEP_2) | instskip(NEXT) | instid1(VALU_DEP_2)
	v_fmac_f32_e32 v1, v65, v6
	v_fma_f32 v0, v64, v6, -v0
	s_delay_alu instid0(VALU_DEP_2) | instskip(NEXT) | instid1(VALU_DEP_2)
	v_add_f32_e32 v29, v29, v1
	v_add_f32_e32 v71, v62, v0
	ds_load_b128 v[0:3], v50 offset:208
	ds_load_2addr_b64 v[4:7], v61 offset0:64 offset1:80
	s_wait_dscnt 0x0
	v_mul_f32_e32 v62, v1, v5
	v_mul_f32_e32 v64, v0, v5
	s_delay_alu instid0(VALU_DEP_2) | instskip(NEXT) | instid1(VALU_DEP_2)
	v_fma_f32 v62, v0, v4, -v62
	v_fmac_f32_e32 v64, v1, v4
	s_delay_alu instid0(VALU_DEP_2) | instskip(SKIP_1) | instid1(VALU_DEP_3)
	v_add_f32_e32 v72, v63, v62
	v_mul_f32_e32 v62, v1, v7
	v_add_f32_e32 v66, v66, v64
	s_delay_alu instid0(VALU_DEP_2) | instskip(SKIP_1) | instid1(VALU_DEP_1)
	v_fma_f32 v62, v0, v6, -v62
	v_mul_f32_e32 v0, v0, v7
	v_fmac_f32_e32 v0, v1, v6
	s_delay_alu instid0(VALU_DEP_3) | instskip(SKIP_4) | instid1(VALU_DEP_2)
	v_add_f32_e32 v1, v69, v62
	ds_load_b128 v[62:65], v50 offset:4304
	s_wait_dscnt 0x0
	v_dual_add_f32 v0, v70, v0 :: v_dual_mul_f32 v69, v63, v5
	v_mul_f32_e32 v5, v62, v5
	v_fma_f32 v69, v62, v4, -v69
	s_delay_alu instid0(VALU_DEP_2) | instskip(SKIP_1) | instid1(VALU_DEP_3)
	v_fmac_f32_e32 v5, v63, v4
	v_mul_f32_e32 v4, v63, v7
	v_add_f32_e32 v67, v67, v69
	s_delay_alu instid0(VALU_DEP_3) | instskip(NEXT) | instid1(VALU_DEP_3)
	v_dual_add_f32 v68, v68, v5 :: v_dual_mul_f32 v5, v62, v7
	v_fma_f32 v4, v62, v6, -v4
	s_delay_alu instid0(VALU_DEP_2) | instskip(NEXT) | instid1(VALU_DEP_1)
	v_fmac_f32_e32 v5, v63, v6
	v_dual_add_f32 v62, v71, v4 :: v_dual_add_f32 v29, v29, v5
	ds_load_2addr_b64 v[4:7], v61 offset0:96 offset1:112
	s_wait_dscnt 0x0
	v_mul_f32_e32 v69, v2, v5
	v_mul_f32_e32 v63, v3, v5
	s_delay_alu instid0(VALU_DEP_2) | instskip(NEXT) | instid1(VALU_DEP_2)
	v_fmac_f32_e32 v69, v3, v4
	v_fma_f32 v63, v2, v4, -v63
	s_delay_alu instid0(VALU_DEP_2) | instskip(NEXT) | instid1(VALU_DEP_2)
	v_dual_add_f32 v66, v66, v69 :: v_dual_mul_f32 v69, v3, v7
	v_add_f32_e32 v63, v72, v63
	s_delay_alu instid0(VALU_DEP_2) | instskip(NEXT) | instid1(VALU_DEP_1)
	v_fma_f32 v69, v2, v6, -v69
	v_dual_mul_f32 v2, v2, v7 :: v_dual_add_f32 v69, v1, v69
	s_delay_alu instid0(VALU_DEP_1) | instskip(NEXT) | instid1(VALU_DEP_1)
	v_dual_fmac_f32 v2, v3, v6 :: v_dual_mul_f32 v1, v64, v5
	v_add_f32_e32 v70, v0, v2
	v_mul_f32_e32 v0, v65, v5
	s_delay_alu instid0(VALU_DEP_3) | instskip(NEXT) | instid1(VALU_DEP_2)
	v_fmac_f32_e32 v1, v65, v4
	v_fma_f32 v0, v64, v4, -v0
	s_delay_alu instid0(VALU_DEP_2) | instskip(SKIP_1) | instid1(VALU_DEP_3)
	v_add_f32_e32 v68, v68, v1
	v_mul_f32_e32 v1, v64, v7
	v_dual_add_f32 v67, v67, v0 :: v_dual_mul_f32 v0, v65, v7
	s_delay_alu instid0(VALU_DEP_2) | instskip(NEXT) | instid1(VALU_DEP_2)
	v_fmac_f32_e32 v1, v65, v6
	v_fma_f32 v0, v64, v6, -v0
	s_delay_alu instid0(VALU_DEP_2) | instskip(NEXT) | instid1(VALU_DEP_2)
	v_add_f32_e32 v29, v29, v1
	v_add_f32_e32 v71, v62, v0
	ds_load_b128 v[0:3], v50 offset:224
	ds_load_2addr_b64 v[4:7], v61 offset0:128 offset1:144
	s_wait_dscnt 0x0
	v_mul_f32_e32 v62, v1, v5
	v_mul_f32_e32 v64, v0, v5
	s_delay_alu instid0(VALU_DEP_2) | instskip(NEXT) | instid1(VALU_DEP_2)
	v_fma_f32 v62, v0, v4, -v62
	v_fmac_f32_e32 v64, v1, v4
	s_delay_alu instid0(VALU_DEP_2) | instskip(SKIP_1) | instid1(VALU_DEP_3)
	v_add_f32_e32 v72, v63, v62
	v_mul_f32_e32 v62, v1, v7
	v_add_f32_e32 v66, v66, v64
	s_delay_alu instid0(VALU_DEP_2) | instskip(SKIP_1) | instid1(VALU_DEP_1)
	v_fma_f32 v62, v0, v6, -v62
	v_mul_f32_e32 v0, v0, v7
	v_fmac_f32_e32 v0, v1, v6
	s_delay_alu instid0(VALU_DEP_3) | instskip(SKIP_4) | instid1(VALU_DEP_2)
	v_add_f32_e32 v1, v69, v62
	ds_load_b128 v[62:65], v50 offset:4320
	s_wait_dscnt 0x0
	v_dual_add_f32 v0, v70, v0 :: v_dual_mul_f32 v69, v63, v5
	v_mul_f32_e32 v5, v62, v5
	v_fma_f32 v69, v62, v4, -v69
	s_delay_alu instid0(VALU_DEP_2) | instskip(SKIP_1) | instid1(VALU_DEP_3)
	v_fmac_f32_e32 v5, v63, v4
	v_mul_f32_e32 v4, v63, v7
	v_add_f32_e32 v67, v67, v69
	s_delay_alu instid0(VALU_DEP_3) | instskip(NEXT) | instid1(VALU_DEP_3)
	v_dual_add_f32 v68, v68, v5 :: v_dual_mul_f32 v5, v62, v7
	v_fma_f32 v4, v62, v6, -v4
	s_delay_alu instid0(VALU_DEP_2) | instskip(NEXT) | instid1(VALU_DEP_1)
	v_fmac_f32_e32 v5, v63, v6
	v_dual_add_f32 v62, v71, v4 :: v_dual_add_f32 v29, v29, v5
	ds_load_2addr_b64 v[4:7], v61 offset0:160 offset1:176
	s_wait_dscnt 0x0
	v_mul_f32_e32 v69, v2, v5
	v_mul_f32_e32 v63, v3, v5
	s_delay_alu instid0(VALU_DEP_2) | instskip(NEXT) | instid1(VALU_DEP_2)
	v_fmac_f32_e32 v69, v3, v4
	v_fma_f32 v63, v2, v4, -v63
	s_delay_alu instid0(VALU_DEP_2) | instskip(NEXT) | instid1(VALU_DEP_2)
	v_dual_add_f32 v66, v66, v69 :: v_dual_mul_f32 v69, v3, v7
	v_add_f32_e32 v63, v72, v63
	s_delay_alu instid0(VALU_DEP_2) | instskip(NEXT) | instid1(VALU_DEP_1)
	v_fma_f32 v69, v2, v6, -v69
	v_dual_mul_f32 v2, v2, v7 :: v_dual_add_f32 v69, v1, v69
	s_delay_alu instid0(VALU_DEP_1) | instskip(NEXT) | instid1(VALU_DEP_1)
	v_dual_fmac_f32 v2, v3, v6 :: v_dual_mul_f32 v1, v64, v5
	v_add_f32_e32 v70, v0, v2
	v_mul_f32_e32 v0, v65, v5
	s_delay_alu instid0(VALU_DEP_3) | instskip(NEXT) | instid1(VALU_DEP_2)
	v_fmac_f32_e32 v1, v65, v4
	v_fma_f32 v0, v64, v4, -v0
	s_delay_alu instid0(VALU_DEP_2) | instskip(SKIP_1) | instid1(VALU_DEP_3)
	v_add_f32_e32 v72, v68, v1
	v_mul_f32_e32 v1, v64, v7
	v_dual_add_f32 v71, v67, v0 :: v_dual_mul_f32 v0, v65, v7
	s_delay_alu instid0(VALU_DEP_2) | instskip(NEXT) | instid1(VALU_DEP_2)
	v_fmac_f32_e32 v1, v65, v6
	v_fma_f32 v0, v64, v6, -v0
	s_delay_alu instid0(VALU_DEP_1)
	v_dual_add_f32 v29, v29, v1 :: v_dual_add_f32 v62, v62, v0
	ds_load_b128 v[0:3], v50 offset:240
	ds_load_2addr_b64 v[4:7], v61 offset0:192 offset1:208
	s_wait_dscnt 0x0
	v_mul_f32_e32 v64, v1, v5
	v_mul_f32_e32 v65, v0, v5
	s_delay_alu instid0(VALU_DEP_2) | instskip(NEXT) | instid1(VALU_DEP_2)
	v_fma_f32 v64, v0, v4, -v64
	v_fmac_f32_e32 v65, v1, v4
	s_delay_alu instid0(VALU_DEP_1) | instskip(SKIP_1) | instid1(VALU_DEP_1)
	v_dual_add_f32 v63, v63, v64 :: v_dual_add_f32 v64, v66, v65
	v_mul_f32_e32 v65, v1, v7
	v_fma_f32 v65, v0, v6, -v65
	v_mul_f32_e32 v0, v0, v7
	s_delay_alu instid0(VALU_DEP_1) | instskip(NEXT) | instid1(VALU_DEP_1)
	v_fmac_f32_e32 v0, v1, v6
	v_dual_add_f32 v1, v69, v65 :: v_dual_add_f32 v0, v70, v0
	ds_load_b128 v[67:70], v50 offset:4336
	s_wait_dscnt 0x0
	v_mul_f32_e32 v65, v68, v5
	v_mul_f32_e32 v5, v67, v5
	s_delay_alu instid0(VALU_DEP_2) | instskip(NEXT) | instid1(VALU_DEP_2)
	v_fma_f32 v65, v67, v4, -v65
	v_fmac_f32_e32 v5, v68, v4
	s_delay_alu instid0(VALU_DEP_2) | instskip(NEXT) | instid1(VALU_DEP_2)
	v_dual_mul_f32 v4, v68, v7 :: v_dual_add_f32 v71, v71, v65
	v_dual_add_f32 v72, v72, v5 :: v_dual_mul_f32 v5, v67, v7
	s_delay_alu instid0(VALU_DEP_2) | instskip(NEXT) | instid1(VALU_DEP_1)
	v_fma_f32 v4, v67, v6, -v4
	v_dual_fmac_f32 v5, v68, v6 :: v_dual_add_f32 v62, v62, v4
	s_delay_alu instid0(VALU_DEP_1)
	v_add_f32_e32 v29, v29, v5
	ds_load_2addr_b64 v[4:7], v61 offset0:224 offset1:240
	s_wait_loadcnt_dscnt 0x0
	s_barrier_signal -1
	s_barrier_wait -1
	global_inv scope:SCOPE_SE
	v_mul_f32_e32 v65, v3, v5
	v_mul_f32_e32 v66, v2, v5
	s_delay_alu instid0(VALU_DEP_2) | instskip(NEXT) | instid1(VALU_DEP_2)
	v_fma_f32 v65, v2, v4, -v65
	v_fmac_f32_e32 v66, v3, v4
	s_delay_alu instid0(VALU_DEP_2) | instskip(NEXT) | instid1(VALU_DEP_2)
	v_add_f32_e32 v67, v63, v65
	v_dual_mul_f32 v63, v3, v7 :: v_dual_add_f32 v68, v64, v66
	s_delay_alu instid0(VALU_DEP_1) | instskip(SKIP_1) | instid1(VALU_DEP_1)
	v_fma_f32 v63, v2, v6, -v63
	v_mul_f32_e32 v2, v2, v7
	v_dual_add_f32 v65, v1, v63 :: v_dual_fmac_f32 v2, v3, v6
	s_delay_alu instid0(VALU_DEP_1) | instskip(SKIP_1) | instid1(VALU_DEP_2)
	v_dual_mul_f32 v1, v69, v5 :: v_dual_add_f32 v66, v0, v2
	v_mul_f32_e32 v0, v70, v5
	v_fmac_f32_e32 v1, v70, v4
	s_delay_alu instid0(VALU_DEP_2) | instskip(NEXT) | instid1(VALU_DEP_2)
	v_fma_f32 v0, v69, v4, -v0
	v_dual_add_f32 v64, v72, v1 :: v_dual_mul_f32 v1, v69, v7
	s_delay_alu instid0(VALU_DEP_2) | instskip(NEXT) | instid1(VALU_DEP_2)
	v_dual_add_f32 v63, v71, v0 :: v_dual_mul_f32 v0, v70, v7
	v_fmac_f32_e32 v1, v70, v6
	s_delay_alu instid0(VALU_DEP_2) | instskip(NEXT) | instid1(VALU_DEP_1)
	v_fma_f32 v0, v69, v6, -v0
	v_dual_add_f32 v29, v29, v1 :: v_dual_add_f32 v62, v62, v0
	s_cbranch_scc1 .LBB93_58
.LBB93_10:                              ;   Parent Loop BB93_4 Depth=1
                                        ;     Parent Loop BB93_7 Depth=2
                                        ; =>    This Inner Loop Header: Depth=3
	s_wait_alu 0xfffe
	v_add_co_u32 v0, s5, v48, s18
	s_wait_alu 0xf1ff
	v_add_co_ci_u32_e64 v1, null, 0, s19, s5
	v_cmp_eq_u64_e64 s7, s[18:19], v[34:35]
	s_delay_alu instid0(VALU_DEP_2)
	v_cmp_gt_i64_e64 s5, v[0:1], v[30:31]
	v_cmp_le_i64_e64 s6, s[40:41], v[0:1]
	s_and_b32 s50, s28, s7
	v_add_co_u32 v2, s7, v44, v36
	s_or_b32 s8, vcc_lo, s5
	v_add_co_ci_u32_e64 v3, null, v45, v37, s7
	s_wait_alu 0xfffe
	s_or_b32 s7, s8, s50
	s_wait_alu 0xfffe
	s_nor_b32 s7, s6, s7
	s_wait_alu 0xfffe
	s_and_saveexec_b32 s8, s7
	s_wait_alu 0xfffe
	s_xor_b32 s7, exec_lo, s8
	s_cbranch_execz .LBB93_12
; %bb.11:                               ;   in Loop: Header=BB93_10 Depth=3
	global_load_b64 v[4:5], v[2:3], off
	s_wait_loadcnt 0x0
	v_xor_b32_e32 v5, 0x80000000, v5
	ds_store_b64 v52, v[4:5]
.LBB93_12:                              ;   in Loop: Header=BB93_10 Depth=3
	s_wait_alu 0xfffe
	s_or_saveexec_b32 s7, s7
	s_xor_b32 s49, s50, -1
	s_wait_alu 0xfffe
	s_xor_b32 exec_lo, exec_lo, s7
	s_cbranch_execz .LBB93_18
; %bb.13:                               ;   in Loop: Header=BB93_10 Depth=3
	s_and_saveexec_b32 s8, s49
	s_wait_alu 0xfffe
	s_xor_b32 s8, exec_lo, s8
; %bb.14:                               ;   in Loop: Header=BB93_10 Depth=3
	v_dual_mov_b32 v4, v9 :: v_dual_mov_b32 v5, v9
	ds_store_b64 v52, v[4:5]
; %bb.15:                               ;   in Loop: Header=BB93_10 Depth=3
	s_wait_alu 0xfffe
	s_and_not1_saveexec_b32 s8, s8
; %bb.16:                               ;   in Loop: Header=BB93_10 Depth=3
	ds_store_b64 v52, v[8:9]
; %bb.17:                               ;   in Loop: Header=BB93_10 Depth=3
	s_wait_alu 0xfffe
	s_or_b32 exec_lo, exec_lo, s8
.LBB93_18:                              ;   in Loop: Header=BB93_10 Depth=3
	s_delay_alu instid0(SALU_CYCLE_1) | instskip(SKIP_4) | instid1(VALU_DEP_2)
	s_or_b32 exec_lo, exec_lo, s7
	v_add_co_u32 v4, s7, v0, 16
	s_wait_alu 0xf1ff
	v_add_co_ci_u32_e64 v5, null, 0, v1, s7
	v_cmp_eq_u64_e64 s8, s[18:19], v[40:41]
	v_cmp_gt_i64_e64 s9, v[4:5], v[30:31]
	v_cmp_le_i64_e64 s7, s[40:41], v[4:5]
	s_and_b32 s51, s28, s8
	s_or_b32 s8, vcc_lo, s9
	s_wait_alu 0xfffe
	s_or_b32 s8, s8, s51
	s_wait_alu 0xfffe
	s_nor_b32 s8, s7, s8
	s_wait_alu 0xfffe
	s_and_saveexec_b32 s9, s8
	s_wait_alu 0xfffe
	s_xor_b32 s9, exec_lo, s9
	s_cbranch_execz .LBB93_20
; %bb.19:                               ;   in Loop: Header=BB93_10 Depth=3
	v_add_co_u32 v4, s8, v46, v36
	s_wait_alu 0xf1ff
	v_add_co_ci_u32_e64 v5, null, v47, v37, s8
	global_load_b64 v[4:5], v[4:5], off
	s_wait_loadcnt 0x0
	v_xor_b32_e32 v5, 0x80000000, v5
	ds_store_b64 v52, v[4:5] offset:128
.LBB93_20:                              ;   in Loop: Header=BB93_10 Depth=3
	s_wait_alu 0xfffe
	s_and_not1_saveexec_b32 s8, s9
	s_cbranch_execz .LBB93_26
; %bb.21:                               ;   in Loop: Header=BB93_10 Depth=3
	s_xor_b32 s9, s51, -1
	s_wait_alu 0xfffe
	s_and_saveexec_b32 s51, s9
	s_delay_alu instid0(SALU_CYCLE_1)
	s_xor_b32 s9, exec_lo, s51
; %bb.22:                               ;   in Loop: Header=BB93_10 Depth=3
	v_dual_mov_b32 v4, v9 :: v_dual_mov_b32 v5, v9
	ds_store_b64 v52, v[4:5] offset:128
; %bb.23:                               ;   in Loop: Header=BB93_10 Depth=3
	s_wait_alu 0xfffe
	s_and_not1_saveexec_b32 s9, s9
; %bb.24:                               ;   in Loop: Header=BB93_10 Depth=3
	ds_store_b64 v52, v[8:9] offset:128
; %bb.25:                               ;   in Loop: Header=BB93_10 Depth=3
	s_wait_alu 0xfffe
	s_or_b32 exec_lo, exec_lo, s9
.LBB93_26:                              ;   in Loop: Header=BB93_10 Depth=3
	s_wait_alu 0xfffe
	s_or_b32 exec_lo, exec_lo, s8
	v_cmp_eq_u64_e64 s8, s[18:19], v[38:39]
	v_cmp_gt_i64_e64 s9, v[0:1], v[32:33]
	s_and_b32 s8, s28, s8
	s_or_b32 s9, s4, s9
	s_wait_alu 0xfffe
	s_or_b32 s9, s9, s8
	s_wait_alu 0xfffe
	s_nor_b32 s6, s6, s9
	s_wait_alu 0xfffe
	s_and_saveexec_b32 s9, s6
	s_wait_alu 0xfffe
	s_xor_b32 s6, exec_lo, s9
	s_cbranch_execz .LBB93_28
; %bb.27:                               ;   in Loop: Header=BB93_10 Depth=3
	global_load_b64 v[0:1], v[2:3], off offset:128
	s_wait_loadcnt 0x0
	v_xor_b32_e32 v1, 0x80000000, v1
	ds_store_b64 v52, v[0:1] offset:4096
.LBB93_28:                              ;   in Loop: Header=BB93_10 Depth=3
	s_wait_alu 0xfffe
	s_and_not1_saveexec_b32 s6, s6
	s_cbranch_execz .LBB93_34
; %bb.29:                               ;   in Loop: Header=BB93_10 Depth=3
	s_xor_b32 s8, s8, -1
	s_wait_alu 0xfffe
	s_and_saveexec_b32 s9, s8
	s_wait_alu 0xfffe
	s_xor_b32 s8, exec_lo, s9
; %bb.30:                               ;   in Loop: Header=BB93_10 Depth=3
	v_dual_mov_b32 v0, v9 :: v_dual_mov_b32 v1, v9
	ds_store_b64 v52, v[0:1] offset:4096
; %bb.31:                               ;   in Loop: Header=BB93_10 Depth=3
	s_wait_alu 0xfffe
	s_and_not1_saveexec_b32 s8, s8
; %bb.32:                               ;   in Loop: Header=BB93_10 Depth=3
	ds_store_b64 v52, v[8:9] offset:4096
; %bb.33:                               ;   in Loop: Header=BB93_10 Depth=3
	s_wait_alu 0xfffe
	s_or_b32 exec_lo, exec_lo, s8
.LBB93_34:                              ;   in Loop: Header=BB93_10 Depth=3
	s_wait_alu 0xfffe
	s_or_b32 exec_lo, exec_lo, s6
	s_or_b32 s5, s4, s5
	s_wait_alu 0xfffe
	s_or_b32 s5, s5, s50
	s_wait_alu 0xfffe
	s_nor_b32 s5, s7, s5
	s_wait_alu 0xfffe
	s_and_saveexec_b32 s6, s5
	s_wait_alu 0xfffe
	s_xor_b32 s6, exec_lo, s6
	s_cbranch_execz .LBB93_36
; %bb.35:                               ;   in Loop: Header=BB93_10 Depth=3
	v_add_co_u32 v0, s5, v46, v36
	s_wait_alu 0xf1ff
	v_add_co_ci_u32_e64 v1, null, v47, v37, s5
	global_load_b64 v[0:1], v[0:1], off offset:128
	s_wait_loadcnt 0x0
	v_xor_b32_e32 v1, 0x80000000, v1
	ds_store_b64 v52, v[0:1] offset:4224
.LBB93_36:                              ;   in Loop: Header=BB93_10 Depth=3
	s_wait_alu 0xfffe
	s_and_not1_saveexec_b32 s5, s6
	s_cbranch_execz .LBB93_42
; %bb.37:                               ;   in Loop: Header=BB93_10 Depth=3
	s_and_saveexec_b32 s6, s49
	s_wait_alu 0xfffe
	s_xor_b32 s6, exec_lo, s6
; %bb.38:                               ;   in Loop: Header=BB93_10 Depth=3
	v_dual_mov_b32 v0, v9 :: v_dual_mov_b32 v1, v9
	ds_store_b64 v52, v[0:1] offset:4224
; %bb.39:                               ;   in Loop: Header=BB93_10 Depth=3
	s_wait_alu 0xfffe
	s_and_not1_saveexec_b32 s6, s6
; %bb.40:                               ;   in Loop: Header=BB93_10 Depth=3
	ds_store_b64 v52, v[8:9] offset:4224
; %bb.41:                               ;   in Loop: Header=BB93_10 Depth=3
	s_wait_alu 0xfffe
	s_or_b32 exec_lo, exec_lo, s6
.LBB93_42:                              ;   in Loop: Header=BB93_10 Depth=3
	s_wait_alu 0xfffe
	s_or_b32 exec_lo, exec_lo, s5
	v_add_co_u32 v0, s5, v49, s18
	s_wait_alu 0xf1ff
	v_add_co_ci_u32_e64 v1, null, 0, s19, s5
	v_add_co_u32 v2, s6, v42, v13
	s_wait_alu 0xf1ff
	v_add_co_ci_u32_e64 v3, null, v43, v57, s6
	s_delay_alu instid0(VALU_DEP_3)
	v_cmp_le_i64_e64 s5, s[40:41], v[0:1]
	s_nor_b32 s6, s5, s0
	s_wait_alu 0xfffe
	s_and_saveexec_b32 s7, s6
	s_wait_alu 0xfffe
	s_xor_b32 s6, exec_lo, s7
	s_cbranch_execz .LBB93_44
; %bb.43:                               ;   in Loop: Header=BB93_10 Depth=3
	global_load_b64 v[4:5], v[2:3], off offset:-128
	s_wait_loadcnt 0x0
	ds_store_b64 v53, v[4:5]
.LBB93_44:                              ;   in Loop: Header=BB93_10 Depth=3
	s_wait_alu 0xfffe
	s_and_not1_saveexec_b32 s6, s6
; %bb.45:                               ;   in Loop: Header=BB93_10 Depth=3
	v_dual_mov_b32 v4, v9 :: v_dual_mov_b32 v5, v9
	ds_store_b64 v53, v[4:5]
; %bb.46:                               ;   in Loop: Header=BB93_10 Depth=3
	s_wait_alu 0xfffe
	s_or_b32 exec_lo, exec_lo, s6
	s_nor_b32 s5, s5, s1
	s_wait_alu 0xfffe
	s_and_saveexec_b32 s6, s5
	s_wait_alu 0xfffe
	s_xor_b32 s5, exec_lo, s6
	s_cbranch_execz .LBB93_48
; %bb.47:                               ;   in Loop: Header=BB93_10 Depth=3
	global_load_b64 v[2:3], v[2:3], off
	s_wait_loadcnt 0x0
	ds_store_b64 v53, v[2:3] offset:128
.LBB93_48:                              ;   in Loop: Header=BB93_10 Depth=3
	s_wait_alu 0xfffe
	s_and_not1_saveexec_b32 s5, s5
; %bb.49:                               ;   in Loop: Header=BB93_10 Depth=3
	v_dual_mov_b32 v2, v9 :: v_dual_mov_b32 v3, v9
	ds_store_b64 v53, v[2:3] offset:128
; %bb.50:                               ;   in Loop: Header=BB93_10 Depth=3
	s_wait_alu 0xfffe
	s_or_b32 exec_lo, exec_lo, s5
	v_cmp_le_i64_e64 s5, s[12:13], v[0:1]
	v_add_co_u32 v0, s6, v42, v12
	s_wait_alu 0xf1ff
	v_add_co_ci_u32_e64 v1, null, v43, v58, s6
	s_nor_b32 s6, s5, s0
	s_wait_alu 0xfffe
	s_and_saveexec_b32 s7, s6
	s_wait_alu 0xfffe
	s_xor_b32 s6, exec_lo, s7
	s_cbranch_execz .LBB93_52
; %bb.51:                               ;   in Loop: Header=BB93_10 Depth=3
	global_load_b64 v[2:3], v[0:1], off
	s_wait_loadcnt 0x0
	ds_store_b64 v53, v[2:3] offset:4096
.LBB93_52:                              ;   in Loop: Header=BB93_10 Depth=3
	s_wait_alu 0xfffe
	s_and_not1_saveexec_b32 s6, s6
; %bb.53:                               ;   in Loop: Header=BB93_10 Depth=3
	v_dual_mov_b32 v2, v9 :: v_dual_mov_b32 v3, v9
	ds_store_b64 v53, v[2:3] offset:4096
; %bb.54:                               ;   in Loop: Header=BB93_10 Depth=3
	s_wait_alu 0xfffe
	s_or_b32 exec_lo, exec_lo, s6
	s_nor_b32 s5, s5, s1
	s_wait_alu 0xfffe
	s_and_saveexec_b32 s6, s5
	s_wait_alu 0xfffe
	s_xor_b32 s5, exec_lo, s6
	s_cbranch_execz .LBB93_56
; %bb.55:                               ;   in Loop: Header=BB93_10 Depth=3
	global_load_b64 v[0:1], v[0:1], off offset:128
	s_wait_loadcnt 0x0
	ds_store_b64 v53, v[0:1] offset:4224
.LBB93_56:                              ;   in Loop: Header=BB93_10 Depth=3
	s_wait_alu 0xfffe
	s_and_not1_saveexec_b32 s5, s5
	s_cbranch_execz .LBB93_9
; %bb.57:                               ;   in Loop: Header=BB93_10 Depth=3
	v_dual_mov_b32 v0, v9 :: v_dual_mov_b32 v1, v9
	ds_store_b64 v53, v[0:1] offset:4224
	s_branch .LBB93_9
.LBB93_58:                              ;   in Loop: Header=BB93_7 Depth=2
	v_mul_lo_u32 v2, s25, v30
	v_mul_lo_u32 v3, s24, v31
	v_mad_co_u64_u32 v[0:1], null, s24, v30, 0
	v_cmp_gt_i32_e32 vcc_lo, s30, v30
	s_delay_alu instid0(VALU_DEP_2) | instskip(NEXT) | instid1(VALU_DEP_1)
	v_add3_u32 v1, v1, v3, v2
	v_lshlrev_b64_e32 v[0:1], 3, v[0:1]
	s_delay_alu instid0(VALU_DEP_1) | instskip(SKIP_1) | instid1(VALU_DEP_2)
	v_add_co_u32 v0, s4, s16, v0
	s_wait_alu 0xf1ff
	v_add_co_ci_u32_e64 v1, null, s17, v1, s4
	s_and_b32 s4, s2, vcc_lo
	s_wait_alu 0xfffe
	s_and_saveexec_b32 s5, s4
	s_cbranch_execz .LBB93_60
; %bb.59:                               ;   in Loop: Header=BB93_7 Depth=2
	v_add_co_u32 v2, s4, v0, v16
	s_wait_alu 0xf1ff
	v_add_co_ci_u32_e64 v3, null, v1, v17, s4
	global_load_b64 v[4:5], v[2:3], off
	v_mul_f32_e32 v7, s36, v68
	s_delay_alu instid0(VALU_DEP_1) | instskip(NEXT) | instid1(VALU_DEP_1)
	v_dual_mul_f32 v6, s37, v68 :: v_dual_fmac_f32 v7, s37, v67
	v_fma_f32 v6, v67, s36, -v6
	s_wait_loadcnt 0x0
	s_delay_alu instid0(VALU_DEP_1)
	v_dual_add_f32 v4, v4, v6 :: v_dual_add_f32 v5, v7, v5
	global_store_b64 v[2:3], v[4:5], off
.LBB93_60:                              ;   in Loop: Header=BB93_7 Depth=2
	s_wait_alu 0xfffe
	s_or_b32 exec_lo, exec_lo, s5
	s_and_b32 s5, s3, vcc_lo
	s_wait_alu 0xfffe
	s_and_saveexec_b32 s4, s5
	s_cbranch_execz .LBB93_62
; %bb.61:                               ;   in Loop: Header=BB93_7 Depth=2
	v_add_co_u32 v0, vcc_lo, v0, v20
	s_wait_alu 0xfffd
	v_add_co_ci_u32_e64 v1, null, v1, v21, vcc_lo
	global_load_b64 v[2:3], v[0:1], off
	v_mul_f32_e32 v5, s36, v66
	s_delay_alu instid0(VALU_DEP_1) | instskip(NEXT) | instid1(VALU_DEP_1)
	v_dual_mul_f32 v4, s37, v66 :: v_dual_fmac_f32 v5, s37, v65
	v_fma_f32 v4, v65, s36, -v4
	s_wait_loadcnt 0x0
	s_delay_alu instid0(VALU_DEP_1)
	v_dual_add_f32 v2, v2, v4 :: v_dual_add_f32 v3, v5, v3
	global_store_b64 v[0:1], v[2:3], off
.LBB93_62:                              ;   in Loop: Header=BB93_7 Depth=2
	s_wait_alu 0xfffe
	s_or_b32 exec_lo, exec_lo, s4
	v_add_nc_u32_e32 v2, 16, v30
	s_delay_alu instid0(VALU_DEP_1) | instskip(SKIP_3) | instid1(VALU_DEP_4)
	v_ashrrev_i32_e32 v3, 31, v2
	v_mul_lo_u32 v4, s25, v2
	v_mad_co_u64_u32 v[0:1], null, s24, v2, 0
	v_cmp_gt_i32_e32 vcc_lo, s30, v2
	v_mul_lo_u32 v3, s24, v3
	s_delay_alu instid0(VALU_DEP_1) | instskip(NEXT) | instid1(VALU_DEP_1)
	v_add3_u32 v1, v1, v3, v4
	v_lshlrev_b64_e32 v[0:1], 3, v[0:1]
	s_delay_alu instid0(VALU_DEP_1) | instskip(SKIP_1) | instid1(VALU_DEP_2)
	v_add_co_u32 v0, s4, s16, v0
	s_wait_alu 0xf1ff
	v_add_co_ci_u32_e64 v1, null, s17, v1, s4
	s_and_b32 s4, s2, vcc_lo
	s_wait_alu 0xfffe
	s_and_saveexec_b32 s5, s4
	s_cbranch_execz .LBB93_64
; %bb.63:                               ;   in Loop: Header=BB93_7 Depth=2
	v_add_co_u32 v2, s4, v0, v16
	s_wait_alu 0xf1ff
	v_add_co_ci_u32_e64 v3, null, v1, v17, s4
	global_load_b64 v[4:5], v[2:3], off
	v_mul_f32_e32 v7, s36, v64
	s_delay_alu instid0(VALU_DEP_1) | instskip(NEXT) | instid1(VALU_DEP_1)
	v_dual_mul_f32 v6, s37, v64 :: v_dual_fmac_f32 v7, s37, v63
	v_fma_f32 v6, v63, s36, -v6
	s_wait_loadcnt 0x0
	s_delay_alu instid0(VALU_DEP_1)
	v_dual_add_f32 v4, v4, v6 :: v_dual_add_f32 v5, v7, v5
	global_store_b64 v[2:3], v[4:5], off
.LBB93_64:                              ;   in Loop: Header=BB93_7 Depth=2
	s_wait_alu 0xfffe
	s_or_b32 exec_lo, exec_lo, s5
	s_and_b32 s5, s3, vcc_lo
	s_wait_alu 0xfffe
	s_and_saveexec_b32 s4, s5
	s_cbranch_execz .LBB93_6
; %bb.65:                               ;   in Loop: Header=BB93_7 Depth=2
	v_add_co_u32 v0, vcc_lo, v0, v20
	s_wait_alu 0xfffd
	v_add_co_ci_u32_e64 v1, null, v1, v21, vcc_lo
	global_load_b64 v[2:3], v[0:1], off
	v_mul_f32_e32 v5, s36, v29
	s_delay_alu instid0(VALU_DEP_1) | instskip(NEXT) | instid1(VALU_DEP_1)
	v_dual_mul_f32 v4, s37, v29 :: v_dual_fmac_f32 v5, s37, v62
	v_fma_f32 v4, v62, s36, -v4
	s_wait_loadcnt 0x0
	s_delay_alu instid0(VALU_DEP_1)
	v_dual_add_f32 v2, v2, v4 :: v_dual_add_f32 v3, v5, v3
	global_store_b64 v[0:1], v[2:3], off
	s_branch .LBB93_6
.LBB93_66:
	s_endpgm
	.section	.rodata,"a",@progbits
	.p2align	6, 0x0
	.amdhsa_kernel _ZL30rocblas_trmm_outofplace_kernelI19rocblas_complex_numIfELi32ELi2ELb0ELb0ELb1ELb1ES1_KS1_S1_Ev17rocblas_diagonal_iiT6_lPT7_lllS6_lllPT8_llli
		.amdhsa_group_segment_fixed_size 16384
		.amdhsa_private_segment_fixed_size 0
		.amdhsa_kernarg_size 392
		.amdhsa_user_sgpr_count 2
		.amdhsa_user_sgpr_dispatch_ptr 0
		.amdhsa_user_sgpr_queue_ptr 0
		.amdhsa_user_sgpr_kernarg_segment_ptr 1
		.amdhsa_user_sgpr_dispatch_id 0
		.amdhsa_user_sgpr_private_segment_size 0
		.amdhsa_wavefront_size32 1
		.amdhsa_uses_dynamic_stack 0
		.amdhsa_enable_private_segment 0
		.amdhsa_system_sgpr_workgroup_id_x 1
		.amdhsa_system_sgpr_workgroup_id_y 1
		.amdhsa_system_sgpr_workgroup_id_z 1
		.amdhsa_system_sgpr_workgroup_info 0
		.amdhsa_system_vgpr_workitem_id 1
		.amdhsa_next_free_vgpr 84
		.amdhsa_next_free_sgpr 52
		.amdhsa_reserve_vcc 1
		.amdhsa_float_round_mode_32 0
		.amdhsa_float_round_mode_16_64 0
		.amdhsa_float_denorm_mode_32 3
		.amdhsa_float_denorm_mode_16_64 3
		.amdhsa_fp16_overflow 0
		.amdhsa_workgroup_processor_mode 1
		.amdhsa_memory_ordered 1
		.amdhsa_forward_progress 1
		.amdhsa_inst_pref_size 64
		.amdhsa_round_robin_scheduling 0
		.amdhsa_exception_fp_ieee_invalid_op 0
		.amdhsa_exception_fp_denorm_src 0
		.amdhsa_exception_fp_ieee_div_zero 0
		.amdhsa_exception_fp_ieee_overflow 0
		.amdhsa_exception_fp_ieee_underflow 0
		.amdhsa_exception_fp_ieee_inexact 0
		.amdhsa_exception_int_div_zero 0
	.end_amdhsa_kernel
	.section	.text._ZL30rocblas_trmm_outofplace_kernelI19rocblas_complex_numIfELi32ELi2ELb0ELb0ELb1ELb1ES1_KS1_S1_Ev17rocblas_diagonal_iiT6_lPT7_lllS6_lllPT8_llli,"axG",@progbits,_ZL30rocblas_trmm_outofplace_kernelI19rocblas_complex_numIfELi32ELi2ELb0ELb0ELb1ELb1ES1_KS1_S1_Ev17rocblas_diagonal_iiT6_lPT7_lllS6_lllPT8_llli,comdat
.Lfunc_end93:
	.size	_ZL30rocblas_trmm_outofplace_kernelI19rocblas_complex_numIfELi32ELi2ELb0ELb0ELb1ELb1ES1_KS1_S1_Ev17rocblas_diagonal_iiT6_lPT7_lllS6_lllPT8_llli, .Lfunc_end93-_ZL30rocblas_trmm_outofplace_kernelI19rocblas_complex_numIfELi32ELi2ELb0ELb0ELb1ELb1ES1_KS1_S1_Ev17rocblas_diagonal_iiT6_lPT7_lllS6_lllPT8_llli
                                        ; -- End function
	.set _ZL30rocblas_trmm_outofplace_kernelI19rocblas_complex_numIfELi32ELi2ELb0ELb0ELb1ELb1ES1_KS1_S1_Ev17rocblas_diagonal_iiT6_lPT7_lllS6_lllPT8_llli.num_vgpr, 84
	.set _ZL30rocblas_trmm_outofplace_kernelI19rocblas_complex_numIfELi32ELi2ELb0ELb0ELb1ELb1ES1_KS1_S1_Ev17rocblas_diagonal_iiT6_lPT7_lllS6_lllPT8_llli.num_agpr, 0
	.set _ZL30rocblas_trmm_outofplace_kernelI19rocblas_complex_numIfELi32ELi2ELb0ELb0ELb1ELb1ES1_KS1_S1_Ev17rocblas_diagonal_iiT6_lPT7_lllS6_lllPT8_llli.numbered_sgpr, 52
	.set _ZL30rocblas_trmm_outofplace_kernelI19rocblas_complex_numIfELi32ELi2ELb0ELb0ELb1ELb1ES1_KS1_S1_Ev17rocblas_diagonal_iiT6_lPT7_lllS6_lllPT8_llli.num_named_barrier, 0
	.set _ZL30rocblas_trmm_outofplace_kernelI19rocblas_complex_numIfELi32ELi2ELb0ELb0ELb1ELb1ES1_KS1_S1_Ev17rocblas_diagonal_iiT6_lPT7_lllS6_lllPT8_llli.private_seg_size, 0
	.set _ZL30rocblas_trmm_outofplace_kernelI19rocblas_complex_numIfELi32ELi2ELb0ELb0ELb1ELb1ES1_KS1_S1_Ev17rocblas_diagonal_iiT6_lPT7_lllS6_lllPT8_llli.uses_vcc, 1
	.set _ZL30rocblas_trmm_outofplace_kernelI19rocblas_complex_numIfELi32ELi2ELb0ELb0ELb1ELb1ES1_KS1_S1_Ev17rocblas_diagonal_iiT6_lPT7_lllS6_lllPT8_llli.uses_flat_scratch, 0
	.set _ZL30rocblas_trmm_outofplace_kernelI19rocblas_complex_numIfELi32ELi2ELb0ELb0ELb1ELb1ES1_KS1_S1_Ev17rocblas_diagonal_iiT6_lPT7_lllS6_lllPT8_llli.has_dyn_sized_stack, 0
	.set _ZL30rocblas_trmm_outofplace_kernelI19rocblas_complex_numIfELi32ELi2ELb0ELb0ELb1ELb1ES1_KS1_S1_Ev17rocblas_diagonal_iiT6_lPT7_lllS6_lllPT8_llli.has_recursion, 0
	.set _ZL30rocblas_trmm_outofplace_kernelI19rocblas_complex_numIfELi32ELi2ELb0ELb0ELb1ELb1ES1_KS1_S1_Ev17rocblas_diagonal_iiT6_lPT7_lllS6_lllPT8_llli.has_indirect_call, 0
	.section	.AMDGPU.csdata,"",@progbits
; Kernel info:
; codeLenInByte = 8116
; TotalNumSgprs: 54
; NumVgprs: 84
; ScratchSize: 0
; MemoryBound: 0
; FloatMode: 240
; IeeeMode: 1
; LDSByteSize: 16384 bytes/workgroup (compile time only)
; SGPRBlocks: 0
; VGPRBlocks: 10
; NumSGPRsForWavesPerEU: 54
; NumVGPRsForWavesPerEU: 84
; Occupancy: 16
; WaveLimiterHint : 0
; COMPUTE_PGM_RSRC2:SCRATCH_EN: 0
; COMPUTE_PGM_RSRC2:USER_SGPR: 2
; COMPUTE_PGM_RSRC2:TRAP_HANDLER: 0
; COMPUTE_PGM_RSRC2:TGID_X_EN: 1
; COMPUTE_PGM_RSRC2:TGID_Y_EN: 1
; COMPUTE_PGM_RSRC2:TGID_Z_EN: 1
; COMPUTE_PGM_RSRC2:TIDIG_COMP_CNT: 1
	.section	.text._ZL30rocblas_trmm_outofplace_kernelI19rocblas_complex_numIfELi32ELi2ELb0ELb1ELb1ELb1EPKS1_S2_S1_Ev17rocblas_diagonal_iiT6_lPT7_lllS7_lllPT8_llli,"axG",@progbits,_ZL30rocblas_trmm_outofplace_kernelI19rocblas_complex_numIfELi32ELi2ELb0ELb1ELb1ELb1EPKS1_S2_S1_Ev17rocblas_diagonal_iiT6_lPT7_lllS7_lllPT8_llli,comdat
	.globl	_ZL30rocblas_trmm_outofplace_kernelI19rocblas_complex_numIfELi32ELi2ELb0ELb1ELb1ELb1EPKS1_S2_S1_Ev17rocblas_diagonal_iiT6_lPT7_lllS7_lllPT8_llli ; -- Begin function _ZL30rocblas_trmm_outofplace_kernelI19rocblas_complex_numIfELi32ELi2ELb0ELb1ELb1ELb1EPKS1_S2_S1_Ev17rocblas_diagonal_iiT6_lPT7_lllS7_lllPT8_llli
	.p2align	8
	.type	_ZL30rocblas_trmm_outofplace_kernelI19rocblas_complex_numIfELi32ELi2ELb0ELb1ELb1ELb1EPKS1_S2_S1_Ev17rocblas_diagonal_iiT6_lPT7_lllS7_lllPT8_llli,@function
_ZL30rocblas_trmm_outofplace_kernelI19rocblas_complex_numIfELi32ELi2ELb0ELb1ELb1ELb1EPKS1_S2_S1_Ev17rocblas_diagonal_iiT6_lPT7_lllS7_lllPT8_llli: ; @_ZL30rocblas_trmm_outofplace_kernelI19rocblas_complex_numIfELi32ELi2ELb0ELb1ELb1ELb1EPKS1_S2_S1_Ev17rocblas_diagonal_iiT6_lPT7_lllS7_lllPT8_llli
; %bb.0:
	s_load_b32 s11, s[0:1], 0x80
	s_lshr_b32 s34, ttmp7, 16
	s_wait_kmcnt 0x0
	s_cmp_ge_u32 s34, s11
	s_cbranch_scc1 .LBB94_68
; %bb.1:
	s_clause 0x3
	s_load_b96 s[8:10], s[0:1], 0x0
	s_load_b256 s[36:43], s[0:1], 0x50
	s_load_b512 s[12:27], s[0:1], 0x10
	s_load_b128 s[28:31], s[0:1], 0x70
	s_add_nc_u64 s[44:45], s[0:1], 0x88
	v_dual_mov_b32 v11, 0 :: v_dual_and_b32 v6, 0x3ff, v0
	v_bfe_u32 v42, v0, 10, 10
	s_and_b32 s33, ttmp7, 0xffff
	v_mov_b32_e32 v10, 1.0
	s_delay_alu instid0(VALU_DEP_3) | instskip(SKIP_3) | instid1(VALU_DEP_3)
	v_lshl_add_u32 v0, ttmp9, 5, v6
	v_lshlrev_b32_e32 v2, 3, v6
	v_lshlrev_b32_e32 v43, 8, v42
	s_mov_b32 s35, 0
	v_ashrrev_i32_e32 v1, 31, v0
	s_delay_alu instid0(VALU_DEP_3) | instskip(NEXT) | instid1(VALU_DEP_3)
	v_or_b32_e32 v44, 0x2000, v2
	v_add_nc_u32_e32 v45, v43, v2
	v_add_nc_u32_e32 v4, 16, v0
	s_delay_alu instid0(VALU_DEP_3)
	v_add_nc_u32_e32 v46, v44, v43
	s_wait_kmcnt 0x0
	s_add_co_i32 s0, s10, -1
	s_lshl_b64 s[2:3], s[42:43], 3
	s_wait_alu 0xfffe
	s_ashr_i32 s1, s0, 31
	s_add_nc_u64 s[40:41], s[40:41], s[2:3]
	s_wait_alu 0xfffe
	s_lshr_b32 s1, s1, 27
	v_sub_co_u32 v2, vcc_lo, s9, v0
	s_wait_alu 0xfffe
	s_add_co_i32 s0, s0, s1
	v_cmp_gt_i32_e64 s1, s9, v4
	s_wait_alu 0xfffe
	s_ashr_i32 s60, s0, 5
	v_cmp_gt_i32_e64 s0, s9, v0
	s_cmp_le_i32 s33, s60
	v_ashrrev_i32_e32 v5, 31, v4
	s_cselect_b32 s61, -1, 0
	s_cmp_eq_u32 s8, 0x84
	v_add_nc_u32_e32 v49, 0x800, v44
	s_cselect_b32 s62, -1, 0
	s_lshl_b32 s6, s33, 5
	s_ashr_i32 s2, s9, 31
	v_add_nc_u32_e32 v47, s6, v6
	v_lshlrev_b64_e32 v[6:7], 3, v[0:1]
	v_sub_co_ci_u32_e64 v3, null, s2, v1, vcc_lo
	s_lshl_b64 s[4:5], s[18:19], 3
	v_add_nc_u32_e32 v48, s6, v42
	s_add_nc_u64 s[16:17], s[16:17], s[4:5]
	s_lshl_b64 s[4:5], s[26:27], 3
	v_cmp_gt_i64_e64 s2, 1, v[2:3]
	v_add_co_u32 v8, vcc_lo, s4, v6
	v_cmp_gt_i64_e64 s3, 17, v[2:3]
	s_wait_alu 0xfffd
	v_add_co_ci_u32_e64 v9, null, s5, v7, vcc_lo
	v_add_nc_u32_e32 v50, 0x1000, v44
	v_add_nc_u32_e32 v51, 0x1800, v44
	s_mov_b32 s42, s10
	s_ashr_i32 s43, s10, 31
	s_lshl_b64 s[46:47], s[20:21], 8
	s_lshl_b64 s[48:49], s[36:37], 8
	s_add_nc_u64 s[50:51], s[42:43], -16
	s_lshl_b64 s[18:19], s[22:23], 3
	s_lshl_b64 s[22:23], s[20:21], 3
	s_add_nc_u64 s[52:53], s[24:25], 0x80
	s_lshl_b64 s[26:27], s[36:37], 3
	s_lshl_b64 s[38:39], s[38:39], 3
	s_branch .LBB94_4
.LBB94_2:                               ;   in Loop: Header=BB94_4 Depth=1
	s_add_co_i32 s34, s34, 0x10000
	s_wait_alu 0xfffe
	s_cmp_ge_u32 s34, s11
	s_cselect_b32 s4, -1, 0
.LBB94_3:                               ;   in Loop: Header=BB94_4 Depth=1
	s_wait_alu 0xfffe
	s_and_b32 vcc_lo, exec_lo, s4
	s_wait_alu 0xfffe
	s_cbranch_vccnz .LBB94_68
.LBB94_4:                               ; =>This Loop Header: Depth=1
                                        ;     Child Loop BB94_8 Depth 2
                                        ;       Child Loop BB94_11 Depth 3
	s_mul_u64 s[4:5], s[14:15], s[34:35]
	s_wait_alu 0xfffe
	s_lshl_b64 s[4:5], s[4:5], 3
	s_wait_alu 0xfffe
	s_add_nc_u64 s[4:5], s[12:13], s[4:5]
	global_load_b64 v[12:13], v11, s[4:5]
	s_mov_b32 s4, -1
	s_wait_loadcnt 0x0
	v_or_b32_e32 v0, v12, v13
	s_delay_alu instid0(VALU_DEP_1) | instskip(NEXT) | instid1(VALU_DEP_1)
	v_and_b32_e32 v0, 0x7fffffff, v0
	v_cmp_eq_u32_e32 vcc_lo, 0, v0
	s_cbranch_vccnz .LBB94_3
; %bb.5:                                ;   in Loop: Header=BB94_4 Depth=1
	s_and_not1_b32 vcc_lo, exec_lo, s61
	s_wait_alu 0xfffe
	s_cbranch_vccnz .LBB94_2
; %bb.6:                                ;   in Loop: Header=BB94_4 Depth=1
	v_mad_co_u64_u32 v[14:15], null, s38, s34, v[8:9]
	s_load_b32 s63, s[44:45], 0x4
	s_mul_u64 s[4:5], s[30:31], s[34:35]
	v_mov_b32_e32 v18, v47
	s_mul_u64 s[6:7], s[18:19], s[34:35]
	s_wait_alu 0xfffe
	s_lshl_b64 s[4:5], s[4:5], 3
	s_add_nc_u64 s[56:57], s[16:17], s[6:7]
	v_mov_b32_e32 v0, v15
	s_wait_alu 0xfffe
	s_add_nc_u64 s[54:55], s[40:41], s[4:5]
	s_mov_b32 s65, s33
	s_delay_alu instid0(VALU_DEP_1) | instskip(NEXT) | instid1(VALU_DEP_1)
	v_mad_co_u64_u32 v[0:1], null, s39, s34, v[0:1]
	v_dual_mov_b32 v16, v48 :: v_dual_mov_b32 v15, v0
	s_wait_kmcnt 0x0
	s_lshl_b32 s64, s63, 5
	s_branch .LBB94_8
.LBB94_7:                               ;   in Loop: Header=BB94_8 Depth=2
	s_wait_alu 0xfffe
	s_or_b32 exec_lo, exec_lo, s4
	v_add_nc_u32_e32 v18, s64, v18
	v_add_nc_u32_e32 v16, s64, v16
	s_add_co_i32 s65, s63, s65
	s_wait_alu 0xfffe
	s_cmp_gt_i32 s65, s60
	s_cbranch_scc1 .LBB94_2
.LBB94_8:                               ;   Parent Loop BB94_4 Depth=1
                                        ; =>  This Loop Header: Depth=2
                                        ;       Child Loop BB94_11 Depth 3
	s_wait_alu 0xfffe
	s_lshl_b32 s4, s65, 5
	v_ashrrev_i32_e32 v19, 31, v18
	s_wait_alu 0xfffe
	v_add_nc_u32_e32 v20, s4, v42
	v_ashrrev_i32_e32 v17, 31, v16
	s_sub_co_i32 s66, s10, s4
	s_delay_alu instid0(SALU_CYCLE_1) | instskip(NEXT) | instid1(VALU_DEP_2)
	s_cmp_lt_i32 s66, 1
	v_ashrrev_i32_e32 v21, 31, v20
	s_cbranch_scc1 .LBB94_59
; %bb.9:                                ;   in Loop: Header=BB94_8 Depth=2
	v_lshlrev_b64_e32 v[0:1], 3, v[18:19]
	v_lshlrev_b64_e32 v[24:25], 3, v[16:17]
	v_mad_co_u64_u32 v[30:31], null, s26, v16, s[52:53]
	v_mul_lo_u32 v36, s26, v17
	v_mul_lo_u32 v37, s27, v16
	v_add_co_u32 v0, vcc_lo, 0x80, v0
	s_wait_alu 0xfffd
	v_add_co_ci_u32_e64 v1, null, 0, v1, vcc_lo
	v_sub_co_u32 v22, vcc_lo, v16, v18
	s_wait_alu 0xfffd
	v_sub_co_ci_u32_e64 v23, null, v17, v19, vcc_lo
	v_add_co_u32 v32, vcc_lo, 0x80, v24
	s_wait_alu 0xfffd
	v_add_co_ci_u32_e64 v33, null, 0, v25, vcc_lo
	v_mul_lo_u32 v1, s20, v1
	s_delay_alu instid0(VALU_DEP_3) | instskip(SKIP_1) | instid1(VALU_DEP_4)
	v_mul_lo_u32 v39, s37, v32
	v_mul_lo_u32 v2, s21, v0
	;; [unrolled: 1-line block ×3, first 2 shown]
	v_mad_co_u64_u32 v[32:33], null, s36, v32, s[24:25]
	v_mad_co_u64_u32 v[26:27], null, s20, v0, s[56:57]
	;; [unrolled: 1-line block ×3, first 2 shown]
	v_mul_lo_u32 v0, s22, v19
	v_mul_lo_u32 v3, s23, v18
	v_add_co_u32 v34, vcc_lo, v20, 16
	s_wait_alu 0xfffd
	v_add_co_ci_u32_e64 v35, null, 0, v21, vcc_lo
	v_add3_u32 v31, v37, v31, v36
	v_add_co_u32 v36, s5, v22, 16
	v_add3_u32 v33, v39, v33, v38
	s_wait_alu 0xf1ff
	v_add_co_ci_u32_e64 v37, null, 0, v23, s5
	v_add_co_u32 v38, s5, v22, -16
	v_cmp_le_i64_e64 s4, s[42:43], v[34:35]
	v_dual_mov_b32 v52, 0 :: v_dual_mov_b32 v41, v15
	v_add3_u32 v27, v2, v27, v1
	v_add3_u32 v29, v3, v29, v0
	s_wait_alu 0xf1ff
	v_add_co_ci_u32_e64 v39, null, -1, v23, s5
	v_dual_mov_b32 v40, v14 :: v_dual_mov_b32 v53, 0
	v_dual_mov_b32 v55, 0 :: v_dual_mov_b32 v54, 0
	;; [unrolled: 1-line block ×4, first 2 shown]
	s_mov_b64 s[58:59], 0
	v_cmp_le_i32_e32 vcc_lo, s10, v20
	s_branch .LBB94_11
.LBB94_10:                              ;   in Loop: Header=BB94_11 Depth=3
	s_wait_alu 0xfffe
	s_or_b32 exec_lo, exec_lo, s5
	s_wait_dscnt 0x0
	s_barrier_signal -1
	s_barrier_wait -1
	global_inv scope:SCOPE_SE
	ds_load_b128 v[60:63], v43
	ds_load_2addr_b64 v[64:67], v44 offset1:16
	ds_load_b128 v[68:71], v43 offset:4096
	ds_load_b128 v[72:75], v43 offset:16
	;; [unrolled: 1-line block ×4, first 2 shown]
	ds_load_2addr_b64 v[80:83], v44 offset0:32 offset1:48
	ds_load_b128 v[84:87], v43 offset:4112
	v_add_co_u32 v26, s5, v26, s46
	s_wait_alu 0xf1ff
	v_add_co_ci_u32_e64 v27, null, s47, v27, s5
	v_add_co_u32 v28, s5, v28, s46
	s_wait_alu 0xf1ff
	v_add_co_ci_u32_e64 v29, null, s47, v29, s5
	;; [unrolled: 3-line block ×3, first 2 shown]
	s_add_nc_u64 s[58:59], s[58:59], 32
	s_wait_dscnt 0x6
	v_dual_mul_f32 v88, v61, v65 :: v_dual_mul_f32 v91, v60, v67
	v_dual_mul_f32 v89, v60, v65 :: v_dual_mul_f32 v90, v61, v67
	s_wait_dscnt 0x5
	v_mul_f32_e32 v92, v69, v65
	s_delay_alu instid0(VALU_DEP_3)
	v_fma_f32 v88, v60, v64, -v88
	v_mul_f32_e32 v65, v68, v65
	v_fmac_f32_e32 v89, v61, v64
	v_fma_f32 v60, v60, v66, -v90
	v_mul_f32_e32 v93, v69, v67
	v_mul_f32_e32 v67, v68, v67
	v_fmac_f32_e32 v91, v61, v66
	v_fma_f32 v61, v68, v64, -v92
	v_add_f32_e32 v58, v58, v88
	s_delay_alu instid0(VALU_DEP_4)
	v_dual_add_f32 v60, v56, v60 :: v_dual_fmac_f32 v67, v69, v66
	v_fmac_f32_e32 v65, v69, v64
	v_fma_f32 v64, v68, v66, -v93
	s_wait_dscnt 0x1
	v_mul_f32_e32 v68, v63, v81
	v_mul_f32_e32 v66, v62, v81
	v_add_f32_e32 v59, v59, v89
	v_add_f32_e32 v57, v57, v91
	;; [unrolled: 1-line block ×3, first 2 shown]
	v_fma_f32 v68, v62, v80, -v68
	v_dual_add_f32 v52, v52, v67 :: v_dual_add_f32 v65, v55, v65
	v_dual_fmac_f32 v66, v63, v80 :: v_dual_add_f32 v61, v54, v61
	ds_load_2addr_b64 v[53:56], v44 offset0:64 offset1:80
	v_mul_f32_e32 v69, v63, v83
	v_mul_f32_e32 v67, v62, v83
	v_add_f32_e32 v68, v58, v68
	v_dual_add_f32 v66, v59, v66 :: v_dual_mul_f32 v59, v70, v81
	s_delay_alu instid0(VALU_DEP_4)
	v_fma_f32 v58, v62, v82, -v69
	v_mul_f32_e32 v62, v71, v81
	v_fmac_f32_e32 v67, v63, v82
	s_wait_alu 0xfffe
	s_cmp_ge_i32 s58, s66
	v_add_f32_e32 v63, v60, v58
	v_fma_f32 v58, v70, v80, -v62
	v_mul_f32_e32 v60, v71, v83
	v_add_f32_e32 v62, v57, v67
	v_mul_f32_e32 v67, v70, v83
	s_delay_alu instid0(VALU_DEP_3) | instskip(SKIP_2) | instid1(VALU_DEP_2)
	v_fma_f32 v57, v70, v82, -v60
	s_wait_dscnt 0x0
	v_mul_f32_e32 v69, v72, v54
	v_add_f32_e32 v64, v64, v57
	s_delay_alu instid0(VALU_DEP_2) | instskip(SKIP_2) | instid1(VALU_DEP_3)
	v_fmac_f32_e32 v69, v73, v53
	v_add_f32_e32 v61, v61, v58
	v_mul_f32_e32 v58, v73, v54
	v_dual_add_f32 v66, v66, v69 :: v_dual_mul_f32 v69, v85, v54
	s_delay_alu instid0(VALU_DEP_2) | instskip(SKIP_2) | instid1(VALU_DEP_2)
	v_fma_f32 v70, v72, v53, -v58
	v_dual_fmac_f32 v59, v71, v80 :: v_dual_mul_f32 v54, v84, v54
	v_fmac_f32_e32 v67, v71, v82
	v_dual_add_f32 v68, v68, v70 :: v_dual_add_f32 v65, v65, v59
	ds_load_2addr_b64 v[57:60], v44 offset0:96 offset1:112
	v_mul_f32_e32 v71, v73, v56
	v_dual_add_f32 v67, v52, v67 :: v_dual_fmac_f32 v54, v85, v53
	v_mul_f32_e32 v52, v72, v56
	s_delay_alu instid0(VALU_DEP_3) | instskip(NEXT) | instid1(VALU_DEP_1)
	v_fma_f32 v70, v72, v55, -v71
	v_dual_fmac_f32 v52, v73, v55 :: v_dual_add_f32 v63, v63, v70
	v_mul_f32_e32 v70, v85, v56
	v_mul_f32_e32 v56, v84, v56
	s_delay_alu instid0(VALU_DEP_3) | instskip(NEXT) | instid1(VALU_DEP_3)
	v_add_f32_e32 v62, v62, v52
	v_fma_f32 v52, v84, v55, -v70
	s_delay_alu instid0(VALU_DEP_3) | instskip(NEXT) | instid1(VALU_DEP_2)
	v_fmac_f32_e32 v56, v85, v55
	v_add_f32_e32 v70, v64, v52
	v_fma_f32 v69, v84, v53, -v69
	s_wait_dscnt 0x0
	v_mul_f32_e32 v64, v74, v58
	v_add_f32_e32 v65, v65, v54
	ds_load_2addr_b64 v[52:55], v44 offset0:128 offset1:144
	v_add_f32_e32 v67, v67, v56
	v_dual_add_f32 v69, v61, v69 :: v_dual_mul_f32 v56, v74, v60
	v_fmac_f32_e32 v64, v75, v57
	v_mul_f32_e32 v61, v75, v58
	s_delay_alu instid0(VALU_DEP_3) | instskip(NEXT) | instid1(VALU_DEP_3)
	v_fmac_f32_e32 v56, v75, v59
	v_add_f32_e32 v66, v66, v64
	s_delay_alu instid0(VALU_DEP_3) | instskip(NEXT) | instid1(VALU_DEP_1)
	v_fma_f32 v61, v74, v57, -v61
	v_dual_mul_f32 v71, v75, v60 :: v_dual_add_f32 v68, v68, v61
	s_delay_alu instid0(VALU_DEP_1)
	v_fma_f32 v71, v74, v59, -v71
	v_mul_f32_e32 v61, v87, v58
	v_mul_f32_e32 v58, v86, v58
	v_add_f32_e32 v73, v62, v56
	v_mul_f32_e32 v56, v87, v60
	v_mul_f32_e32 v60, v86, v60
	v_fma_f32 v72, v86, v57, -v61
	v_fmac_f32_e32 v58, v87, v57
	v_add_f32_e32 v71, v63, v71
	ds_load_b128 v[61:64], v43 offset:4128
	s_wait_dscnt 0x1
	v_mul_f32_e32 v57, v77, v53
	v_fma_f32 v56, v86, v59, -v56
	v_add_f32_e32 v69, v69, v72
	v_dual_add_f32 v72, v65, v58 :: v_dual_mul_f32 v65, v76, v53
	v_fmac_f32_e32 v60, v87, v59
	s_delay_alu instid0(VALU_DEP_4)
	v_dual_add_f32 v70, v70, v56 :: v_dual_mul_f32 v75, v77, v55
	v_fma_f32 v74, v76, v52, -v57
	ds_load_2addr_b64 v[56:59], v44 offset0:160 offset1:176
	v_fmac_f32_e32 v65, v77, v52
	v_fma_f32 v75, v76, v54, -v75
	v_add_f32_e32 v74, v68, v74
	s_delay_alu instid0(VALU_DEP_3)
	v_dual_add_f32 v60, v67, v60 :: v_dual_add_f32 v81, v66, v65
	ds_load_b128 v[65:68], v43 offset:4144
	v_mul_f32_e32 v80, v76, v55
	s_wait_dscnt 0x2
	v_dual_add_f32 v71, v71, v75 :: v_dual_mul_f32 v76, v62, v53
	v_mul_f32_e32 v53, v61, v53
	s_delay_alu instid0(VALU_DEP_3) | instskip(SKIP_1) | instid1(VALU_DEP_4)
	v_dual_mul_f32 v75, v62, v55 :: v_dual_fmac_f32 v80, v77, v54
	v_mul_f32_e32 v77, v61, v55
	v_fma_f32 v76, v61, v52, -v76
	s_delay_alu instid0(VALU_DEP_3) | instskip(NEXT) | instid1(VALU_DEP_3)
	v_add_f32_e32 v73, v73, v80
	v_fmac_f32_e32 v77, v62, v54
	v_fmac_f32_e32 v53, v62, v52
	v_fma_f32 v52, v61, v54, -v75
	s_wait_dscnt 0x1
	v_mul_f32_e32 v55, v79, v57
	v_dual_add_f32 v61, v69, v76 :: v_dual_mul_f32 v76, v64, v57
	v_add_f32_e32 v60, v60, v77
	v_add_f32_e32 v62, v70, v52
	v_mul_f32_e32 v70, v78, v57
	v_add_f32_e32 v69, v72, v53
	v_fma_f32 v72, v78, v56, -v55
	ds_load_2addr_b64 v[52:55], v44 offset0:192 offset1:208
	v_mul_f32_e32 v57, v63, v57
	v_fmac_f32_e32 v70, v79, v56
	v_dual_mul_f32 v75, v79, v59 :: v_dual_add_f32 v72, v74, v72
	s_delay_alu instid0(VALU_DEP_3) | instskip(NEXT) | instid1(VALU_DEP_3)
	v_dual_mul_f32 v74, v78, v59 :: v_dual_fmac_f32 v57, v64, v56
	v_add_f32_e32 v70, v81, v70
	s_delay_alu instid0(VALU_DEP_3) | instskip(NEXT) | instid1(VALU_DEP_3)
	v_fma_f32 v75, v78, v58, -v75
	v_fmac_f32_e32 v74, v79, v58
	s_delay_alu instid0(VALU_DEP_1) | instskip(NEXT) | instid1(VALU_DEP_3)
	v_dual_add_f32 v73, v73, v74 :: v_dual_mul_f32 v74, v63, v59
	v_add_f32_e32 v71, v71, v75
	v_fma_f32 v75, v63, v56, -v76
	v_mul_f32_e32 v56, v64, v59
	s_wait_dscnt 0x0
	v_mul_f32_e32 v76, v0, v55
	v_fmac_f32_e32 v74, v64, v58
	v_dual_mul_f32 v64, v0, v53 :: v_dual_add_f32 v61, v61, v75
	v_fma_f32 v63, v63, v58, -v56
	v_add_f32_e32 v69, v69, v57
	ds_load_2addr_b64 v[56:59], v44 offset0:224 offset1:240
	v_mul_f32_e32 v75, v1, v53
	v_fmac_f32_e32 v64, v1, v52
	v_add_f32_e32 v62, v62, v63
	v_add_f32_e32 v74, v60, v74
	v_fmac_f32_e32 v76, v1, v54
	v_fma_f32 v63, v0, v52, -v75
	v_mul_f32_e32 v75, v1, v55
	v_mul_f32_e32 v1, v66, v53
	v_dual_mul_f32 v53, v65, v53 :: v_dual_mul_f32 v60, v66, v55
	s_delay_alu instid0(VALU_DEP_4) | instskip(NEXT) | instid1(VALU_DEP_4)
	v_add_f32_e32 v72, v72, v63
	v_fma_f32 v0, v0, v54, -v75
	v_add_f32_e32 v64, v70, v64
	v_fma_f32 v1, v65, v52, -v1
	v_fmac_f32_e32 v53, v66, v52
	s_delay_alu instid0(VALU_DEP_4)
	v_dual_add_f32 v0, v71, v0 :: v_dual_mul_f32 v71, v65, v55
	s_wait_dscnt 0x0
	v_dual_add_f32 v70, v73, v76 :: v_dual_mul_f32 v55, v3, v57
	v_fma_f32 v52, v65, v54, -v60
	v_add_f32_e32 v65, v61, v1
	v_fmac_f32_e32 v71, v66, v54
	v_dual_mul_f32 v66, v2, v57 :: v_dual_mul_f32 v75, v3, v59
	v_add_f32_e32 v69, v69, v53
	v_fma_f32 v1, v2, v56, -v55
	v_add_f32_e32 v73, v62, v52
	ds_load_b128 v[52:55], v43 offset:64
	ds_load_2addr_b64 v[60:63], v49 offset1:16
	v_dual_add_f32 v71, v74, v71 :: v_dual_fmac_f32 v66, v3, v56
	v_mul_f32_e32 v74, v2, v59
	v_add_f32_e32 v72, v72, v1
	v_fma_f32 v1, v2, v58, -v75
	v_mul_f32_e32 v2, v68, v57
	v_add_f32_e32 v75, v64, v66
	v_dual_mul_f32 v57, v67, v57 :: v_dual_mul_f32 v66, v68, v59
	v_fmac_f32_e32 v74, v3, v58
	s_delay_alu instid0(VALU_DEP_4)
	v_fma_f32 v64, v67, v56, -v2
	v_add_f32_e32 v76, v0, v1
	ds_load_b128 v[0:3], v43 offset:4160
	v_dual_fmac_f32 v57, v68, v56 :: v_dual_add_f32 v74, v70, v74
	v_fma_f32 v56, v67, v58, -v66
	v_dual_mul_f32 v70, v67, v59 :: v_dual_add_f32 v77, v65, v64
	s_wait_dscnt 0x1
	s_delay_alu instid0(VALU_DEP_3)
	v_dual_add_f32 v78, v69, v57 :: v_dual_mul_f32 v81, v52, v63
	v_mul_f32_e32 v59, v53, v61
	v_mul_f32_e32 v69, v52, v61
	v_dual_fmac_f32 v70, v68, v58 :: v_dual_add_f32 v73, v73, v56
	ds_load_b128 v[64:67], v43 offset:80
	v_fma_f32 v68, v52, v60, -v59
	ds_load_2addr_b64 v[56:59], v49 offset0:32 offset1:48
	v_mul_f32_e32 v79, v53, v63
	v_dual_fmac_f32 v69, v53, v60 :: v_dual_add_f32 v80, v71, v70
	v_dual_add_f32 v72, v72, v68 :: v_dual_fmac_f32 v81, v53, v62
	s_delay_alu instid0(VALU_DEP_3)
	v_fma_f32 v52, v52, v62, -v79
	s_wait_dscnt 0x2
	v_mul_f32_e32 v79, v1, v61
	v_add_f32_e32 v75, v75, v69
	ds_load_b128 v[68:71], v43 offset:4176
	v_add_f32_e32 v52, v76, v52
	v_fma_f32 v76, v0, v60, -v79
	v_mul_f32_e32 v53, v0, v61
	s_delay_alu instid0(VALU_DEP_2) | instskip(NEXT) | instid1(VALU_DEP_2)
	v_dual_mul_f32 v79, v0, v63 :: v_dual_add_f32 v76, v77, v76
	v_fmac_f32_e32 v53, v1, v60
	s_wait_dscnt 0x1
	s_delay_alu instid0(VALU_DEP_2) | instskip(SKIP_1) | instid1(VALU_DEP_2)
	v_dual_fmac_f32 v79, v1, v62 :: v_dual_mul_f32 v60, v55, v57
	v_dual_mul_f32 v61, v1, v63 :: v_dual_add_f32 v74, v74, v81
	v_fma_f32 v1, v54, v56, -v60
	s_delay_alu instid0(VALU_DEP_2) | instskip(SKIP_4) | instid1(VALU_DEP_3)
	v_fma_f32 v0, v0, v62, -v61
	ds_load_2addr_b64 v[60:63], v49 offset0:64 offset1:80
	v_dual_mul_f32 v77, v55, v59 :: v_dual_add_f32 v72, v72, v1
	v_dual_add_f32 v73, v73, v0 :: v_dual_mul_f32 v0, v54, v57
	v_mul_f32_e32 v1, v54, v59
	v_fma_f32 v54, v54, v58, -v77
	v_mul_f32_e32 v77, v3, v57
	s_delay_alu instid0(VALU_DEP_4) | instskip(SKIP_1) | instid1(VALU_DEP_4)
	v_dual_mul_f32 v57, v2, v57 :: v_dual_fmac_f32 v0, v55, v56
	v_dual_add_f32 v53, v78, v53 :: v_dual_add_f32 v78, v80, v79
	v_add_f32_e32 v52, v52, v54
	v_mul_f32_e32 v54, v3, v59
	s_delay_alu instid0(VALU_DEP_4) | instskip(SKIP_2) | instid1(VALU_DEP_4)
	v_add_f32_e32 v75, v75, v0
	v_fma_f32 v0, v2, v56, -v77
	v_dual_fmac_f32 v57, v3, v56 :: v_dual_mul_f32 v56, v2, v59
	v_fma_f32 v54, v2, v58, -v54
	s_delay_alu instid0(VALU_DEP_2) | instskip(NEXT) | instid1(VALU_DEP_2)
	v_dual_add_f32 v59, v76, v0 :: v_dual_fmac_f32 v56, v3, v58
	v_add_f32_e32 v54, v73, v54
	s_wait_dscnt 0x0
	v_dual_fmac_f32 v1, v55, v58 :: v_dual_mul_f32 v58, v64, v61
	s_delay_alu instid0(VALU_DEP_3) | instskip(NEXT) | instid1(VALU_DEP_2)
	v_add_f32_e32 v76, v78, v56
	v_dual_fmac_f32 v58, v65, v60 :: v_dual_add_f32 v55, v74, v1
	v_mul_f32_e32 v74, v64, v63
	ds_load_2addr_b64 v[0:3], v49 offset0:96 offset1:112
	v_fmac_f32_e32 v74, v65, v62
	v_add_f32_e32 v53, v53, v57
	v_mul_f32_e32 v57, v65, v61
	s_delay_alu instid0(VALU_DEP_1) | instskip(NEXT) | instid1(VALU_DEP_1)
	v_fma_f32 v57, v64, v60, -v57
	v_dual_mul_f32 v73, v65, v63 :: v_dual_add_f32 v72, v72, v57
	s_delay_alu instid0(VALU_DEP_1) | instskip(SKIP_3) | instid1(VALU_DEP_3)
	v_fma_f32 v56, v64, v62, -v73
	v_dual_add_f32 v64, v75, v58 :: v_dual_mul_f32 v57, v69, v61
	v_dual_mul_f32 v58, v68, v61 :: v_dual_add_f32 v65, v55, v74
	s_wait_dscnt 0x0
	v_dual_add_f32 v61, v52, v56 :: v_dual_mul_f32 v56, v67, v1
	v_mul_f32_e32 v52, v69, v63
	v_fma_f32 v55, v68, v60, -v57
	v_fmac_f32_e32 v58, v69, v60
	v_dual_mul_f32 v60, v68, v63 :: v_dual_mul_f32 v63, v66, v1
	s_delay_alu instid0(VALU_DEP_4) | instskip(NEXT) | instid1(VALU_DEP_3)
	v_fma_f32 v52, v68, v62, -v52
	v_dual_add_f32 v68, v59, v55 :: v_dual_add_f32 v73, v53, v58
	v_mul_f32_e32 v74, v67, v3
	s_delay_alu instid0(VALU_DEP_3)
	v_dual_fmac_f32 v60, v69, v62 :: v_dual_add_f32 v69, v54, v52
	v_fma_f32 v62, v66, v0, -v56
	ds_load_b128 v[52:55], v43 offset:96
	ds_load_2addr_b64 v[56:59], v49 offset0:128 offset1:144
	v_fmac_f32_e32 v63, v67, v0
	v_dual_add_f32 v75, v76, v60 :: v_dual_mul_f32 v60, v66, v3
	v_add_f32_e32 v72, v72, v62
	v_fma_f32 v62, v66, v2, -v74
	s_delay_alu instid0(VALU_DEP_4) | instskip(NEXT) | instid1(VALU_DEP_4)
	v_add_f32_e32 v74, v64, v63
	v_fmac_f32_e32 v60, v67, v2
	v_mul_f32_e32 v66, v71, v1
	s_delay_alu instid0(VALU_DEP_4) | instskip(NEXT) | instid1(VALU_DEP_3)
	v_dual_mul_f32 v1, v70, v1 :: v_dual_add_f32 v76, v61, v62
	v_add_f32_e32 v77, v65, v60
	s_delay_alu instid0(VALU_DEP_3) | instskip(NEXT) | instid1(VALU_DEP_3)
	v_fma_f32 v64, v70, v0, -v66
	v_fmac_f32_e32 v1, v71, v0
	v_mul_f32_e32 v66, v71, v3
	ds_load_b128 v[60:63], v43 offset:4192
	v_dual_add_f32 v78, v68, v64 :: v_dual_add_f32 v73, v73, v1
	v_fma_f32 v0, v70, v2, -v66
	s_wait_dscnt 0x1
	v_dual_mul_f32 v68, v70, v3 :: v_dual_mul_f32 v3, v53, v57
	ds_load_b128 v[64:67], v43 offset:112
	v_dual_mul_f32 v80, v52, v59 :: v_dual_add_f32 v79, v69, v0
	v_fmac_f32_e32 v68, v71, v2
	v_fma_f32 v69, v52, v56, -v3
	ds_load_2addr_b64 v[0:3], v49 offset0:160 offset1:176
	v_mul_f32_e32 v71, v53, v59
	v_fmac_f32_e32 v80, v53, v58
	v_add_f32_e32 v72, v72, v69
	s_wait_dscnt 0x2
	v_mul_f32_e32 v81, v61, v57
	v_dual_mul_f32 v70, v52, v57 :: v_dual_add_f32 v75, v75, v68
	v_fma_f32 v52, v52, v58, -v71
	s_delay_alu instid0(VALU_DEP_2) | instskip(SKIP_1) | instid1(VALU_DEP_2)
	v_dual_fmac_f32 v70, v53, v56 :: v_dual_mul_f32 v53, v60, v57
	v_mul_f32_e32 v57, v61, v59
	v_fmac_f32_e32 v53, v61, v56
	s_delay_alu instid0(VALU_DEP_4) | instskip(SKIP_1) | instid1(VALU_DEP_4)
	v_add_f32_e32 v52, v76, v52
	v_fma_f32 v76, v60, v56, -v81
	v_fma_f32 v56, v60, v58, -v57
	s_wait_dscnt 0x0
	v_dual_mul_f32 v57, v55, v1 :: v_dual_add_f32 v74, v74, v70
	v_dual_add_f32 v77, v77, v80 :: v_dual_mul_f32 v80, v60, v59
	v_dual_add_f32 v53, v73, v53 :: v_dual_add_f32 v60, v78, v76
	s_delay_alu instid0(VALU_DEP_3) | instskip(NEXT) | instid1(VALU_DEP_3)
	v_fma_f32 v76, v54, v0, -v57
	v_dual_mul_f32 v73, v54, v1 :: v_dual_fmac_f32 v80, v61, v58
	v_add_f32_e32 v61, v79, v56
	ds_load_2addr_b64 v[56:59], v49 offset0:192 offset1:208
	v_mul_f32_e32 v78, v55, v3
	v_add_f32_e32 v72, v72, v76
	v_dual_add_f32 v75, v75, v80 :: v_dual_mul_f32 v76, v54, v3
	ds_load_b128 v[68:71], v43 offset:4208
	v_fma_f32 v54, v54, v2, -v78
	v_fmac_f32_e32 v73, v55, v0
	v_fmac_f32_e32 v76, v55, v2
	v_mul_f32_e32 v78, v63, v1
	s_delay_alu instid0(VALU_DEP_4) | instskip(NEXT) | instid1(VALU_DEP_4)
	v_dual_mul_f32 v1, v62, v1 :: v_dual_add_f32 v52, v52, v54
	v_add_f32_e32 v73, v74, v73
	s_delay_alu instid0(VALU_DEP_4) | instskip(NEXT) | instid1(VALU_DEP_3)
	v_dual_mul_f32 v74, v62, v3 :: v_dual_add_f32 v55, v77, v76
	v_fmac_f32_e32 v1, v63, v0
	v_fma_f32 v54, v62, v0, -v78
	v_mul_f32_e32 v0, v63, v3
	s_wait_dscnt 0x1
	v_dual_fmac_f32 v74, v63, v2 :: v_dual_mul_f32 v63, v64, v57
	v_dual_add_f32 v53, v53, v1 :: v_dual_mul_f32 v76, v64, v59
	s_delay_alu instid0(VALU_DEP_2)
	v_dual_fmac_f32 v63, v65, v56 :: v_dual_add_f32 v54, v60, v54
	v_fma_f32 v60, v62, v2, -v0
	ds_load_2addr_b64 v[0:3], v49 offset0:224 offset1:240
	v_fmac_f32_e32 v76, v65, v58
	v_mul_f32_e32 v62, v65, v57
	v_add_f32_e32 v63, v73, v63
	v_add_f32_e32 v60, v61, v60
	s_delay_alu instid0(VALU_DEP_3) | instskip(NEXT) | instid1(VALU_DEP_1)
	v_fma_f32 v61, v64, v56, -v62
	v_dual_mul_f32 v62, v65, v59 :: v_dual_add_f32 v61, v72, v61
	v_add_f32_e32 v74, v75, v74
	s_delay_alu instid0(VALU_DEP_2) | instskip(SKIP_1) | instid1(VALU_DEP_1)
	v_fma_f32 v62, v64, v58, -v62
	s_wait_dscnt 0x0
	v_dual_add_f32 v62, v52, v62 :: v_dual_mul_f32 v73, v66, v1
	v_mul_f32_e32 v64, v69, v57
	v_mul_f32_e32 v57, v68, v57
	;; [unrolled: 1-line block ×3, first 2 shown]
	v_add_f32_e32 v65, v55, v76
	v_dual_fmac_f32 v73, v67, v0 :: v_dual_mul_f32 v52, v69, v59
	v_fma_f32 v55, v68, v56, -v64
	v_dual_fmac_f32 v57, v69, v56 :: v_dual_mul_f32 v64, v68, v59
	v_mul_f32_e32 v56, v67, v1
	s_delay_alu instid0(VALU_DEP_4) | instskip(SKIP_1) | instid1(VALU_DEP_4)
	v_add_f32_e32 v73, v63, v73
	v_fma_f32 v52, v68, v58, -v52
	v_add_f32_e32 v72, v53, v57
	s_delay_alu instid0(VALU_DEP_2) | instskip(SKIP_1) | instid1(VALU_DEP_1)
	v_dual_fmac_f32 v64, v69, v58 :: v_dual_add_f32 v69, v60, v52
	v_fma_f32 v60, v66, v0, -v56
	v_dual_add_f32 v76, v61, v60 :: v_dual_mul_f32 v61, v71, v1
	v_mul_f32_e32 v1, v70, v1
	v_fma_f32 v60, v66, v2, -v75
	s_delay_alu instid0(VALU_DEP_2) | instskip(SKIP_3) | instid1(VALU_DEP_2)
	v_fmac_f32_e32 v1, v71, v0
	v_add_f32_e32 v74, v74, v64
	v_mul_f32_e32 v64, v66, v3
	v_fma_f32 v66, v70, v0, -v61
	v_dual_add_f32 v75, v62, v60 :: v_dual_fmac_f32 v64, v67, v2
	v_add_f32_e32 v68, v54, v55
	ds_load_b128 v[52:55], v43 offset:128
	ds_load_2addr_b64 v[56:59], v50 offset1:16
	v_mul_f32_e32 v67, v71, v3
	ds_load_b128 v[60:63], v43 offset:4224
	v_dual_add_f32 v77, v65, v64 :: v_dual_add_f32 v78, v68, v66
	v_mul_f32_e32 v68, v70, v3
	v_fma_f32 v0, v70, v2, -v67
	ds_load_b128 v[64:67], v43 offset:144
	v_dual_add_f32 v72, v72, v1 :: v_dual_add_f32 v79, v69, v0
	s_wait_dscnt 0x2
	v_dual_mul_f32 v80, v52, v59 :: v_dual_mul_f32 v3, v53, v57
	s_wait_dscnt 0x1
	v_mul_f32_e32 v81, v61, v57
	s_delay_alu instid0(VALU_DEP_2) | instskip(SKIP_2) | instid1(VALU_DEP_3)
	v_fmac_f32_e32 v80, v53, v58
	v_mul_f32_e32 v70, v52, v57
	v_fma_f32 v69, v52, v56, -v3
	v_add_f32_e32 v77, v77, v80
	s_delay_alu instid0(VALU_DEP_3) | instskip(NEXT) | instid1(VALU_DEP_1)
	v_fmac_f32_e32 v70, v53, v56
	v_add_f32_e32 v73, v73, v70
	v_fmac_f32_e32 v68, v71, v2
	ds_load_2addr_b64 v[0:3], v50 offset0:32 offset1:48
	v_mul_f32_e32 v71, v53, v59
	v_mul_f32_e32 v53, v60, v57
	;; [unrolled: 1-line block ×4, first 2 shown]
	s_delay_alu instid0(VALU_DEP_4) | instskip(NEXT) | instid1(VALU_DEP_4)
	v_fma_f32 v52, v52, v58, -v71
	v_fmac_f32_e32 v53, v61, v56
	v_add_f32_e32 v74, v74, v68
	s_delay_alu instid0(VALU_DEP_4) | instskip(NEXT) | instid1(VALU_DEP_4)
	v_fmac_f32_e32 v80, v61, v58
	v_add_f32_e32 v52, v75, v52
	v_fma_f32 v75, v60, v56, -v81
	v_fma_f32 v56, v60, v58, -v57
	v_add_f32_e32 v76, v76, v69
	v_add_f32_e32 v53, v72, v53
	ds_load_b128 v[68:71], v43 offset:4240
	v_dual_add_f32 v60, v78, v75 :: v_dual_add_f32 v61, v79, v56
	s_wait_dscnt 0x1
	v_mul_f32_e32 v57, v55, v1
	v_mul_f32_e32 v72, v54, v1
	;; [unrolled: 1-line block ×3, first 2 shown]
	s_delay_alu instid0(VALU_DEP_3) | instskip(SKIP_4) | instid1(VALU_DEP_3)
	v_fma_f32 v75, v54, v0, -v57
	ds_load_2addr_b64 v[56:59], v50 offset0:64 offset1:80
	v_dual_fmac_f32 v72, v55, v0 :: v_dual_add_f32 v75, v76, v75
	v_mul_f32_e32 v76, v54, v3
	v_fma_f32 v54, v54, v2, -v78
	v_add_f32_e32 v72, v73, v72
	v_mul_f32_e32 v78, v63, v1
	v_mul_f32_e32 v1, v62, v1
	s_delay_alu instid0(VALU_DEP_4) | instskip(NEXT) | instid1(VALU_DEP_3)
	v_dual_mul_f32 v73, v62, v3 :: v_dual_add_f32 v52, v52, v54
	v_fma_f32 v54, v62, v0, -v78
	s_delay_alu instid0(VALU_DEP_3) | instskip(SKIP_1) | instid1(VALU_DEP_4)
	v_fmac_f32_e32 v1, v63, v0
	v_mul_f32_e32 v0, v63, v3
	v_fmac_f32_e32 v73, v63, v2
	s_delay_alu instid0(VALU_DEP_3) | instskip(SKIP_2) | instid1(VALU_DEP_1)
	v_add_f32_e32 v53, v53, v1
	s_wait_dscnt 0x0
	v_mul_f32_e32 v63, v64, v57
	v_dual_fmac_f32 v63, v65, v56 :: v_dual_fmac_f32 v76, v55, v2
	s_delay_alu instid0(VALU_DEP_1) | instskip(SKIP_4) | instid1(VALU_DEP_2)
	v_dual_add_f32 v55, v77, v76 :: v_dual_add_f32 v54, v60, v54
	v_fma_f32 v60, v62, v2, -v0
	ds_load_2addr_b64 v[0:3], v50 offset0:96 offset1:112
	v_mul_f32_e32 v62, v65, v57
	v_add_f32_e32 v60, v61, v60
	v_fma_f32 v61, v64, v56, -v62
	v_add_f32_e32 v74, v74, v80
	s_delay_alu instid0(VALU_DEP_2) | instskip(NEXT) | instid1(VALU_DEP_2)
	v_dual_mul_f32 v62, v65, v59 :: v_dual_add_f32 v61, v75, v61
	v_dual_add_f32 v73, v74, v73 :: v_dual_mul_f32 v76, v64, v59
	s_delay_alu instid0(VALU_DEP_2) | instskip(SKIP_2) | instid1(VALU_DEP_4)
	v_fma_f32 v62, v64, v58, -v62
	v_mul_f32_e32 v64, v69, v57
	v_mul_f32_e32 v57, v68, v57
	v_dual_add_f32 v63, v72, v63 :: v_dual_fmac_f32 v76, v65, v58
	s_wait_dscnt 0x0
	s_delay_alu instid0(VALU_DEP_2) | instskip(SKIP_1) | instid1(VALU_DEP_3)
	v_dual_mul_f32 v74, v66, v1 :: v_dual_fmac_f32 v57, v69, v56
	v_mul_f32_e32 v75, v67, v3
	v_add_f32_e32 v65, v55, v76
	v_fma_f32 v55, v68, v56, -v64
	v_mul_f32_e32 v64, v68, v59
	v_fmac_f32_e32 v74, v67, v0
	s_delay_alu instid0(VALU_DEP_2) | instskip(NEXT) | instid1(VALU_DEP_1)
	v_fmac_f32_e32 v64, v69, v58
	v_dual_add_f32 v73, v73, v64 :: v_dual_mul_f32 v64, v66, v3
	s_delay_alu instid0(VALU_DEP_1) | instskip(SKIP_2) | instid1(VALU_DEP_3)
	v_fmac_f32_e32 v64, v67, v2
	v_add_f32_e32 v62, v52, v62
	v_mul_f32_e32 v52, v69, v59
	v_add_f32_e32 v77, v65, v64
	s_delay_alu instid0(VALU_DEP_2) | instskip(NEXT) | instid1(VALU_DEP_1)
	v_fma_f32 v52, v68, v58, -v52
	v_dual_add_f32 v68, v54, v55 :: v_dual_add_f32 v69, v60, v52
	v_mul_f32_e32 v56, v67, v1
	v_mul_f32_e32 v67, v71, v3
	s_delay_alu instid0(VALU_DEP_2) | instskip(NEXT) | instid1(VALU_DEP_1)
	v_fma_f32 v60, v66, v0, -v56
	v_dual_add_f32 v76, v61, v60 :: v_dual_mul_f32 v61, v71, v1
	v_mul_f32_e32 v1, v70, v1
	v_fma_f32 v60, v66, v2, -v75
	s_delay_alu instid0(VALU_DEP_3) | instskip(NEXT) | instid1(VALU_DEP_3)
	v_fma_f32 v66, v70, v0, -v61
	v_fmac_f32_e32 v1, v71, v0
	v_fma_f32 v0, v70, v2, -v67
	s_delay_alu instid0(VALU_DEP_3) | instskip(NEXT) | instid1(VALU_DEP_2)
	v_dual_add_f32 v75, v62, v60 :: v_dual_add_f32 v78, v68, v66
	v_add_f32_e32 v79, v69, v0
	v_add_f32_e32 v72, v53, v57
	ds_load_b128 v[52:55], v43 offset:160
	ds_load_2addr_b64 v[56:59], v50 offset0:128 offset1:144
	ds_load_b128 v[64:67], v43 offset:176
	s_wait_dscnt 0x1
	v_mul_f32_e32 v80, v52, v59
	s_delay_alu instid0(VALU_DEP_1) | instskip(SKIP_4) | instid1(VALU_DEP_2)
	v_fmac_f32_e32 v80, v53, v58
	v_add_f32_e32 v74, v63, v74
	ds_load_b128 v[60:63], v43 offset:4256
	v_dual_mul_f32 v68, v70, v3 :: v_dual_mul_f32 v3, v53, v57
	v_dual_mul_f32 v70, v52, v57 :: v_dual_add_f32 v77, v77, v80
	v_dual_fmac_f32 v68, v71, v2 :: v_dual_mul_f32 v71, v53, v59
	s_delay_alu instid0(VALU_DEP_3) | instskip(NEXT) | instid1(VALU_DEP_3)
	v_fma_f32 v69, v52, v56, -v3
	v_fmac_f32_e32 v70, v53, v56
	s_delay_alu instid0(VALU_DEP_3) | instskip(NEXT) | instid1(VALU_DEP_4)
	v_add_f32_e32 v73, v73, v68
	v_fma_f32 v52, v52, v58, -v71
	s_wait_dscnt 0x0
	s_delay_alu instid0(VALU_DEP_1) | instskip(SKIP_3) | instid1(VALU_DEP_4)
	v_dual_add_f32 v52, v75, v52 :: v_dual_mul_f32 v81, v61, v57
	v_mul_f32_e32 v53, v60, v57
	v_mul_f32_e32 v57, v61, v59
	;; [unrolled: 1-line block ×3, first 2 shown]
	v_fma_f32 v75, v60, v56, -v81
	s_delay_alu instid0(VALU_DEP_4) | instskip(NEXT) | instid1(VALU_DEP_4)
	v_fmac_f32_e32 v53, v61, v56
	v_fma_f32 v56, v60, v58, -v57
	s_delay_alu instid0(VALU_DEP_1)
	v_dual_fmac_f32 v80, v61, v58 :: v_dual_add_f32 v61, v79, v56
	v_add_f32_e32 v72, v72, v1
	ds_load_2addr_b64 v[0:3], v50 offset0:160 offset1:176
	v_dual_add_f32 v73, v73, v80 :: v_dual_add_f32 v60, v78, v75
	v_add_f32_e32 v53, v72, v53
	v_add_f32_e32 v76, v76, v69
	s_wait_dscnt 0x0
	v_mul_f32_e32 v57, v55, v1
	v_mul_f32_e32 v78, v55, v3
	s_delay_alu instid0(VALU_DEP_2)
	v_fma_f32 v75, v54, v0, -v57
	ds_load_2addr_b64 v[56:59], v50 offset0:192 offset1:208
	v_dual_mul_f32 v72, v54, v1 :: v_dual_add_f32 v75, v76, v75
	v_mul_f32_e32 v76, v54, v3
	v_fma_f32 v54, v54, v2, -v78
	v_mul_f32_e32 v78, v63, v1
	v_mul_f32_e32 v1, v62, v1
	v_add_f32_e32 v74, v74, v70
	ds_load_b128 v[68:71], v43 offset:4272
	v_fmac_f32_e32 v72, v55, v0
	v_add_f32_e32 v52, v52, v54
	v_fma_f32 v54, v62, v0, -v78
	v_fmac_f32_e32 v1, v63, v0
	v_mul_f32_e32 v0, v63, v3
	v_add_f32_e32 v72, v74, v72
	v_fmac_f32_e32 v76, v55, v2
	v_mul_f32_e32 v74, v62, v3
	v_add_f32_e32 v54, v60, v54
	v_fma_f32 v60, v62, v2, -v0
	s_wait_dscnt 0x1
	v_mul_f32_e32 v62, v65, v57
	v_add_f32_e32 v55, v77, v76
	v_dual_add_f32 v53, v53, v1 :: v_dual_fmac_f32 v74, v63, v2
	ds_load_2addr_b64 v[0:3], v50 offset0:224 offset1:240
	v_add_f32_e32 v60, v61, v60
	v_fma_f32 v61, v64, v56, -v62
	v_mul_f32_e32 v62, v65, v59
	v_mul_f32_e32 v76, v64, v59
	;; [unrolled: 1-line block ×3, first 2 shown]
	v_add_f32_e32 v73, v73, v74
	v_add_f32_e32 v61, v75, v61
	v_fma_f32 v62, v64, v58, -v62
	v_fmac_f32_e32 v76, v65, v58
	s_wait_dscnt 0x1
	v_mul_f32_e32 v64, v69, v57
	v_fmac_f32_e32 v63, v65, v56
	v_mul_f32_e32 v57, v68, v57
	v_add_f32_e32 v65, v55, v76
	s_delay_alu instid0(VALU_DEP_4) | instskip(NEXT) | instid1(VALU_DEP_3)
	v_fma_f32 v55, v68, v56, -v64
	v_dual_mul_f32 v64, v68, v59 :: v_dual_fmac_f32 v57, v69, v56
	s_wait_dscnt 0x0
	v_mul_f32_e32 v74, v66, v1
	s_delay_alu instid0(VALU_DEP_2) | instskip(SKIP_2) | instid1(VALU_DEP_4)
	v_fmac_f32_e32 v64, v69, v58
	v_mul_f32_e32 v56, v67, v1
	v_mul_f32_e32 v75, v67, v3
	v_dual_add_f32 v63, v72, v63 :: v_dual_fmac_f32 v74, v67, v0
	s_delay_alu instid0(VALU_DEP_4) | instskip(SKIP_1) | instid1(VALU_DEP_3)
	v_dual_add_f32 v73, v73, v64 :: v_dual_mul_f32 v64, v66, v3
	v_add_f32_e32 v72, v53, v57
	v_add_f32_e32 v74, v63, v74
	s_delay_alu instid0(VALU_DEP_3) | instskip(SKIP_2) | instid1(VALU_DEP_3)
	v_fmac_f32_e32 v64, v67, v2
	v_dual_mul_f32 v67, v71, v3 :: v_dual_add_f32 v62, v52, v62
	v_mul_f32_e32 v52, v69, v59
	v_add_f32_e32 v77, v65, v64
	s_delay_alu instid0(VALU_DEP_2) | instskip(NEXT) | instid1(VALU_DEP_1)
	v_fma_f32 v52, v68, v58, -v52
	v_add_f32_e32 v69, v60, v52
	v_fma_f32 v60, v66, v0, -v56
	s_delay_alu instid0(VALU_DEP_1) | instskip(SKIP_2) | instid1(VALU_DEP_3)
	v_dual_add_f32 v76, v61, v60 :: v_dual_mul_f32 v61, v71, v1
	v_mul_f32_e32 v1, v70, v1
	v_fma_f32 v60, v66, v2, -v75
	v_fma_f32 v66, v70, v0, -v61
	s_delay_alu instid0(VALU_DEP_3) | instskip(SKIP_1) | instid1(VALU_DEP_4)
	v_fmac_f32_e32 v1, v71, v0
	v_fma_f32 v0, v70, v2, -v67
	v_add_f32_e32 v75, v62, v60
	s_delay_alu instid0(VALU_DEP_2)
	v_dual_add_f32 v79, v69, v0 :: v_dual_add_f32 v68, v54, v55
	ds_load_b128 v[52:55], v43 offset:192
	ds_load_2addr_b64 v[56:59], v51 offset1:16
	ds_load_b128 v[60:63], v43 offset:4288
	v_add_f32_e32 v78, v68, v66
	v_mul_f32_e32 v68, v70, v3
	ds_load_b128 v[64:67], v43 offset:208
	v_fmac_f32_e32 v68, v71, v2
	s_delay_alu instid0(VALU_DEP_1)
	v_add_f32_e32 v73, v73, v68
	s_wait_dscnt 0x2
	v_mul_f32_e32 v3, v53, v57
	v_dual_mul_f32 v70, v52, v57 :: v_dual_mul_f32 v71, v53, v59
	s_wait_dscnt 0x1
	v_dual_mul_f32 v80, v52, v59 :: v_dual_mul_f32 v81, v61, v57
	s_delay_alu instid0(VALU_DEP_3) | instskip(NEXT) | instid1(VALU_DEP_3)
	v_fma_f32 v69, v52, v56, -v3
	v_fmac_f32_e32 v70, v53, v56
	v_fma_f32 v52, v52, v58, -v71
	s_delay_alu instid0(VALU_DEP_3) | instskip(NEXT) | instid1(VALU_DEP_3)
	v_add_f32_e32 v76, v76, v69
	v_add_f32_e32 v74, v74, v70
	ds_load_b128 v[68:71], v43 offset:4304
	v_add_f32_e32 v72, v72, v1
	ds_load_2addr_b64 v[0:3], v51 offset0:32 offset1:48
	v_dual_fmac_f32 v80, v53, v58 :: v_dual_mul_f32 v53, v60, v57
	v_dual_mul_f32 v57, v61, v59 :: v_dual_add_f32 v52, v75, v52
	v_fma_f32 v75, v60, v56, -v81
	s_delay_alu instid0(VALU_DEP_3) | instskip(NEXT) | instid1(VALU_DEP_4)
	v_add_f32_e32 v77, v77, v80
	v_dual_fmac_f32 v53, v61, v56 :: v_dual_mul_f32 v80, v60, v59
	s_delay_alu instid0(VALU_DEP_4) | instskip(NEXT) | instid1(VALU_DEP_2)
	v_fma_f32 v56, v60, v58, -v57
	v_dual_add_f32 v60, v78, v75 :: v_dual_add_f32 v53, v72, v53
	s_delay_alu instid0(VALU_DEP_2) | instskip(NEXT) | instid1(VALU_DEP_1)
	v_dual_fmac_f32 v80, v61, v58 :: v_dual_add_f32 v61, v79, v56
	v_add_f32_e32 v73, v73, v80
	s_wait_dscnt 0x0
	v_mul_f32_e32 v57, v55, v1
	v_mul_f32_e32 v72, v54, v1
	;; [unrolled: 1-line block ×3, first 2 shown]
	s_delay_alu instid0(VALU_DEP_3)
	v_fma_f32 v75, v54, v0, -v57
	ds_load_2addr_b64 v[56:59], v51 offset0:64 offset1:80
	v_dual_fmac_f32 v72, v55, v0 :: v_dual_add_f32 v75, v76, v75
	v_mul_f32_e32 v76, v54, v3
	v_fma_f32 v54, v54, v2, -v78
	v_mul_f32_e32 v78, v63, v1
	v_mul_f32_e32 v1, v62, v1
	v_add_f32_e32 v72, v74, v72
	v_mul_f32_e32 v74, v62, v3
	v_add_f32_e32 v52, v52, v54
	v_fma_f32 v54, v62, v0, -v78
	v_fmac_f32_e32 v1, v63, v0
	v_mul_f32_e32 v0, v63, v3
	v_fmac_f32_e32 v76, v55, v2
	v_fmac_f32_e32 v74, v63, v2
	s_delay_alu instid0(VALU_DEP_4) | instskip(NEXT) | instid1(VALU_DEP_4)
	v_dual_add_f32 v54, v60, v54 :: v_dual_add_f32 v53, v53, v1
	v_fma_f32 v60, v62, v2, -v0
	s_wait_dscnt 0x0
	v_mul_f32_e32 v62, v65, v57
	ds_load_2addr_b64 v[0:3], v51 offset0:96 offset1:112
	v_dual_add_f32 v55, v77, v76 :: v_dual_mul_f32 v76, v64, v59
	v_add_f32_e32 v60, v61, v60
	v_fma_f32 v61, v64, v56, -v62
	v_dual_mul_f32 v62, v65, v59 :: v_dual_mul_f32 v63, v64, v57
	s_delay_alu instid0(VALU_DEP_4) | instskip(SKIP_1) | instid1(VALU_DEP_4)
	v_fmac_f32_e32 v76, v65, v58
	v_add_f32_e32 v73, v73, v74
	v_add_f32_e32 v61, v75, v61
	s_delay_alu instid0(VALU_DEP_4) | instskip(SKIP_3) | instid1(VALU_DEP_4)
	v_fma_f32 v62, v64, v58, -v62
	v_mul_f32_e32 v64, v69, v57
	v_mul_f32_e32 v57, v68, v57
	v_fmac_f32_e32 v63, v65, v56
	v_dual_add_f32 v65, v55, v76 :: v_dual_add_f32 v62, v52, v62
	v_mul_f32_e32 v52, v69, v59
	v_fma_f32 v55, v68, v56, -v64
	v_dual_fmac_f32 v57, v69, v56 :: v_dual_mul_f32 v64, v68, v59
	s_wait_dscnt 0x0
	v_mul_f32_e32 v56, v67, v1
	v_fma_f32 v52, v68, v58, -v52
	v_add_f32_e32 v63, v72, v63
	v_add_f32_e32 v68, v54, v55
	;; [unrolled: 1-line block ×3, first 2 shown]
	s_delay_alu instid0(VALU_DEP_4)
	v_dual_fmac_f32 v64, v69, v58 :: v_dual_add_f32 v69, v60, v52
	v_fma_f32 v60, v66, v0, -v56
	ds_load_b128 v[52:55], v43 offset:224
	ds_load_2addr_b64 v[56:59], v51 offset0:128 offset1:144
	v_mul_f32_e32 v75, v67, v3
	v_dual_add_f32 v73, v73, v64 :: v_dual_mul_f32 v64, v66, v3
	v_mul_f32_e32 v74, v66, v1
	s_delay_alu instid0(VALU_DEP_3) | instskip(SKIP_1) | instid1(VALU_DEP_4)
	v_fma_f32 v66, v66, v2, -v75
	v_dual_add_f32 v75, v61, v60 :: v_dual_mul_f32 v60, v71, v1
	v_fmac_f32_e32 v64, v67, v2
	s_delay_alu instid0(VALU_DEP_4) | instskip(NEXT) | instid1(VALU_DEP_4)
	v_fmac_f32_e32 v74, v67, v0
	v_add_f32_e32 v76, v62, v66
	v_mul_f32_e32 v1, v70, v1
	v_fma_f32 v66, v70, v0, -v60
	v_dual_add_f32 v77, v65, v64 :: v_dual_mul_f32 v64, v71, v3
	v_add_f32_e32 v74, v63, v74
	ds_load_b128 v[60:63], v43 offset:4320
	v_dual_fmac_f32 v1, v71, v0 :: v_dual_add_f32 v78, v68, v66
	v_mul_f32_e32 v68, v70, v3
	v_fma_f32 v0, v70, v2, -v64
	s_wait_dscnt 0x1
	v_mul_f32_e32 v3, v53, v57
	v_mul_f32_e32 v70, v53, v59
	;; [unrolled: 1-line block ×3, first 2 shown]
	v_dual_fmac_f32 v68, v71, v2 :: v_dual_add_f32 v79, v69, v0
	s_delay_alu instid0(VALU_DEP_4) | instskip(SKIP_2) | instid1(VALU_DEP_4)
	v_fma_f32 v69, v52, v56, -v3
	v_mul_f32_e32 v81, v52, v59
	v_fma_f32 v52, v52, v58, -v70
	v_add_f32_e32 v73, v73, v68
	ds_load_b128 v[64:67], v43 offset:240
	v_add_f32_e32 v75, v75, v69
	ds_load_b128 v[68:71], v43 offset:4336
	v_add_f32_e32 v72, v72, v1
	ds_load_2addr_b64 v[0:3], v51 offset0:160 offset1:176
	v_fmac_f32_e32 v80, v53, v56
	s_wait_dscnt 0x3
	v_mul_f32_e32 v82, v61, v57
	v_fmac_f32_e32 v81, v53, v58
	v_mul_f32_e32 v53, v60, v57
	v_add_f32_e32 v52, v76, v52
	v_mul_f32_e32 v76, v61, v59
	v_fma_f32 v57, v60, v56, -v82
	v_add_f32_e32 v74, v74, v80
	v_dual_fmac_f32 v53, v61, v56 :: v_dual_mul_f32 v80, v60, v59
	s_delay_alu instid0(VALU_DEP_4) | instskip(NEXT) | instid1(VALU_DEP_4)
	v_fma_f32 v56, v60, v58, -v76
	v_add_f32_e32 v78, v78, v57
	v_add_f32_e32 v77, v77, v81
	s_delay_alu instid0(VALU_DEP_4) | instskip(NEXT) | instid1(VALU_DEP_4)
	v_dual_add_f32 v53, v72, v53 :: v_dual_fmac_f32 v80, v61, v58
	v_add_f32_e32 v61, v79, v56
	s_wait_dscnt 0x0
	v_mul_f32_e32 v57, v55, v1
	v_mul_f32_e32 v60, v54, v1
	v_dual_mul_f32 v76, v55, v3 :: v_dual_add_f32 v73, v73, v80
	s_delay_alu instid0(VALU_DEP_3) | instskip(SKIP_4) | instid1(VALU_DEP_3)
	v_fma_f32 v72, v54, v0, -v57
	ds_load_2addr_b64 v[56:59], v51 offset0:192 offset1:208
	v_fmac_f32_e32 v60, v55, v0
	v_dual_add_f32 v72, v75, v72 :: v_dual_mul_f32 v75, v54, v3
	v_fma_f32 v54, v54, v2, -v76
	v_add_f32_e32 v60, v74, v60
	v_mul_f32_e32 v74, v63, v1
	v_mul_f32_e32 v1, v62, v1
	v_fmac_f32_e32 v75, v55, v2
	v_add_f32_e32 v52, v52, v54
	v_mul_f32_e32 v54, v63, v3
	v_fma_f32 v55, v62, v0, -v74
	s_delay_alu instid0(VALU_DEP_4) | instskip(SKIP_1) | instid1(VALU_DEP_4)
	v_dual_fmac_f32 v1, v63, v0 :: v_dual_add_f32 v74, v77, v75
	v_mul_f32_e32 v75, v62, v3
	v_fma_f32 v0, v62, v2, -v54
	s_delay_alu instid0(VALU_DEP_3)
	v_dual_add_f32 v54, v78, v55 :: v_dual_add_f32 v53, v53, v1
	s_wait_dscnt 0x0
	v_mul_f32_e32 v55, v65, v57
	v_fmac_f32_e32 v75, v63, v2
	v_add_f32_e32 v61, v61, v0
	ds_load_2addr_b64 v[0:3], v51 offset0:224 offset1:240
	v_mul_f32_e32 v62, v64, v57
	v_fma_f32 v55, v64, v56, -v55
	v_add_f32_e32 v63, v73, v75
	v_mul_f32_e32 v73, v65, v59
	s_delay_alu instid0(VALU_DEP_4) | instskip(NEXT) | instid1(VALU_DEP_4)
	v_dual_mul_f32 v75, v64, v59 :: v_dual_fmac_f32 v62, v65, v56
	v_dual_add_f32 v55, v72, v55 :: v_dual_mul_f32 v72, v69, v57
	s_delay_alu instid0(VALU_DEP_3) | instskip(SKIP_1) | instid1(VALU_DEP_4)
	v_fma_f32 v64, v64, v58, -v73
	v_mul_f32_e32 v57, v68, v57
	v_add_f32_e32 v60, v60, v62
	v_fmac_f32_e32 v75, v65, v58
	v_fma_f32 v62, v68, v56, -v72
	v_add_f32_e32 v52, v52, v64
	v_mul_f32_e32 v64, v69, v59
	v_dual_fmac_f32 v57, v69, v56 :: v_dual_mul_f32 v56, v68, v59
	s_delay_alu instid0(VALU_DEP_4) | instskip(SKIP_1) | instid1(VALU_DEP_4)
	v_add_f32_e32 v54, v54, v62
	v_add_f32_e32 v65, v74, v75
	v_fma_f32 v59, v68, v58, -v64
	s_wait_dscnt 0x0
	v_mul_f32_e32 v62, v67, v1
	v_mul_f32_e32 v64, v66, v1
	v_add_f32_e32 v53, v53, v57
	v_fmac_f32_e32 v56, v69, v58
	v_add_f32_e32 v61, v61, v59
	v_fma_f32 v57, v66, v0, -v62
	v_fmac_f32_e32 v64, v67, v0
	v_mul_f32_e32 v62, v67, v3
	v_dual_mul_f32 v68, v66, v3 :: v_dual_add_f32 v63, v63, v56
	s_delay_alu instid0(VALU_DEP_3) | instskip(NEXT) | instid1(VALU_DEP_3)
	v_dual_add_f32 v58, v55, v57 :: v_dual_add_f32 v59, v60, v64
	v_fma_f32 v55, v66, v2, -v62
	v_mul_f32_e32 v57, v71, v1
	v_dual_mul_f32 v1, v70, v1 :: v_dual_mul_f32 v60, v71, v3
	v_dual_mul_f32 v3, v70, v3 :: v_dual_fmac_f32 v68, v67, v2
	s_delay_alu instid0(VALU_DEP_4) | instskip(NEXT) | instid1(VALU_DEP_4)
	v_add_f32_e32 v56, v52, v55
	v_fma_f32 v52, v70, v0, -v57
	s_delay_alu instid0(VALU_DEP_4) | instskip(SKIP_3) | instid1(VALU_DEP_4)
	v_fmac_f32_e32 v1, v71, v0
	v_fma_f32 v0, v70, v2, -v60
	v_fmac_f32_e32 v3, v71, v2
	v_add_f32_e32 v57, v65, v68
	v_dual_add_f32 v54, v54, v52 :: v_dual_add_f32 v55, v53, v1
	s_delay_alu instid0(VALU_DEP_3)
	v_dual_add_f32 v53, v61, v0 :: v_dual_add_f32 v52, v63, v3
	s_wait_loadcnt 0x0
	s_barrier_signal -1
	s_barrier_wait -1
	global_inv scope:SCOPE_SE
	s_cbranch_scc1 .LBB94_60
.LBB94_11:                              ;   Parent Loop BB94_4 Depth=1
                                        ;     Parent Loop BB94_8 Depth=2
                                        ; =>    This Inner Loop Header: Depth=3
	s_wait_alu 0xfffe
	v_add_co_u32 v0, s5, v18, s58
	s_wait_alu 0xf1ff
	v_add_co_ci_u32_e64 v1, null, s59, v19, s5
	v_cmp_eq_u64_e64 s7, s[58:59], v[22:23]
	v_add_co_u32 v2, s8, v28, v24
	s_delay_alu instid0(VALU_DEP_3)
	v_cmp_lt_i64_e64 s5, v[0:1], v[20:21]
	v_cmp_le_i64_e64 s6, s[42:43], v[0:1]
	s_wait_alu 0xf1ff
	v_add_co_ci_u32_e64 v3, null, v29, v25, s8
	s_and_b32 s68, s62, s7
	s_or_b32 s8, vcc_lo, s5
	s_wait_alu 0xfffe
	s_or_b32 s7, s6, s8
	s_wait_alu 0xfffe
	s_nor_b32 s7, s7, s68
	s_wait_alu 0xfffe
	s_and_saveexec_b32 s8, s7
	s_wait_alu 0xfffe
	s_xor_b32 s7, exec_lo, s8
	s_cbranch_execz .LBB94_13
; %bb.12:                               ;   in Loop: Header=BB94_11 Depth=3
	global_load_b64 v[60:61], v[2:3], off
	s_wait_loadcnt 0x0
	v_xor_b32_e32 v61, 0x80000000, v61
	ds_store_b64 v45, v[60:61]
.LBB94_13:                              ;   in Loop: Header=BB94_11 Depth=3
	s_wait_alu 0xfffe
	s_or_saveexec_b32 s7, s7
	s_xor_b32 s67, s68, -1
	s_wait_alu 0xfffe
	s_xor_b32 exec_lo, exec_lo, s7
	s_cbranch_execz .LBB94_19
; %bb.14:                               ;   in Loop: Header=BB94_11 Depth=3
	s_and_saveexec_b32 s8, s67
	s_wait_alu 0xfffe
	s_xor_b32 s8, exec_lo, s8
; %bb.15:                               ;   in Loop: Header=BB94_11 Depth=3
	v_dual_mov_b32 v60, v11 :: v_dual_mov_b32 v61, v11
	ds_store_b64 v45, v[60:61]
; %bb.16:                               ;   in Loop: Header=BB94_11 Depth=3
	s_wait_alu 0xfffe
	s_and_not1_saveexec_b32 s8, s8
; %bb.17:                               ;   in Loop: Header=BB94_11 Depth=3
	ds_store_b64 v45, v[10:11]
; %bb.18:                               ;   in Loop: Header=BB94_11 Depth=3
	s_wait_alu 0xfffe
	s_or_b32 exec_lo, exec_lo, s8
.LBB94_19:                              ;   in Loop: Header=BB94_11 Depth=3
	s_delay_alu instid0(SALU_CYCLE_1) | instskip(SKIP_4) | instid1(VALU_DEP_2)
	s_or_b32 exec_lo, exec_lo, s7
	v_add_co_u32 v60, s7, v0, 16
	s_wait_alu 0xf1ff
	v_add_co_ci_u32_e64 v61, null, 0, v1, s7
	v_cmp_eq_u64_e64 s9, s[58:59], v[38:39]
	v_cmp_lt_i64_e64 s8, v[60:61], v[20:21]
	v_cmp_le_i64_e64 s7, s[42:43], v[60:61]
	s_and_b32 s9, s62, s9
	s_or_b32 s8, vcc_lo, s8
	s_wait_alu 0xfffe
	s_or_b32 s8, s7, s8
	s_wait_alu 0xfffe
	s_nor_b32 s8, s8, s9
	s_wait_alu 0xfffe
	s_and_saveexec_b32 s69, s8
	s_delay_alu instid0(SALU_CYCLE_1)
	s_xor_b32 s69, exec_lo, s69
	s_cbranch_execz .LBB94_21
; %bb.20:                               ;   in Loop: Header=BB94_11 Depth=3
	v_add_co_u32 v60, s8, v26, v24
	s_wait_alu 0xf1ff
	v_add_co_ci_u32_e64 v61, null, v27, v25, s8
	global_load_b64 v[60:61], v[60:61], off
	s_wait_loadcnt 0x0
	v_xor_b32_e32 v61, 0x80000000, v61
	ds_store_b64 v45, v[60:61] offset:128
.LBB94_21:                              ;   in Loop: Header=BB94_11 Depth=3
	s_and_not1_saveexec_b32 s8, s69
	s_cbranch_execz .LBB94_27
; %bb.22:                               ;   in Loop: Header=BB94_11 Depth=3
	s_xor_b32 s9, s9, -1
	s_wait_alu 0xfffe
	s_and_saveexec_b32 s69, s9
	s_delay_alu instid0(SALU_CYCLE_1)
	s_xor_b32 s9, exec_lo, s69
; %bb.23:                               ;   in Loop: Header=BB94_11 Depth=3
	v_dual_mov_b32 v60, v11 :: v_dual_mov_b32 v61, v11
	ds_store_b64 v45, v[60:61] offset:128
; %bb.24:                               ;   in Loop: Header=BB94_11 Depth=3
	s_wait_alu 0xfffe
	s_and_not1_saveexec_b32 s9, s9
; %bb.25:                               ;   in Loop: Header=BB94_11 Depth=3
	ds_store_b64 v45, v[10:11] offset:128
; %bb.26:                               ;   in Loop: Header=BB94_11 Depth=3
	s_wait_alu 0xfffe
	s_or_b32 exec_lo, exec_lo, s9
.LBB94_27:                              ;   in Loop: Header=BB94_11 Depth=3
	s_wait_alu 0xfffe
	s_or_b32 exec_lo, exec_lo, s8
	v_cmp_eq_u64_e64 s8, s[58:59], v[36:37]
	v_cmp_lt_i64_e64 s9, v[0:1], v[34:35]
	s_and_b32 s8, s62, s8
	s_or_b32 s9, s4, s9
	s_wait_alu 0xfffe
	s_or_b32 s9, s9, s8
	s_wait_alu 0xfffe
	s_nor_b32 s6, s6, s9
	s_wait_alu 0xfffe
	s_and_saveexec_b32 s9, s6
	s_wait_alu 0xfffe
	s_xor_b32 s6, exec_lo, s9
	s_cbranch_execz .LBB94_29
; %bb.28:                               ;   in Loop: Header=BB94_11 Depth=3
	global_load_b64 v[0:1], v[2:3], off offset:128
	s_wait_loadcnt 0x0
	v_xor_b32_e32 v1, 0x80000000, v1
	ds_store_b64 v45, v[0:1] offset:4096
.LBB94_29:                              ;   in Loop: Header=BB94_11 Depth=3
	s_wait_alu 0xfffe
	s_and_not1_saveexec_b32 s6, s6
	s_cbranch_execz .LBB94_35
; %bb.30:                               ;   in Loop: Header=BB94_11 Depth=3
	s_xor_b32 s8, s8, -1
	s_wait_alu 0xfffe
	s_and_saveexec_b32 s9, s8
	s_wait_alu 0xfffe
	s_xor_b32 s8, exec_lo, s9
; %bb.31:                               ;   in Loop: Header=BB94_11 Depth=3
	v_dual_mov_b32 v0, v11 :: v_dual_mov_b32 v1, v11
	ds_store_b64 v45, v[0:1] offset:4096
; %bb.32:                               ;   in Loop: Header=BB94_11 Depth=3
	s_wait_alu 0xfffe
	s_and_not1_saveexec_b32 s8, s8
; %bb.33:                               ;   in Loop: Header=BB94_11 Depth=3
	ds_store_b64 v45, v[10:11] offset:4096
; %bb.34:                               ;   in Loop: Header=BB94_11 Depth=3
	s_wait_alu 0xfffe
	s_or_b32 exec_lo, exec_lo, s8
.LBB94_35:                              ;   in Loop: Header=BB94_11 Depth=3
	s_wait_alu 0xfffe
	s_or_b32 exec_lo, exec_lo, s6
	s_or_b32 s5, s4, s5
	s_wait_alu 0xfffe
	s_or_b32 s5, s7, s5
	s_wait_alu 0xfffe
	s_nor_b32 s5, s5, s68
	s_wait_alu 0xfffe
	s_and_saveexec_b32 s6, s5
	s_wait_alu 0xfffe
	s_xor_b32 s6, exec_lo, s6
	s_cbranch_execz .LBB94_37
; %bb.36:                               ;   in Loop: Header=BB94_11 Depth=3
	v_add_co_u32 v0, s5, v26, v24
	s_wait_alu 0xf1ff
	v_add_co_ci_u32_e64 v1, null, v27, v25, s5
	global_load_b64 v[0:1], v[0:1], off offset:128
	s_wait_loadcnt 0x0
	v_xor_b32_e32 v1, 0x80000000, v1
	ds_store_b64 v45, v[0:1] offset:4224
.LBB94_37:                              ;   in Loop: Header=BB94_11 Depth=3
	s_wait_alu 0xfffe
	s_and_not1_saveexec_b32 s5, s6
	s_cbranch_execz .LBB94_43
; %bb.38:                               ;   in Loop: Header=BB94_11 Depth=3
	s_and_saveexec_b32 s6, s67
	s_wait_alu 0xfffe
	s_xor_b32 s6, exec_lo, s6
; %bb.39:                               ;   in Loop: Header=BB94_11 Depth=3
	v_dual_mov_b32 v0, v11 :: v_dual_mov_b32 v1, v11
	ds_store_b64 v45, v[0:1] offset:4224
; %bb.40:                               ;   in Loop: Header=BB94_11 Depth=3
	s_wait_alu 0xfffe
	s_and_not1_saveexec_b32 s6, s6
; %bb.41:                               ;   in Loop: Header=BB94_11 Depth=3
	ds_store_b64 v45, v[10:11] offset:4224
; %bb.42:                               ;   in Loop: Header=BB94_11 Depth=3
	s_wait_alu 0xfffe
	s_or_b32 exec_lo, exec_lo, s6
.LBB94_43:                              ;   in Loop: Header=BB94_11 Depth=3
	s_wait_alu 0xfffe
	s_or_b32 exec_lo, exec_lo, s5
	v_add_co_u32 v0, s5, v16, s58
	s_wait_alu 0xf1ff
	v_add_co_ci_u32_e64 v1, null, s59, v17, s5
	v_add_co_u32 v2, s6, v30, v40
	s_wait_alu 0xf1ff
	v_add_co_ci_u32_e64 v3, null, v31, v41, s6
	s_delay_alu instid0(VALU_DEP_3)
	v_cmp_le_i64_e64 s5, s[42:43], v[0:1]
	s_nor_b32 s6, s5, s2
	s_wait_alu 0xfffe
	s_and_saveexec_b32 s7, s6
	s_wait_alu 0xfffe
	s_xor_b32 s6, exec_lo, s7
	s_cbranch_execz .LBB94_45
; %bb.44:                               ;   in Loop: Header=BB94_11 Depth=3
	global_load_b64 v[60:61], v[2:3], off offset:-128
	s_wait_loadcnt 0x0
	ds_store_b64 v46, v[60:61]
.LBB94_45:                              ;   in Loop: Header=BB94_11 Depth=3
	s_wait_alu 0xfffe
	s_and_not1_saveexec_b32 s6, s6
; %bb.46:                               ;   in Loop: Header=BB94_11 Depth=3
	v_dual_mov_b32 v60, v11 :: v_dual_mov_b32 v61, v11
	ds_store_b64 v46, v[60:61]
; %bb.47:                               ;   in Loop: Header=BB94_11 Depth=3
	s_wait_alu 0xfffe
	s_or_b32 exec_lo, exec_lo, s6
	s_nor_b32 s5, s5, s3
	s_wait_alu 0xfffe
	s_and_saveexec_b32 s6, s5
	s_wait_alu 0xfffe
	s_xor_b32 s5, exec_lo, s6
	s_cbranch_execz .LBB94_49
; %bb.48:                               ;   in Loop: Header=BB94_11 Depth=3
	global_load_b64 v[2:3], v[2:3], off
	s_wait_loadcnt 0x0
	ds_store_b64 v46, v[2:3] offset:128
.LBB94_49:                              ;   in Loop: Header=BB94_11 Depth=3
	s_wait_alu 0xfffe
	s_and_not1_saveexec_b32 s5, s5
; %bb.50:                               ;   in Loop: Header=BB94_11 Depth=3
	v_dual_mov_b32 v2, v11 :: v_dual_mov_b32 v3, v11
	ds_store_b64 v46, v[2:3] offset:128
; %bb.51:                               ;   in Loop: Header=BB94_11 Depth=3
	s_wait_alu 0xfffe
	s_or_b32 exec_lo, exec_lo, s5
	v_cmp_le_i64_e64 s5, s[50:51], v[0:1]
	v_add_co_u32 v0, s6, v32, v40
	s_wait_alu 0xf1ff
	v_add_co_ci_u32_e64 v1, null, v33, v41, s6
	s_nor_b32 s6, s5, s2
	s_wait_alu 0xfffe
	s_and_saveexec_b32 s7, s6
	s_wait_alu 0xfffe
	s_xor_b32 s6, exec_lo, s7
	s_cbranch_execz .LBB94_53
; %bb.52:                               ;   in Loop: Header=BB94_11 Depth=3
	global_load_b64 v[2:3], v[0:1], off
	s_wait_loadcnt 0x0
	ds_store_b64 v46, v[2:3] offset:4096
.LBB94_53:                              ;   in Loop: Header=BB94_11 Depth=3
	s_wait_alu 0xfffe
	s_and_not1_saveexec_b32 s6, s6
; %bb.54:                               ;   in Loop: Header=BB94_11 Depth=3
	v_dual_mov_b32 v2, v11 :: v_dual_mov_b32 v3, v11
	ds_store_b64 v46, v[2:3] offset:4096
; %bb.55:                               ;   in Loop: Header=BB94_11 Depth=3
	s_wait_alu 0xfffe
	s_or_b32 exec_lo, exec_lo, s6
	s_nor_b32 s5, s5, s3
	s_wait_alu 0xfffe
	s_and_saveexec_b32 s6, s5
	s_wait_alu 0xfffe
	s_xor_b32 s5, exec_lo, s6
	s_cbranch_execz .LBB94_57
; %bb.56:                               ;   in Loop: Header=BB94_11 Depth=3
	global_load_b64 v[0:1], v[0:1], off offset:128
	s_wait_loadcnt 0x0
	ds_store_b64 v46, v[0:1] offset:4224
.LBB94_57:                              ;   in Loop: Header=BB94_11 Depth=3
	s_wait_alu 0xfffe
	s_and_not1_saveexec_b32 s5, s5
	s_cbranch_execz .LBB94_10
; %bb.58:                               ;   in Loop: Header=BB94_11 Depth=3
	v_dual_mov_b32 v0, v11 :: v_dual_mov_b32 v1, v11
	ds_store_b64 v46, v[0:1] offset:4224
	s_branch .LBB94_10
.LBB94_59:                              ;   in Loop: Header=BB94_8 Depth=2
	v_dual_mov_b32 v58, 0 :: v_dual_mov_b32 v59, 0
	v_dual_mov_b32 v56, 0 :: v_dual_mov_b32 v57, 0
	;; [unrolled: 1-line block ×4, first 2 shown]
.LBB94_60:                              ;   in Loop: Header=BB94_8 Depth=2
	v_mul_lo_u32 v2, s29, v20
	v_mul_lo_u32 v3, s28, v21
	v_mad_co_u64_u32 v[0:1], null, s28, v20, 0
	v_cmp_gt_i32_e32 vcc_lo, s10, v20
	s_delay_alu instid0(VALU_DEP_2) | instskip(NEXT) | instid1(VALU_DEP_1)
	v_add3_u32 v1, v1, v3, v2
	v_lshlrev_b64_e32 v[0:1], 3, v[0:1]
	s_delay_alu instid0(VALU_DEP_1) | instskip(SKIP_1) | instid1(VALU_DEP_2)
	v_add_co_u32 v0, s4, s54, v0
	s_wait_alu 0xf1ff
	v_add_co_ci_u32_e64 v1, null, s55, v1, s4
	s_and_b32 s4, s0, vcc_lo
	s_wait_alu 0xfffe
	s_and_saveexec_b32 s5, s4
	s_cbranch_execz .LBB94_62
; %bb.61:                               ;   in Loop: Header=BB94_8 Depth=2
	v_add_co_u32 v2, s4, v0, v6
	s_wait_alu 0xf1ff
	v_add_co_ci_u32_e64 v3, null, v1, v7, s4
	v_mul_f32_e32 v17, v59, v13
	v_mul_f32_e32 v19, v59, v12
	global_load_b64 v[21:22], v[2:3], off
	v_fma_f32 v17, v58, v12, -v17
	v_fmac_f32_e32 v19, v58, v13
	s_wait_loadcnt 0x0
	s_delay_alu instid0(VALU_DEP_1)
	v_dual_add_f32 v21, v21, v17 :: v_dual_add_f32 v22, v19, v22
	global_store_b64 v[2:3], v[21:22], off
.LBB94_62:                              ;   in Loop: Header=BB94_8 Depth=2
	s_wait_alu 0xfffe
	s_or_b32 exec_lo, exec_lo, s5
	s_and_b32 s5, s1, vcc_lo
	s_wait_alu 0xfffe
	s_and_saveexec_b32 s4, s5
	s_cbranch_execz .LBB94_64
; %bb.63:                               ;   in Loop: Header=BB94_8 Depth=2
	v_lshlrev_b64_e32 v[2:3], 3, v[4:5]
	v_mul_f32_e32 v17, v57, v13
	s_delay_alu instid0(VALU_DEP_1) | instskip(NEXT) | instid1(VALU_DEP_3)
	v_fma_f32 v17, v56, v12, -v17
	v_add_co_u32 v0, vcc_lo, v0, v2
	s_wait_alu 0xfffd
	s_delay_alu instid0(VALU_DEP_4) | instskip(SKIP_3) | instid1(VALU_DEP_1)
	v_add_co_ci_u32_e64 v1, null, v1, v3, vcc_lo
	global_load_b64 v[2:3], v[0:1], off
	s_wait_loadcnt 0x0
	v_dual_mul_f32 v19, v57, v12 :: v_dual_add_f32 v2, v2, v17
	v_fmac_f32_e32 v19, v56, v13
	s_delay_alu instid0(VALU_DEP_1)
	v_add_f32_e32 v3, v19, v3
	global_store_b64 v[0:1], v[2:3], off
.LBB94_64:                              ;   in Loop: Header=BB94_8 Depth=2
	s_wait_alu 0xfffe
	s_or_b32 exec_lo, exec_lo, s4
	v_add_nc_u32_e32 v2, 16, v20
	s_delay_alu instid0(VALU_DEP_1) | instskip(SKIP_3) | instid1(VALU_DEP_4)
	v_ashrrev_i32_e32 v3, 31, v2
	v_mul_lo_u32 v17, s29, v2
	v_mad_co_u64_u32 v[0:1], null, s28, v2, 0
	v_cmp_gt_i32_e32 vcc_lo, s10, v2
	v_mul_lo_u32 v3, s28, v3
	s_delay_alu instid0(VALU_DEP_1) | instskip(NEXT) | instid1(VALU_DEP_1)
	v_add3_u32 v1, v1, v3, v17
	v_lshlrev_b64_e32 v[0:1], 3, v[0:1]
	s_delay_alu instid0(VALU_DEP_1) | instskip(SKIP_1) | instid1(VALU_DEP_2)
	v_add_co_u32 v0, s4, s54, v0
	s_wait_alu 0xf1ff
	v_add_co_ci_u32_e64 v1, null, s55, v1, s4
	s_and_b32 s4, s0, vcc_lo
	s_wait_alu 0xfffe
	s_and_saveexec_b32 s5, s4
	s_cbranch_execz .LBB94_66
; %bb.65:                               ;   in Loop: Header=BB94_8 Depth=2
	v_add_co_u32 v2, s4, v0, v6
	s_wait_alu 0xf1ff
	v_add_co_ci_u32_e64 v3, null, v1, v7, s4
	v_mul_f32_e32 v21, v55, v12
	global_load_b64 v[19:20], v[2:3], off
	v_fmac_f32_e32 v21, v54, v13
	s_wait_loadcnt 0x0
	s_delay_alu instid0(VALU_DEP_1) | instskip(NEXT) | instid1(VALU_DEP_1)
	v_dual_mul_f32 v17, v55, v13 :: v_dual_add_f32 v20, v21, v20
	v_fma_f32 v17, v54, v12, -v17
	s_delay_alu instid0(VALU_DEP_1)
	v_add_f32_e32 v19, v19, v17
	global_store_b64 v[2:3], v[19:20], off
.LBB94_66:                              ;   in Loop: Header=BB94_8 Depth=2
	s_wait_alu 0xfffe
	s_or_b32 exec_lo, exec_lo, s5
	s_and_b32 s5, s1, vcc_lo
	s_wait_alu 0xfffe
	s_and_saveexec_b32 s4, s5
	s_cbranch_execz .LBB94_7
; %bb.67:                               ;   in Loop: Header=BB94_8 Depth=2
	v_lshlrev_b64_e32 v[2:3], 3, v[4:5]
	v_mul_f32_e32 v17, v52, v13
	s_delay_alu instid0(VALU_DEP_1) | instskip(NEXT) | instid1(VALU_DEP_3)
	v_fma_f32 v17, v53, v12, -v17
	v_add_co_u32 v0, vcc_lo, v0, v2
	s_wait_alu 0xfffd
	s_delay_alu instid0(VALU_DEP_4) | instskip(SKIP_3) | instid1(VALU_DEP_1)
	v_add_co_ci_u32_e64 v1, null, v1, v3, vcc_lo
	global_load_b64 v[2:3], v[0:1], off
	s_wait_loadcnt 0x0
	v_dual_mul_f32 v19, v52, v12 :: v_dual_add_f32 v2, v2, v17
	v_fmac_f32_e32 v19, v53, v13
	s_delay_alu instid0(VALU_DEP_1)
	v_add_f32_e32 v3, v19, v3
	global_store_b64 v[0:1], v[2:3], off
	s_branch .LBB94_7
.LBB94_68:
	s_endpgm
	.section	.rodata,"a",@progbits
	.p2align	6, 0x0
	.amdhsa_kernel _ZL30rocblas_trmm_outofplace_kernelI19rocblas_complex_numIfELi32ELi2ELb0ELb1ELb1ELb1EPKS1_S2_S1_Ev17rocblas_diagonal_iiT6_lPT7_lllS7_lllPT8_llli
		.amdhsa_group_segment_fixed_size 16384
		.amdhsa_private_segment_fixed_size 0
		.amdhsa_kernarg_size 392
		.amdhsa_user_sgpr_count 2
		.amdhsa_user_sgpr_dispatch_ptr 0
		.amdhsa_user_sgpr_queue_ptr 0
		.amdhsa_user_sgpr_kernarg_segment_ptr 1
		.amdhsa_user_sgpr_dispatch_id 0
		.amdhsa_user_sgpr_private_segment_size 0
		.amdhsa_wavefront_size32 1
		.amdhsa_uses_dynamic_stack 0
		.amdhsa_enable_private_segment 0
		.amdhsa_system_sgpr_workgroup_id_x 1
		.amdhsa_system_sgpr_workgroup_id_y 1
		.amdhsa_system_sgpr_workgroup_id_z 1
		.amdhsa_system_sgpr_workgroup_info 0
		.amdhsa_system_vgpr_workitem_id 1
		.amdhsa_next_free_vgpr 94
		.amdhsa_next_free_sgpr 70
		.amdhsa_reserve_vcc 1
		.amdhsa_float_round_mode_32 0
		.amdhsa_float_round_mode_16_64 0
		.amdhsa_float_denorm_mode_32 3
		.amdhsa_float_denorm_mode_16_64 3
		.amdhsa_fp16_overflow 0
		.amdhsa_workgroup_processor_mode 1
		.amdhsa_memory_ordered 1
		.amdhsa_forward_progress 1
		.amdhsa_inst_pref_size 60
		.amdhsa_round_robin_scheduling 0
		.amdhsa_exception_fp_ieee_invalid_op 0
		.amdhsa_exception_fp_denorm_src 0
		.amdhsa_exception_fp_ieee_div_zero 0
		.amdhsa_exception_fp_ieee_overflow 0
		.amdhsa_exception_fp_ieee_underflow 0
		.amdhsa_exception_fp_ieee_inexact 0
		.amdhsa_exception_int_div_zero 0
	.end_amdhsa_kernel
	.section	.text._ZL30rocblas_trmm_outofplace_kernelI19rocblas_complex_numIfELi32ELi2ELb0ELb1ELb1ELb1EPKS1_S2_S1_Ev17rocblas_diagonal_iiT6_lPT7_lllS7_lllPT8_llli,"axG",@progbits,_ZL30rocblas_trmm_outofplace_kernelI19rocblas_complex_numIfELi32ELi2ELb0ELb1ELb1ELb1EPKS1_S2_S1_Ev17rocblas_diagonal_iiT6_lPT7_lllS7_lllPT8_llli,comdat
.Lfunc_end94:
	.size	_ZL30rocblas_trmm_outofplace_kernelI19rocblas_complex_numIfELi32ELi2ELb0ELb1ELb1ELb1EPKS1_S2_S1_Ev17rocblas_diagonal_iiT6_lPT7_lllS7_lllPT8_llli, .Lfunc_end94-_ZL30rocblas_trmm_outofplace_kernelI19rocblas_complex_numIfELi32ELi2ELb0ELb1ELb1ELb1EPKS1_S2_S1_Ev17rocblas_diagonal_iiT6_lPT7_lllS7_lllPT8_llli
                                        ; -- End function
	.set _ZL30rocblas_trmm_outofplace_kernelI19rocblas_complex_numIfELi32ELi2ELb0ELb1ELb1ELb1EPKS1_S2_S1_Ev17rocblas_diagonal_iiT6_lPT7_lllS7_lllPT8_llli.num_vgpr, 94
	.set _ZL30rocblas_trmm_outofplace_kernelI19rocblas_complex_numIfELi32ELi2ELb0ELb1ELb1ELb1EPKS1_S2_S1_Ev17rocblas_diagonal_iiT6_lPT7_lllS7_lllPT8_llli.num_agpr, 0
	.set _ZL30rocblas_trmm_outofplace_kernelI19rocblas_complex_numIfELi32ELi2ELb0ELb1ELb1ELb1EPKS1_S2_S1_Ev17rocblas_diagonal_iiT6_lPT7_lllS7_lllPT8_llli.numbered_sgpr, 70
	.set _ZL30rocblas_trmm_outofplace_kernelI19rocblas_complex_numIfELi32ELi2ELb0ELb1ELb1ELb1EPKS1_S2_S1_Ev17rocblas_diagonal_iiT6_lPT7_lllS7_lllPT8_llli.num_named_barrier, 0
	.set _ZL30rocblas_trmm_outofplace_kernelI19rocblas_complex_numIfELi32ELi2ELb0ELb1ELb1ELb1EPKS1_S2_S1_Ev17rocblas_diagonal_iiT6_lPT7_lllS7_lllPT8_llli.private_seg_size, 0
	.set _ZL30rocblas_trmm_outofplace_kernelI19rocblas_complex_numIfELi32ELi2ELb0ELb1ELb1ELb1EPKS1_S2_S1_Ev17rocblas_diagonal_iiT6_lPT7_lllS7_lllPT8_llli.uses_vcc, 1
	.set _ZL30rocblas_trmm_outofplace_kernelI19rocblas_complex_numIfELi32ELi2ELb0ELb1ELb1ELb1EPKS1_S2_S1_Ev17rocblas_diagonal_iiT6_lPT7_lllS7_lllPT8_llli.uses_flat_scratch, 0
	.set _ZL30rocblas_trmm_outofplace_kernelI19rocblas_complex_numIfELi32ELi2ELb0ELb1ELb1ELb1EPKS1_S2_S1_Ev17rocblas_diagonal_iiT6_lPT7_lllS7_lllPT8_llli.has_dyn_sized_stack, 0
	.set _ZL30rocblas_trmm_outofplace_kernelI19rocblas_complex_numIfELi32ELi2ELb0ELb1ELb1ELb1EPKS1_S2_S1_Ev17rocblas_diagonal_iiT6_lPT7_lllS7_lllPT8_llli.has_recursion, 0
	.set _ZL30rocblas_trmm_outofplace_kernelI19rocblas_complex_numIfELi32ELi2ELb0ELb1ELb1ELb1EPKS1_S2_S1_Ev17rocblas_diagonal_iiT6_lPT7_lllS7_lllPT8_llli.has_indirect_call, 0
	.section	.AMDGPU.csdata,"",@progbits
; Kernel info:
; codeLenInByte = 7636
; TotalNumSgprs: 72
; NumVgprs: 94
; ScratchSize: 0
; MemoryBound: 0
; FloatMode: 240
; IeeeMode: 1
; LDSByteSize: 16384 bytes/workgroup (compile time only)
; SGPRBlocks: 0
; VGPRBlocks: 11
; NumSGPRsForWavesPerEU: 72
; NumVGPRsForWavesPerEU: 94
; Occupancy: 16
; WaveLimiterHint : 0
; COMPUTE_PGM_RSRC2:SCRATCH_EN: 0
; COMPUTE_PGM_RSRC2:USER_SGPR: 2
; COMPUTE_PGM_RSRC2:TRAP_HANDLER: 0
; COMPUTE_PGM_RSRC2:TGID_X_EN: 1
; COMPUTE_PGM_RSRC2:TGID_Y_EN: 1
; COMPUTE_PGM_RSRC2:TGID_Z_EN: 1
; COMPUTE_PGM_RSRC2:TIDIG_COMP_CNT: 1
	.section	.text._ZL30rocblas_trmm_outofplace_kernelI19rocblas_complex_numIfELi32ELi2ELb0ELb1ELb1ELb1ES1_KS1_S1_Ev17rocblas_diagonal_iiT6_lPT7_lllS6_lllPT8_llli,"axG",@progbits,_ZL30rocblas_trmm_outofplace_kernelI19rocblas_complex_numIfELi32ELi2ELb0ELb1ELb1ELb1ES1_KS1_S1_Ev17rocblas_diagonal_iiT6_lPT7_lllS6_lllPT8_llli,comdat
	.globl	_ZL30rocblas_trmm_outofplace_kernelI19rocblas_complex_numIfELi32ELi2ELb0ELb1ELb1ELb1ES1_KS1_S1_Ev17rocblas_diagonal_iiT6_lPT7_lllS6_lllPT8_llli ; -- Begin function _ZL30rocblas_trmm_outofplace_kernelI19rocblas_complex_numIfELi32ELi2ELb0ELb1ELb1ELb1ES1_KS1_S1_Ev17rocblas_diagonal_iiT6_lPT7_lllS6_lllPT8_llli
	.p2align	8
	.type	_ZL30rocblas_trmm_outofplace_kernelI19rocblas_complex_numIfELi32ELi2ELb0ELb1ELb1ELb1ES1_KS1_S1_Ev17rocblas_diagonal_iiT6_lPT7_lllS6_lllPT8_llli,@function
_ZL30rocblas_trmm_outofplace_kernelI19rocblas_complex_numIfELi32ELi2ELb0ELb1ELb1ELb1ES1_KS1_S1_Ev17rocblas_diagonal_iiT6_lPT7_lllS6_lllPT8_llli: ; @_ZL30rocblas_trmm_outofplace_kernelI19rocblas_complex_numIfELi32ELi2ELb0ELb1ELb1ELb1ES1_KS1_S1_Ev17rocblas_diagonal_iiT6_lPT7_lllS6_lllPT8_llli
; %bb.0:
	s_load_b32 s33, s[0:1], 0x80
	s_lshr_b32 s34, ttmp7, 16
	s_wait_kmcnt 0x0
	s_cmp_ge_u32 s34, s33
	s_cbranch_scc1 .LBB95_67
; %bb.1:
	s_load_b64 s[40:41], s[0:1], 0xc
	s_mov_b32 s35, 0
	s_wait_kmcnt 0x0
	s_or_b32 s2, s40, s41
	s_delay_alu instid0(SALU_CYCLE_1) | instskip(NEXT) | instid1(SALU_CYCLE_1)
	s_bitset0_b32 s2, 31
	s_cmp_eq_u32 s2, 0
	s_cbranch_scc1 .LBB95_67
; %bb.2:
	s_clause 0x1
	s_load_b96 s[36:38], s[0:1], 0x0
	s_load_b512 s[8:23], s[0:1], 0x20
	s_add_nc_u64 s[42:43], s[0:1], 0x88
	s_load_b256 s[24:31], s[0:1], 0x60
	v_dual_mov_b32 v11, 0 :: v_dual_and_b32 v6, 0x3ff, v0
	v_bfe_u32 v40, v0, 10, 10
	s_and_b32 s39, ttmp7, 0xffff
	v_mov_b32_e32 v10, 1.0
	s_delay_alu instid0(VALU_DEP_3) | instskip(SKIP_2) | instid1(VALU_DEP_3)
	v_lshl_add_u32 v0, ttmp9, 5, v6
	v_lshlrev_b32_e32 v2, 3, v6
	v_lshlrev_b32_e32 v41, 8, v40
	v_ashrrev_i32_e32 v1, 31, v0
	s_delay_alu instid0(VALU_DEP_3) | instskip(NEXT) | instid1(VALU_DEP_3)
	v_or_b32_e32 v42, 0x2000, v2
	v_add_nc_u32_e32 v43, v41, v2
	v_add_nc_u32_e32 v4, 16, v0
	s_delay_alu instid0(VALU_DEP_3)
	v_add_nc_u32_e32 v44, v42, v41
	s_wait_kmcnt 0x0
	s_add_co_i32 s0, s38, -1
	v_sub_co_u32 v2, vcc_lo, s37, v0
	s_wait_alu 0xfffe
	s_ashr_i32 s1, s0, 31
	v_ashrrev_i32_e32 v5, 31, v4
	s_wait_alu 0xfffe
	s_lshr_b32 s1, s1, 27
	v_add_nc_u32_e32 v47, 0x800, v42
	s_wait_alu 0xfffe
	s_add_co_i32 s0, s0, s1
	v_cmp_gt_i32_e64 s1, s37, v4
	s_wait_alu 0xfffe
	s_ashr_i32 s58, s0, 5
	v_cmp_gt_i32_e64 s0, s37, v0
	s_cmp_le_i32 s39, s58
	v_add_nc_u32_e32 v48, 0x1000, v42
	s_cselect_b32 s59, -1, 0
	s_cmp_eq_u32 s36, 0x84
	v_add_nc_u32_e32 v49, 0x1800, v42
	s_cselect_b32 s60, -1, 0
	s_lshl_b32 s4, s39, 5
	s_ashr_i32 s2, s37, 31
	v_add_nc_u32_e32 v45, s4, v6
	v_lshlrev_b64_e32 v[6:7], 3, v[0:1]
	v_sub_co_ci_u32_e64 v3, null, s2, v1, vcc_lo
	v_add_nc_u32_e32 v46, s4, v40
	s_lshl_b64 s[4:5], s[10:11], 3
	s_lshl_b64 s[2:3], s[26:27], 3
	s_wait_alu 0xfffe
	s_add_nc_u64 s[10:11], s[8:9], s[4:5]
	s_lshl_b64 s[4:5], s[18:19], 3
	s_add_nc_u64 s[24:25], s[24:25], s[2:3]
	s_wait_alu 0xfffe
	v_add_co_u32 v8, vcc_lo, s4, v6
	v_cmp_gt_i64_e64 s2, 1, v[2:3]
	v_cmp_gt_i64_e64 s3, 17, v[2:3]
	s_wait_alu 0xfffd
	v_add_co_ci_u32_e64 v9, null, s5, v7, vcc_lo
	s_mov_b32 s44, s38
	s_ashr_i32 s45, s38, 31
	s_lshl_b64 s[46:47], s[12:13], 8
	s_lshl_b64 s[48:49], s[20:21], 8
	s_add_nc_u64 s[26:27], s[44:45], -16
	s_lshl_b64 s[14:15], s[14:15], 3
	s_lshl_b64 s[36:37], s[12:13], 3
	s_add_nc_u64 s[18:19], s[16:17], 0x80
	s_lshl_b64 s[50:51], s[20:21], 3
	s_lshl_b64 s[22:23], s[22:23], 3
	s_branch .LBB95_4
.LBB95_3:                               ;   in Loop: Header=BB95_4 Depth=1
	s_add_co_i32 s34, s34, 0x10000
	s_wait_alu 0xfffe
	s_cmp_ge_u32 s34, s33
	s_cbranch_scc1 .LBB95_67
.LBB95_4:                               ; =>This Loop Header: Depth=1
                                        ;     Child Loop BB95_7 Depth 2
                                        ;       Child Loop BB95_10 Depth 3
	s_and_not1_b32 vcc_lo, exec_lo, s59
	s_wait_alu 0xfffe
	s_cbranch_vccnz .LBB95_3
; %bb.5:                                ;   in Loop: Header=BB95_4 Depth=1
	v_mad_co_u64_u32 v[12:13], null, s22, s34, v[8:9]
	s_load_b32 s61, s[42:43], 0x4
	s_mul_u64 s[4:5], s[30:31], s[34:35]
	v_mov_b32_e32 v16, v45
	s_mul_u64 s[6:7], s[14:15], s[34:35]
	s_wait_alu 0xfffe
	s_lshl_b64 s[4:5], s[4:5], 3
	s_add_nc_u64 s[54:55], s[10:11], s[6:7]
	v_mov_b32_e32 v0, v13
	s_wait_alu 0xfffe
	s_add_nc_u64 s[52:53], s[24:25], s[4:5]
	s_mov_b32 s63, s39
	s_delay_alu instid0(VALU_DEP_1) | instskip(NEXT) | instid1(VALU_DEP_1)
	v_mad_co_u64_u32 v[0:1], null, s23, s34, v[0:1]
	v_dual_mov_b32 v14, v46 :: v_dual_mov_b32 v13, v0
	s_wait_kmcnt 0x0
	s_lshl_b32 s62, s61, 5
	s_branch .LBB95_7
.LBB95_6:                               ;   in Loop: Header=BB95_7 Depth=2
	s_wait_alu 0xfffe
	s_or_b32 exec_lo, exec_lo, s4
	v_add_nc_u32_e32 v16, s62, v16
	v_add_nc_u32_e32 v14, s62, v14
	s_add_co_i32 s63, s61, s63
	s_wait_alu 0xfffe
	s_cmp_gt_i32 s63, s58
	s_cbranch_scc1 .LBB95_3
.LBB95_7:                               ;   Parent Loop BB95_4 Depth=1
                                        ; =>  This Loop Header: Depth=2
                                        ;       Child Loop BB95_10 Depth 3
	s_wait_alu 0xfffe
	s_lshl_b32 s4, s63, 5
	v_ashrrev_i32_e32 v17, 31, v16
	s_wait_alu 0xfffe
	v_add_nc_u32_e32 v18, s4, v40
	v_ashrrev_i32_e32 v15, 31, v14
	s_sub_co_i32 s64, s38, s4
	s_delay_alu instid0(SALU_CYCLE_1) | instskip(NEXT) | instid1(VALU_DEP_2)
	s_cmp_lt_i32 s64, 1
	v_ashrrev_i32_e32 v19, 31, v18
	s_cbranch_scc1 .LBB95_58
; %bb.8:                                ;   in Loop: Header=BB95_7 Depth=2
	v_lshlrev_b64_e32 v[0:1], 3, v[16:17]
	v_lshlrev_b64_e32 v[22:23], 3, v[14:15]
	v_mad_co_u64_u32 v[28:29], null, s50, v14, s[18:19]
	v_mul_lo_u32 v34, s50, v15
	v_mul_lo_u32 v35, s51, v14
	v_add_co_u32 v0, vcc_lo, 0x80, v0
	s_wait_alu 0xfffd
	v_add_co_ci_u32_e64 v1, null, 0, v1, vcc_lo
	v_sub_co_u32 v20, vcc_lo, v14, v16
	s_wait_alu 0xfffd
	v_sub_co_ci_u32_e64 v21, null, v15, v17, vcc_lo
	v_add_co_u32 v30, vcc_lo, 0x80, v22
	s_wait_alu 0xfffd
	v_add_co_ci_u32_e64 v31, null, 0, v23, vcc_lo
	v_mul_lo_u32 v1, s12, v1
	s_delay_alu instid0(VALU_DEP_3) | instskip(SKIP_1) | instid1(VALU_DEP_4)
	v_mul_lo_u32 v37, s21, v30
	v_mul_lo_u32 v2, s13, v0
	;; [unrolled: 1-line block ×3, first 2 shown]
	v_mad_co_u64_u32 v[30:31], null, s20, v30, s[16:17]
	v_mad_co_u64_u32 v[24:25], null, s12, v0, s[54:55]
	;; [unrolled: 1-line block ×3, first 2 shown]
	v_mul_lo_u32 v0, s36, v17
	v_mul_lo_u32 v3, s37, v16
	v_add_co_u32 v32, vcc_lo, v18, 16
	s_wait_alu 0xfffd
	v_add_co_ci_u32_e64 v33, null, 0, v19, vcc_lo
	v_add3_u32 v29, v35, v29, v34
	v_add_co_u32 v34, s5, v20, 16
	v_add3_u32 v31, v37, v31, v36
	s_wait_alu 0xf1ff
	v_add_co_ci_u32_e64 v35, null, 0, v21, s5
	v_add_co_u32 v36, s5, v20, -16
	v_cmp_le_i64_e64 s4, s[44:45], v[32:33]
	v_dual_mov_b32 v50, 0 :: v_dual_mov_b32 v39, v13
	v_add3_u32 v25, v2, v25, v1
	v_add3_u32 v27, v3, v27, v0
	s_wait_alu 0xf1ff
	v_add_co_ci_u32_e64 v37, null, -1, v21, s5
	v_dual_mov_b32 v38, v12 :: v_dual_mov_b32 v51, 0
	v_dual_mov_b32 v53, 0 :: v_dual_mov_b32 v52, 0
	;; [unrolled: 1-line block ×4, first 2 shown]
	s_mov_b64 s[56:57], 0
	v_cmp_le_i32_e32 vcc_lo, s38, v18
	s_branch .LBB95_10
.LBB95_9:                               ;   in Loop: Header=BB95_10 Depth=3
	s_wait_alu 0xfffe
	s_or_b32 exec_lo, exec_lo, s5
	s_wait_dscnt 0x0
	s_barrier_signal -1
	s_barrier_wait -1
	global_inv scope:SCOPE_SE
	ds_load_b128 v[58:61], v41
	ds_load_2addr_b64 v[62:65], v42 offset1:16
	ds_load_b128 v[66:69], v41 offset:4096
	ds_load_b128 v[70:73], v41 offset:16
	ds_load_b128 v[74:77], v41 offset:32
	ds_load_b128 v[0:3], v41 offset:48
	ds_load_2addr_b64 v[78:81], v42 offset0:32 offset1:48
	ds_load_b128 v[82:85], v41 offset:4112
	v_add_co_u32 v24, s5, v24, s46
	s_wait_alu 0xf1ff
	v_add_co_ci_u32_e64 v25, null, s47, v25, s5
	v_add_co_u32 v26, s5, v26, s46
	s_wait_alu 0xf1ff
	v_add_co_ci_u32_e64 v27, null, s47, v27, s5
	;; [unrolled: 3-line block ×3, first 2 shown]
	s_add_nc_u64 s[56:57], s[56:57], 32
	s_wait_dscnt 0x6
	v_dual_mul_f32 v86, v59, v63 :: v_dual_mul_f32 v89, v58, v65
	v_dual_mul_f32 v87, v58, v63 :: v_dual_mul_f32 v88, v59, v65
	s_wait_dscnt 0x5
	v_mul_f32_e32 v90, v67, v63
	s_delay_alu instid0(VALU_DEP_3)
	v_fma_f32 v86, v58, v62, -v86
	v_mul_f32_e32 v63, v66, v63
	v_fmac_f32_e32 v87, v59, v62
	v_fma_f32 v58, v58, v64, -v88
	v_mul_f32_e32 v91, v67, v65
	v_mul_f32_e32 v65, v66, v65
	v_fmac_f32_e32 v89, v59, v64
	v_fma_f32 v59, v66, v62, -v90
	v_add_f32_e32 v56, v56, v86
	s_delay_alu instid0(VALU_DEP_4)
	v_dual_add_f32 v58, v54, v58 :: v_dual_fmac_f32 v65, v67, v64
	v_fmac_f32_e32 v63, v67, v62
	v_fma_f32 v62, v66, v64, -v91
	s_wait_dscnt 0x1
	v_mul_f32_e32 v66, v61, v79
	v_mul_f32_e32 v64, v60, v79
	v_add_f32_e32 v57, v57, v87
	v_add_f32_e32 v55, v55, v89
	;; [unrolled: 1-line block ×3, first 2 shown]
	v_fma_f32 v66, v60, v78, -v66
	v_dual_add_f32 v50, v50, v65 :: v_dual_add_f32 v63, v53, v63
	v_dual_fmac_f32 v64, v61, v78 :: v_dual_add_f32 v59, v52, v59
	ds_load_2addr_b64 v[51:54], v42 offset0:64 offset1:80
	v_mul_f32_e32 v67, v61, v81
	v_mul_f32_e32 v65, v60, v81
	v_add_f32_e32 v66, v56, v66
	v_dual_add_f32 v64, v57, v64 :: v_dual_mul_f32 v57, v68, v79
	s_delay_alu instid0(VALU_DEP_4)
	v_fma_f32 v56, v60, v80, -v67
	v_mul_f32_e32 v60, v69, v79
	v_fmac_f32_e32 v65, v61, v80
	s_wait_alu 0xfffe
	s_cmp_ge_i32 s56, s64
	v_add_f32_e32 v61, v58, v56
	v_fma_f32 v56, v68, v78, -v60
	v_mul_f32_e32 v58, v69, v81
	v_add_f32_e32 v60, v55, v65
	v_mul_f32_e32 v65, v68, v81
	s_delay_alu instid0(VALU_DEP_3) | instskip(SKIP_2) | instid1(VALU_DEP_2)
	v_fma_f32 v55, v68, v80, -v58
	s_wait_dscnt 0x0
	v_mul_f32_e32 v67, v70, v52
	v_add_f32_e32 v62, v62, v55
	s_delay_alu instid0(VALU_DEP_2) | instskip(SKIP_2) | instid1(VALU_DEP_3)
	v_fmac_f32_e32 v67, v71, v51
	v_add_f32_e32 v59, v59, v56
	v_mul_f32_e32 v56, v71, v52
	v_dual_add_f32 v64, v64, v67 :: v_dual_mul_f32 v67, v83, v52
	s_delay_alu instid0(VALU_DEP_2) | instskip(SKIP_2) | instid1(VALU_DEP_2)
	v_fma_f32 v68, v70, v51, -v56
	v_dual_fmac_f32 v57, v69, v78 :: v_dual_mul_f32 v52, v82, v52
	v_fmac_f32_e32 v65, v69, v80
	v_dual_add_f32 v66, v66, v68 :: v_dual_add_f32 v63, v63, v57
	ds_load_2addr_b64 v[55:58], v42 offset0:96 offset1:112
	v_mul_f32_e32 v69, v71, v54
	v_dual_add_f32 v65, v50, v65 :: v_dual_fmac_f32 v52, v83, v51
	v_mul_f32_e32 v50, v70, v54
	s_delay_alu instid0(VALU_DEP_3) | instskip(NEXT) | instid1(VALU_DEP_1)
	v_fma_f32 v68, v70, v53, -v69
	v_dual_fmac_f32 v50, v71, v53 :: v_dual_add_f32 v61, v61, v68
	v_mul_f32_e32 v68, v83, v54
	v_mul_f32_e32 v54, v82, v54
	s_delay_alu instid0(VALU_DEP_3) | instskip(NEXT) | instid1(VALU_DEP_3)
	v_add_f32_e32 v60, v60, v50
	v_fma_f32 v50, v82, v53, -v68
	s_delay_alu instid0(VALU_DEP_3) | instskip(NEXT) | instid1(VALU_DEP_2)
	v_fmac_f32_e32 v54, v83, v53
	v_add_f32_e32 v68, v62, v50
	v_fma_f32 v67, v82, v51, -v67
	s_wait_dscnt 0x0
	v_mul_f32_e32 v62, v72, v56
	v_add_f32_e32 v63, v63, v52
	ds_load_2addr_b64 v[50:53], v42 offset0:128 offset1:144
	v_add_f32_e32 v65, v65, v54
	v_dual_add_f32 v67, v59, v67 :: v_dual_mul_f32 v54, v72, v58
	v_fmac_f32_e32 v62, v73, v55
	v_mul_f32_e32 v59, v73, v56
	s_delay_alu instid0(VALU_DEP_3) | instskip(NEXT) | instid1(VALU_DEP_3)
	v_fmac_f32_e32 v54, v73, v57
	v_add_f32_e32 v64, v64, v62
	s_delay_alu instid0(VALU_DEP_3) | instskip(NEXT) | instid1(VALU_DEP_1)
	v_fma_f32 v59, v72, v55, -v59
	v_dual_mul_f32 v69, v73, v58 :: v_dual_add_f32 v66, v66, v59
	s_delay_alu instid0(VALU_DEP_1)
	v_fma_f32 v69, v72, v57, -v69
	v_mul_f32_e32 v59, v85, v56
	v_mul_f32_e32 v56, v84, v56
	v_add_f32_e32 v71, v60, v54
	v_mul_f32_e32 v54, v85, v58
	v_mul_f32_e32 v58, v84, v58
	v_fma_f32 v70, v84, v55, -v59
	v_fmac_f32_e32 v56, v85, v55
	v_add_f32_e32 v69, v61, v69
	ds_load_b128 v[59:62], v41 offset:4128
	s_wait_dscnt 0x1
	v_mul_f32_e32 v55, v75, v51
	v_fma_f32 v54, v84, v57, -v54
	v_add_f32_e32 v67, v67, v70
	v_dual_add_f32 v70, v63, v56 :: v_dual_mul_f32 v63, v74, v51
	v_fmac_f32_e32 v58, v85, v57
	s_delay_alu instid0(VALU_DEP_4)
	v_dual_add_f32 v68, v68, v54 :: v_dual_mul_f32 v73, v75, v53
	v_fma_f32 v72, v74, v50, -v55
	ds_load_2addr_b64 v[54:57], v42 offset0:160 offset1:176
	v_fmac_f32_e32 v63, v75, v50
	v_fma_f32 v73, v74, v52, -v73
	v_add_f32_e32 v72, v66, v72
	s_delay_alu instid0(VALU_DEP_3)
	v_dual_add_f32 v58, v65, v58 :: v_dual_add_f32 v79, v64, v63
	ds_load_b128 v[63:66], v41 offset:4144
	v_mul_f32_e32 v78, v74, v53
	s_wait_dscnt 0x2
	v_dual_add_f32 v69, v69, v73 :: v_dual_mul_f32 v74, v60, v51
	v_mul_f32_e32 v51, v59, v51
	s_delay_alu instid0(VALU_DEP_3) | instskip(SKIP_1) | instid1(VALU_DEP_4)
	v_dual_mul_f32 v73, v60, v53 :: v_dual_fmac_f32 v78, v75, v52
	v_mul_f32_e32 v75, v59, v53
	v_fma_f32 v74, v59, v50, -v74
	s_delay_alu instid0(VALU_DEP_3) | instskip(NEXT) | instid1(VALU_DEP_3)
	v_add_f32_e32 v71, v71, v78
	v_fmac_f32_e32 v75, v60, v52
	v_fmac_f32_e32 v51, v60, v50
	v_fma_f32 v50, v59, v52, -v73
	s_wait_dscnt 0x1
	v_mul_f32_e32 v53, v77, v55
	v_dual_add_f32 v59, v67, v74 :: v_dual_mul_f32 v74, v62, v55
	v_add_f32_e32 v58, v58, v75
	v_add_f32_e32 v60, v68, v50
	v_mul_f32_e32 v68, v76, v55
	v_add_f32_e32 v67, v70, v51
	v_fma_f32 v70, v76, v54, -v53
	ds_load_2addr_b64 v[50:53], v42 offset0:192 offset1:208
	v_mul_f32_e32 v55, v61, v55
	v_fmac_f32_e32 v68, v77, v54
	v_dual_mul_f32 v73, v77, v57 :: v_dual_add_f32 v70, v72, v70
	s_delay_alu instid0(VALU_DEP_3) | instskip(NEXT) | instid1(VALU_DEP_3)
	v_dual_mul_f32 v72, v76, v57 :: v_dual_fmac_f32 v55, v62, v54
	v_add_f32_e32 v68, v79, v68
	s_delay_alu instid0(VALU_DEP_3) | instskip(NEXT) | instid1(VALU_DEP_3)
	v_fma_f32 v73, v76, v56, -v73
	v_fmac_f32_e32 v72, v77, v56
	s_delay_alu instid0(VALU_DEP_1) | instskip(NEXT) | instid1(VALU_DEP_3)
	v_dual_add_f32 v71, v71, v72 :: v_dual_mul_f32 v72, v61, v57
	v_add_f32_e32 v69, v69, v73
	v_fma_f32 v73, v61, v54, -v74
	v_mul_f32_e32 v54, v62, v57
	s_wait_dscnt 0x0
	v_mul_f32_e32 v74, v0, v53
	v_fmac_f32_e32 v72, v62, v56
	v_dual_mul_f32 v62, v0, v51 :: v_dual_add_f32 v59, v59, v73
	v_fma_f32 v61, v61, v56, -v54
	v_add_f32_e32 v67, v67, v55
	v_mul_f32_e32 v73, v1, v51
	ds_load_2addr_b64 v[54:57], v42 offset0:224 offset1:240
	v_fmac_f32_e32 v62, v1, v50
	v_add_f32_e32 v60, v60, v61
	v_fmac_f32_e32 v74, v1, v52
	v_fma_f32 v61, v0, v50, -v73
	v_dual_mul_f32 v73, v1, v53 :: v_dual_add_f32 v72, v58, v72
	v_mul_f32_e32 v1, v64, v51
	s_delay_alu instid0(VALU_DEP_3) | instskip(NEXT) | instid1(VALU_DEP_3)
	v_dual_mul_f32 v51, v63, v51 :: v_dual_add_f32 v70, v70, v61
	v_fma_f32 v0, v0, v52, -v73
	v_add_f32_e32 v62, v68, v62
	s_delay_alu instid0(VALU_DEP_4) | instskip(NEXT) | instid1(VALU_DEP_4)
	v_fma_f32 v1, v63, v50, -v1
	v_fmac_f32_e32 v51, v64, v50
	v_mul_f32_e32 v58, v64, v53
	v_dual_add_f32 v0, v69, v0 :: v_dual_mul_f32 v69, v63, v53
	v_add_f32_e32 v68, v71, v74
	s_delay_alu instid0(VALU_DEP_4) | instskip(NEXT) | instid1(VALU_DEP_4)
	v_add_f32_e32 v67, v67, v51
	v_fma_f32 v50, v63, v52, -v58
	s_wait_dscnt 0x0
	v_mul_f32_e32 v53, v3, v55
	v_add_f32_e32 v63, v59, v1
	v_dual_fmac_f32 v69, v64, v52 :: v_dual_mul_f32 v64, v2, v55
	v_add_f32_e32 v71, v60, v50
	s_delay_alu instid0(VALU_DEP_4)
	v_fma_f32 v1, v2, v54, -v53
	v_mul_f32_e32 v73, v3, v57
	ds_load_b128 v[50:53], v41 offset:64
	ds_load_2addr_b64 v[58:61], v47 offset1:16
	v_dual_add_f32 v69, v72, v69 :: v_dual_fmac_f32 v64, v3, v54
	v_mul_f32_e32 v72, v2, v57
	v_add_f32_e32 v70, v70, v1
	v_fma_f32 v1, v2, v56, -v73
	v_mul_f32_e32 v2, v66, v55
	v_add_f32_e32 v73, v62, v64
	v_dual_mul_f32 v55, v65, v55 :: v_dual_fmac_f32 v72, v3, v56
	s_delay_alu instid0(VALU_DEP_4) | instskip(NEXT) | instid1(VALU_DEP_4)
	v_add_f32_e32 v74, v0, v1
	v_fma_f32 v62, v65, v54, -v2
	ds_load_b128 v[0:3], v41 offset:4160
	v_mul_f32_e32 v64, v66, v57
	v_dual_fmac_f32 v55, v66, v54 :: v_dual_add_f32 v72, v68, v72
	v_dual_add_f32 v75, v63, v62 :: v_dual_mul_f32 v68, v65, v57
	s_delay_alu instid0(VALU_DEP_3) | instskip(SKIP_1) | instid1(VALU_DEP_3)
	v_fma_f32 v54, v65, v56, -v64
	s_wait_dscnt 0x1
	v_dual_add_f32 v76, v67, v55 :: v_dual_mul_f32 v79, v50, v61
	v_mul_f32_e32 v57, v51, v59
	v_mul_f32_e32 v67, v50, v59
	v_dual_fmac_f32 v68, v66, v56 :: v_dual_add_f32 v71, v71, v54
	ds_load_b128 v[62:65], v41 offset:80
	v_fma_f32 v66, v50, v58, -v57
	ds_load_2addr_b64 v[54:57], v47 offset0:32 offset1:48
	v_mul_f32_e32 v77, v51, v61
	v_dual_fmac_f32 v67, v51, v58 :: v_dual_add_f32 v78, v69, v68
	v_dual_add_f32 v70, v70, v66 :: v_dual_fmac_f32 v79, v51, v60
	s_delay_alu instid0(VALU_DEP_3)
	v_fma_f32 v50, v50, v60, -v77
	s_wait_dscnt 0x2
	v_mul_f32_e32 v77, v1, v59
	v_add_f32_e32 v73, v73, v67
	ds_load_b128 v[66:69], v41 offset:4176
	v_add_f32_e32 v50, v74, v50
	v_fma_f32 v74, v0, v58, -v77
	s_delay_alu instid0(VALU_DEP_1) | instskip(NEXT) | instid1(VALU_DEP_1)
	v_dual_mul_f32 v77, v0, v61 :: v_dual_add_f32 v74, v75, v74
	v_fmac_f32_e32 v77, v1, v60
	v_mul_f32_e32 v51, v0, v59
	s_wait_dscnt 0x1
	v_mul_f32_e32 v75, v53, v57
	s_delay_alu instid0(VALU_DEP_2) | instskip(SKIP_2) | instid1(VALU_DEP_2)
	v_fmac_f32_e32 v51, v1, v58
	v_mul_f32_e32 v58, v53, v55
	v_dual_mul_f32 v59, v1, v61 :: v_dual_add_f32 v72, v72, v79
	v_fma_f32 v1, v52, v54, -v58
	s_delay_alu instid0(VALU_DEP_2)
	v_fma_f32 v0, v0, v60, -v59
	ds_load_2addr_b64 v[58:61], v47 offset0:64 offset1:80
	v_dual_add_f32 v70, v70, v1 :: v_dual_add_f32 v71, v71, v0
	v_mul_f32_e32 v0, v52, v55
	v_add_f32_e32 v51, v76, v51
	v_mul_f32_e32 v1, v52, v57
	v_fma_f32 v52, v52, v56, -v75
	s_delay_alu instid0(VALU_DEP_4) | instskip(NEXT) | instid1(VALU_DEP_2)
	v_dual_mul_f32 v75, v3, v55 :: v_dual_fmac_f32 v0, v53, v54
	v_add_f32_e32 v50, v50, v52
	s_delay_alu instid0(VALU_DEP_2) | instskip(NEXT) | instid1(VALU_DEP_3)
	v_dual_mul_f32 v52, v3, v57 :: v_dual_add_f32 v73, v73, v0
	v_fma_f32 v0, v2, v54, -v75
	v_add_f32_e32 v76, v78, v77
	s_delay_alu instid0(VALU_DEP_3) | instskip(SKIP_1) | instid1(VALU_DEP_1)
	v_fma_f32 v52, v2, v56, -v52
	v_mul_f32_e32 v55, v2, v55
	v_dual_fmac_f32 v55, v3, v54 :: v_dual_mul_f32 v54, v2, v57
	s_delay_alu instid0(VALU_DEP_3) | instskip(SKIP_2) | instid1(VALU_DEP_3)
	v_add_f32_e32 v52, v71, v52
	s_wait_dscnt 0x0
	v_mul_f32_e32 v71, v63, v61
	v_add_f32_e32 v51, v51, v55
	v_mul_f32_e32 v55, v63, v59
	v_fmac_f32_e32 v54, v3, v56
	v_dual_fmac_f32 v1, v53, v56 :: v_dual_mul_f32 v56, v62, v59
	v_add_f32_e32 v57, v74, v0
	s_delay_alu instid0(VALU_DEP_4) | instskip(NEXT) | instid1(VALU_DEP_4)
	v_fma_f32 v55, v62, v58, -v55
	v_add_f32_e32 v74, v76, v54
	v_fma_f32 v54, v62, v60, -v71
	v_dual_fmac_f32 v56, v63, v58 :: v_dual_add_f32 v53, v72, v1
	s_delay_alu instid0(VALU_DEP_4) | instskip(SKIP_4) | instid1(VALU_DEP_3)
	v_add_f32_e32 v70, v70, v55
	ds_load_2addr_b64 v[0:3], v47 offset0:96 offset1:112
	v_mul_f32_e32 v72, v62, v61
	v_dual_add_f32 v62, v73, v56 :: v_dual_mul_f32 v55, v67, v59
	v_mul_f32_e32 v56, v66, v59
	v_dual_add_f32 v59, v50, v54 :: v_dual_fmac_f32 v72, v63, v60
	v_mul_f32_e32 v50, v67, v61
	s_delay_alu instid0(VALU_DEP_2) | instskip(SKIP_2) | instid1(VALU_DEP_4)
	v_dual_fmac_f32 v56, v67, v58 :: v_dual_add_f32 v63, v53, v72
	v_fma_f32 v53, v66, v58, -v55
	v_mul_f32_e32 v58, v66, v61
	v_fma_f32 v50, v66, v60, -v50
	s_delay_alu instid0(VALU_DEP_3) | instskip(NEXT) | instid1(VALU_DEP_2)
	v_add_f32_e32 v66, v57, v53
	v_dual_fmac_f32 v58, v67, v60 :: v_dual_add_f32 v67, v52, v50
	s_wait_dscnt 0x0
	v_mul_f32_e32 v54, v65, v1
	v_mul_f32_e32 v61, v64, v1
	v_dual_add_f32 v71, v51, v56 :: v_dual_mul_f32 v72, v65, v3
	v_dual_add_f32 v73, v74, v58 :: v_dual_mul_f32 v58, v64, v3
	s_delay_alu instid0(VALU_DEP_4)
	v_fma_f32 v60, v64, v0, -v54
	ds_load_b128 v[50:53], v41 offset:96
	ds_load_2addr_b64 v[54:57], v47 offset0:128 offset1:144
	v_fmac_f32_e32 v61, v65, v0
	v_fmac_f32_e32 v58, v65, v2
	v_add_f32_e32 v70, v70, v60
	v_fma_f32 v60, v64, v2, -v72
	v_mul_f32_e32 v64, v69, v1
	v_mul_f32_e32 v1, v68, v1
	v_dual_add_f32 v72, v62, v61 :: v_dual_add_f32 v75, v63, v58
	s_delay_alu instid0(VALU_DEP_3) | instskip(NEXT) | instid1(VALU_DEP_3)
	v_fma_f32 v62, v68, v0, -v64
	v_fmac_f32_e32 v1, v69, v0
	v_mul_f32_e32 v64, v69, v3
	s_delay_alu instid0(VALU_DEP_2) | instskip(NEXT) | instid1(VALU_DEP_2)
	v_dual_add_f32 v76, v66, v62 :: v_dual_add_f32 v71, v71, v1
	v_fma_f32 v0, v68, v2, -v64
	v_mul_f32_e32 v66, v68, v3
	s_wait_dscnt 0x0
	v_mul_f32_e32 v3, v51, v55
	ds_load_b128 v[62:65], v41 offset:112
	v_dual_mul_f32 v68, v50, v55 :: v_dual_add_f32 v77, v67, v0
	v_fmac_f32_e32 v66, v69, v2
	v_add_f32_e32 v74, v59, v60
	ds_load_b128 v[58:61], v41 offset:4192
	v_fma_f32 v67, v50, v54, -v3
	ds_load_2addr_b64 v[0:3], v47 offset0:160 offset1:176
	v_mul_f32_e32 v69, v51, v57
	v_mul_f32_e32 v78, v50, v57
	v_fmac_f32_e32 v68, v51, v54
	v_add_f32_e32 v70, v70, v67
	s_delay_alu instid0(VALU_DEP_4) | instskip(NEXT) | instid1(VALU_DEP_4)
	v_fma_f32 v50, v50, v56, -v69
	v_fmac_f32_e32 v78, v51, v56
	s_wait_dscnt 0x1
	v_mul_f32_e32 v79, v59, v55
	v_mul_f32_e32 v51, v58, v55
	;; [unrolled: 1-line block ×3, first 2 shown]
	v_add_f32_e32 v73, v73, v66
	s_delay_alu instid0(VALU_DEP_3)
	v_fmac_f32_e32 v51, v59, v54
	v_add_f32_e32 v50, v74, v50
	v_fma_f32 v74, v58, v54, -v79
	v_fma_f32 v54, v58, v56, -v55
	s_wait_dscnt 0x0
	v_dual_mul_f32 v55, v53, v1 :: v_dual_add_f32 v72, v72, v68
	v_dual_add_f32 v75, v75, v78 :: v_dual_mul_f32 v78, v58, v57
	v_add_f32_e32 v51, v71, v51
	v_mul_f32_e32 v71, v52, v1
	v_add_f32_e32 v58, v76, v74
	v_fma_f32 v74, v52, v0, -v55
	v_dual_fmac_f32 v78, v59, v56 :: v_dual_add_f32 v59, v77, v54
	ds_load_2addr_b64 v[54:57], v47 offset0:192 offset1:208
	v_mul_f32_e32 v76, v53, v3
	v_fmac_f32_e32 v71, v53, v0
	v_add_f32_e32 v73, v73, v78
	v_add_f32_e32 v70, v70, v74
	v_mul_f32_e32 v74, v52, v3
	v_fma_f32 v52, v52, v2, -v76
	v_add_f32_e32 v71, v72, v71
	v_mul_f32_e32 v72, v60, v3
	ds_load_b128 v[66:69], v41 offset:4208
	v_fmac_f32_e32 v74, v53, v2
	v_mul_f32_e32 v76, v61, v1
	v_dual_mul_f32 v1, v60, v1 :: v_dual_add_f32 v50, v50, v52
	v_fmac_f32_e32 v72, v61, v2
	s_delay_alu instid0(VALU_DEP_2) | instskip(NEXT) | instid1(VALU_DEP_1)
	v_fmac_f32_e32 v1, v61, v0
	v_add_f32_e32 v51, v51, v1
	v_add_f32_e32 v53, v75, v74
	v_fma_f32 v52, v60, v0, -v76
	v_mul_f32_e32 v0, v61, v3
	s_wait_dscnt 0x1
	v_mul_f32_e32 v61, v62, v55
	s_delay_alu instid0(VALU_DEP_1) | instskip(NEXT) | instid1(VALU_DEP_1)
	v_dual_mul_f32 v74, v62, v57 :: v_dual_fmac_f32 v61, v63, v54
	v_fmac_f32_e32 v74, v63, v56
	s_delay_alu instid0(VALU_DEP_2)
	v_dual_add_f32 v52, v58, v52 :: v_dual_add_f32 v61, v71, v61
	v_fma_f32 v58, v60, v2, -v0
	ds_load_2addr_b64 v[0:3], v47 offset0:224 offset1:240
	v_add_f32_e32 v72, v73, v72
	v_add_f32_e32 v58, v59, v58
	v_mul_f32_e32 v60, v63, v55
	s_delay_alu instid0(VALU_DEP_1) | instskip(NEXT) | instid1(VALU_DEP_1)
	v_fma_f32 v59, v62, v54, -v60
	v_dual_mul_f32 v60, v63, v57 :: v_dual_add_f32 v59, v70, v59
	s_delay_alu instid0(VALU_DEP_1) | instskip(SKIP_2) | instid1(VALU_DEP_2)
	v_fma_f32 v60, v62, v56, -v60
	s_wait_dscnt 0x0
	v_dual_mul_f32 v71, v64, v1 :: v_dual_mul_f32 v62, v67, v55
	v_dual_add_f32 v60, v50, v60 :: v_dual_mul_f32 v73, v65, v3
	v_add_f32_e32 v63, v53, v74
	s_delay_alu instid0(VALU_DEP_3) | instskip(NEXT) | instid1(VALU_DEP_4)
	v_dual_fmac_f32 v71, v65, v0 :: v_dual_mul_f32 v50, v67, v57
	v_fma_f32 v53, v66, v54, -v62
	v_mul_f32_e32 v62, v66, v57
	v_mul_f32_e32 v55, v66, v55
	s_delay_alu instid0(VALU_DEP_4) | instskip(SKIP_4) | instid1(VALU_DEP_4)
	v_add_f32_e32 v71, v61, v71
	v_fma_f32 v50, v66, v56, -v50
	v_add_f32_e32 v66, v52, v53
	v_fmac_f32_e32 v62, v67, v56
	v_fmac_f32_e32 v55, v67, v54
	v_add_f32_e32 v67, v58, v50
	s_delay_alu instid0(VALU_DEP_3) | instskip(SKIP_1) | instid1(VALU_DEP_4)
	v_add_f32_e32 v72, v72, v62
	v_mul_f32_e32 v62, v64, v3
	v_add_f32_e32 v70, v51, v55
	s_delay_alu instid0(VALU_DEP_2) | instskip(SKIP_2) | instid1(VALU_DEP_3)
	v_fmac_f32_e32 v62, v65, v2
	v_mul_f32_e32 v54, v65, v1
	v_mul_f32_e32 v65, v69, v3
	v_add_f32_e32 v75, v63, v62
	s_delay_alu instid0(VALU_DEP_3)
	v_fma_f32 v58, v64, v0, -v54
	ds_load_b128 v[50:53], v41 offset:128
	ds_load_2addr_b64 v[54:57], v48 offset1:16
	v_add_f32_e32 v74, v59, v58
	v_fma_f32 v58, v64, v2, -v73
	v_mul_f32_e32 v59, v69, v1
	v_mul_f32_e32 v1, v68, v1
	s_delay_alu instid0(VALU_DEP_3) | instskip(NEXT) | instid1(VALU_DEP_3)
	v_add_f32_e32 v73, v60, v58
	v_fma_f32 v64, v68, v0, -v59
	ds_load_b128 v[58:61], v41 offset:4224
	v_fmac_f32_e32 v1, v69, v0
	v_fma_f32 v0, v68, v2, -v65
	v_add_f32_e32 v76, v66, v64
	v_mul_f32_e32 v66, v68, v3
	ds_load_b128 v[62:65], v41 offset:144
	v_add_f32_e32 v70, v70, v1
	s_wait_dscnt 0x2
	v_mul_f32_e32 v68, v50, v55
	v_mul_f32_e32 v3, v51, v55
	v_dual_add_f32 v77, v67, v0 :: v_dual_mul_f32 v78, v50, v57
	s_delay_alu instid0(VALU_DEP_3) | instskip(NEXT) | instid1(VALU_DEP_3)
	v_fmac_f32_e32 v68, v51, v54
	v_fma_f32 v67, v50, v54, -v3
	s_delay_alu instid0(VALU_DEP_3) | instskip(NEXT) | instid1(VALU_DEP_3)
	v_fmac_f32_e32 v78, v51, v56
	v_add_f32_e32 v71, v71, v68
	s_wait_dscnt 0x1
	v_dual_mul_f32 v79, v59, v55 :: v_dual_fmac_f32 v66, v69, v2
	ds_load_2addr_b64 v[0:3], v48 offset0:32 offset1:48
	v_mul_f32_e32 v69, v51, v57
	v_mul_f32_e32 v51, v58, v55
	;; [unrolled: 1-line block ×3, first 2 shown]
	v_dual_add_f32 v75, v75, v78 :: v_dual_mul_f32 v78, v58, v57
	s_delay_alu instid0(VALU_DEP_4) | instskip(NEXT) | instid1(VALU_DEP_4)
	v_fma_f32 v50, v50, v56, -v69
	v_fmac_f32_e32 v51, v59, v54
	s_delay_alu instid0(VALU_DEP_1)
	v_dual_add_f32 v50, v73, v50 :: v_dual_add_f32 v51, v70, v51
	v_fma_f32 v73, v58, v54, -v79
	v_fma_f32 v54, v58, v56, -v55
	s_wait_dscnt 0x0
	v_mul_f32_e32 v70, v52, v1
	v_dual_mul_f32 v55, v53, v1 :: v_dual_add_f32 v74, v74, v67
	s_delay_alu instid0(VALU_DEP_2) | instskip(NEXT) | instid1(VALU_DEP_1)
	v_fmac_f32_e32 v70, v53, v0
	v_dual_add_f32 v70, v71, v70 :: v_dual_mul_f32 v71, v60, v3
	v_add_f32_e32 v58, v76, v73
	s_delay_alu instid0(VALU_DEP_4) | instskip(SKIP_1) | instid1(VALU_DEP_4)
	v_fma_f32 v73, v52, v0, -v55
	v_mul_f32_e32 v76, v53, v3
	v_fmac_f32_e32 v71, v61, v2
	s_delay_alu instid0(VALU_DEP_3) | instskip(NEXT) | instid1(VALU_DEP_3)
	v_dual_add_f32 v73, v74, v73 :: v_dual_mul_f32 v74, v52, v3
	v_fma_f32 v52, v52, v2, -v76
	v_mul_f32_e32 v76, v61, v1
	v_mul_f32_e32 v1, v60, v1
	v_add_f32_e32 v72, v72, v66
	ds_load_b128 v[66:69], v41 offset:4240
	v_fmac_f32_e32 v74, v53, v2
	v_fmac_f32_e32 v1, v61, v0
	s_delay_alu instid0(VALU_DEP_2)
	v_add_f32_e32 v53, v75, v74
	v_dual_fmac_f32 v78, v59, v56 :: v_dual_add_f32 v59, v77, v54
	ds_load_2addr_b64 v[54:57], v48 offset0:64 offset1:80
	v_add_f32_e32 v51, v51, v1
	s_wait_dscnt 0x0
	v_mul_f32_e32 v74, v62, v57
	s_delay_alu instid0(VALU_DEP_1) | instskip(SKIP_4) | instid1(VALU_DEP_3)
	v_fmac_f32_e32 v74, v63, v56
	v_add_f32_e32 v50, v50, v52
	v_fma_f32 v52, v60, v0, -v76
	v_mul_f32_e32 v0, v61, v3
	v_mul_f32_e32 v61, v62, v55
	v_add_f32_e32 v52, v58, v52
	s_delay_alu instid0(VALU_DEP_3) | instskip(SKIP_4) | instid1(VALU_DEP_1)
	v_fma_f32 v58, v60, v2, -v0
	ds_load_2addr_b64 v[0:3], v48 offset0:96 offset1:112
	v_fmac_f32_e32 v61, v63, v54
	v_add_f32_e32 v58, v59, v58
	v_mul_f32_e32 v60, v63, v55
	v_fma_f32 v59, v62, v54, -v60
	v_mul_f32_e32 v60, v63, v57
	v_add_f32_e32 v72, v72, v78
	v_add_f32_e32 v63, v53, v74
	s_delay_alu instid0(VALU_DEP_4) | instskip(NEXT) | instid1(VALU_DEP_4)
	v_add_f32_e32 v59, v73, v59
	v_fma_f32 v60, v62, v56, -v60
	v_mul_f32_e32 v62, v67, v55
	v_add_f32_e32 v71, v72, v71
	v_mul_f32_e32 v55, v66, v55
	v_add_f32_e32 v61, v70, v61
	s_wait_dscnt 0x0
	v_mul_f32_e32 v73, v65, v3
	v_fma_f32 v53, v66, v54, -v62
	v_dual_mul_f32 v62, v66, v57 :: v_dual_fmac_f32 v55, v67, v54
	s_delay_alu instid0(VALU_DEP_1) | instskip(NEXT) | instid1(VALU_DEP_2)
	v_fmac_f32_e32 v62, v67, v56
	v_add_f32_e32 v70, v51, v55
	s_delay_alu instid0(VALU_DEP_2) | instskip(SKIP_1) | instid1(VALU_DEP_2)
	v_dual_add_f32 v71, v71, v62 :: v_dual_mul_f32 v62, v64, v3
	v_mul_f32_e32 v72, v64, v1
	v_fmac_f32_e32 v62, v65, v2
	v_add_f32_e32 v60, v50, v60
	v_mul_f32_e32 v50, v67, v57
	s_delay_alu instid0(VALU_DEP_3) | instskip(NEXT) | instid1(VALU_DEP_2)
	v_add_f32_e32 v75, v63, v62
	v_fma_f32 v50, v66, v56, -v50
	s_delay_alu instid0(VALU_DEP_1) | instskip(SKIP_1) | instid1(VALU_DEP_1)
	v_dual_add_f32 v66, v52, v53 :: v_dual_add_f32 v67, v58, v50
	v_mul_f32_e32 v54, v65, v1
	v_fma_f32 v58, v64, v0, -v54
	ds_load_b128 v[50:53], v41 offset:160
	ds_load_2addr_b64 v[54:57], v48 offset0:128 offset1:144
	v_dual_add_f32 v74, v59, v58 :: v_dual_mul_f32 v59, v69, v1
	v_fma_f32 v58, v64, v2, -v73
	v_mul_f32_e32 v1, v68, v1
	s_delay_alu instid0(VALU_DEP_3) | instskip(NEXT) | instid1(VALU_DEP_3)
	v_fma_f32 v64, v68, v0, -v59
	v_add_f32_e32 v73, v60, v58
	s_delay_alu instid0(VALU_DEP_3) | instskip(NEXT) | instid1(VALU_DEP_3)
	v_fmac_f32_e32 v1, v69, v0
	v_add_f32_e32 v76, v66, v64
	v_mul_f32_e32 v66, v68, v3
	s_wait_dscnt 0x0
	v_mul_f32_e32 v78, v50, v57
	s_delay_alu instid0(VALU_DEP_2) | instskip(NEXT) | instid1(VALU_DEP_2)
	v_fmac_f32_e32 v66, v69, v2
	v_fmac_f32_e32 v78, v51, v56
	s_delay_alu instid0(VALU_DEP_2) | instskip(SKIP_3) | instid1(VALU_DEP_4)
	v_dual_add_f32 v71, v71, v66 :: v_dual_fmac_f32 v72, v65, v0
	v_mul_f32_e32 v65, v69, v3
	v_mul_f32_e32 v69, v51, v57
	;; [unrolled: 1-line block ×3, first 2 shown]
	v_dual_add_f32 v75, v75, v78 :: v_dual_add_f32 v72, v61, v72
	ds_load_b128 v[58:61], v41 offset:4256
	v_fma_f32 v0, v68, v2, -v65
	ds_load_b128 v[62:65], v41 offset:176
	v_add_f32_e32 v77, v67, v0
	v_fma_f32 v67, v50, v54, -v3
	s_wait_dscnt 0x1
	v_dual_mul_f32 v78, v58, v57 :: v_dual_mul_f32 v79, v59, v55
	s_delay_alu instid0(VALU_DEP_1)
	v_fmac_f32_e32 v78, v59, v56
	v_add_f32_e32 v70, v70, v1
	ds_load_2addr_b64 v[0:3], v48 offset0:160 offset1:176
	v_mul_f32_e32 v68, v50, v55
	v_fma_f32 v50, v50, v56, -v69
	v_add_f32_e32 v71, v71, v78
	s_delay_alu instid0(VALU_DEP_3) | instskip(NEXT) | instid1(VALU_DEP_3)
	v_dual_fmac_f32 v68, v51, v54 :: v_dual_mul_f32 v51, v58, v55
	v_dual_mul_f32 v55, v59, v57 :: v_dual_add_f32 v50, v73, v50
	v_fma_f32 v73, v58, v54, -v79
	s_delay_alu instid0(VALU_DEP_3) | instskip(NEXT) | instid1(VALU_DEP_3)
	v_fmac_f32_e32 v51, v59, v54
	v_fma_f32 v54, v58, v56, -v55
	s_delay_alu instid0(VALU_DEP_2) | instskip(NEXT) | instid1(VALU_DEP_2)
	v_dual_add_f32 v58, v76, v73 :: v_dual_add_f32 v51, v70, v51
	v_add_f32_e32 v59, v77, v54
	s_wait_dscnt 0x0
	v_mul_f32_e32 v55, v53, v1
	s_delay_alu instid0(VALU_DEP_1) | instskip(SKIP_2) | instid1(VALU_DEP_1)
	v_fma_f32 v73, v52, v0, -v55
	ds_load_2addr_b64 v[54:57], v48 offset0:192 offset1:208
	v_add_f32_e32 v74, v74, v67
	v_dual_add_f32 v73, v74, v73 :: v_dual_add_f32 v72, v72, v68
	ds_load_b128 v[66:69], v41 offset:4272
	v_mul_f32_e32 v70, v52, v1
	v_mul_f32_e32 v74, v52, v3
	s_delay_alu instid0(VALU_DEP_2) | instskip(NEXT) | instid1(VALU_DEP_2)
	v_fmac_f32_e32 v70, v53, v0
	v_fmac_f32_e32 v74, v53, v2
	s_delay_alu instid0(VALU_DEP_2) | instskip(SKIP_1) | instid1(VALU_DEP_1)
	v_add_f32_e32 v70, v72, v70
	v_mul_f32_e32 v72, v60, v3
	v_fmac_f32_e32 v72, v61, v2
	s_delay_alu instid0(VALU_DEP_1) | instskip(SKIP_2) | instid1(VALU_DEP_2)
	v_dual_add_f32 v71, v71, v72 :: v_dual_mul_f32 v76, v53, v3
	s_wait_dscnt 0x1
	v_dual_add_f32 v53, v75, v74 :: v_dual_mul_f32 v74, v62, v57
	v_fma_f32 v52, v52, v2, -v76
	v_mul_f32_e32 v76, v61, v1
	s_delay_alu instid0(VALU_DEP_3) | instskip(NEXT) | instid1(VALU_DEP_3)
	v_dual_mul_f32 v1, v60, v1 :: v_dual_fmac_f32 v74, v63, v56
	v_add_f32_e32 v50, v50, v52
	s_delay_alu instid0(VALU_DEP_3) | instskip(NEXT) | instid1(VALU_DEP_3)
	v_fma_f32 v52, v60, v0, -v76
	v_fmac_f32_e32 v1, v61, v0
	v_mul_f32_e32 v0, v61, v3
	v_mul_f32_e32 v61, v62, v55
	s_delay_alu instid0(VALU_DEP_3) | instskip(NEXT) | instid1(VALU_DEP_3)
	v_dual_add_f32 v52, v58, v52 :: v_dual_add_f32 v51, v51, v1
	v_fma_f32 v58, v60, v2, -v0
	v_mul_f32_e32 v60, v63, v55
	ds_load_2addr_b64 v[0:3], v48 offset0:224 offset1:240
	v_fmac_f32_e32 v61, v63, v54
	v_add_f32_e32 v58, v59, v58
	v_fma_f32 v59, v62, v54, -v60
	v_dual_mul_f32 v60, v63, v57 :: v_dual_add_f32 v63, v53, v74
	s_delay_alu instid0(VALU_DEP_2) | instskip(NEXT) | instid1(VALU_DEP_2)
	v_add_f32_e32 v59, v73, v59
	v_fma_f32 v60, v62, v56, -v60
	s_wait_dscnt 0x1
	v_mul_f32_e32 v62, v67, v55
	v_mul_f32_e32 v55, v66, v55
	s_delay_alu instid0(VALU_DEP_2) | instskip(NEXT) | instid1(VALU_DEP_2)
	v_fma_f32 v53, v66, v54, -v62
	v_dual_mul_f32 v62, v66, v57 :: v_dual_fmac_f32 v55, v67, v54
	s_wait_dscnt 0x0
	v_mul_f32_e32 v72, v64, v1
	v_mul_f32_e32 v54, v65, v1
	s_delay_alu instid0(VALU_DEP_3) | instskip(NEXT) | instid1(VALU_DEP_3)
	v_dual_fmac_f32 v62, v67, v56 :: v_dual_mul_f32 v73, v65, v3
	v_dual_add_f32 v61, v70, v61 :: v_dual_fmac_f32 v72, v65, v0
	v_add_f32_e32 v70, v51, v55
	s_delay_alu instid0(VALU_DEP_3) | instskip(NEXT) | instid1(VALU_DEP_3)
	v_dual_add_f32 v71, v71, v62 :: v_dual_mul_f32 v62, v64, v3
	v_add_f32_e32 v72, v61, v72
	s_delay_alu instid0(VALU_DEP_2) | instskip(SKIP_2) | instid1(VALU_DEP_3)
	v_fmac_f32_e32 v62, v65, v2
	v_dual_mul_f32 v65, v69, v3 :: v_dual_add_f32 v60, v50, v60
	v_mul_f32_e32 v50, v67, v57
	v_add_f32_e32 v75, v63, v62
	s_delay_alu instid0(VALU_DEP_2) | instskip(NEXT) | instid1(VALU_DEP_1)
	v_fma_f32 v50, v66, v56, -v50
	v_dual_add_f32 v66, v52, v53 :: v_dual_add_f32 v67, v58, v50
	v_fma_f32 v58, v64, v0, -v54
	ds_load_b128 v[50:53], v41 offset:192
	ds_load_2addr_b64 v[54:57], v49 offset1:16
	v_dual_add_f32 v74, v59, v58 :: v_dual_mul_f32 v59, v69, v1
	v_fma_f32 v58, v64, v2, -v73
	v_mul_f32_e32 v1, v68, v1
	s_delay_alu instid0(VALU_DEP_3) | instskip(NEXT) | instid1(VALU_DEP_3)
	v_fma_f32 v64, v68, v0, -v59
	v_add_f32_e32 v73, v60, v58
	s_delay_alu instid0(VALU_DEP_3)
	v_fmac_f32_e32 v1, v69, v0
	v_fma_f32 v0, v68, v2, -v65
	ds_load_b128 v[58:61], v41 offset:4288
	v_add_f32_e32 v76, v66, v64
	v_mul_f32_e32 v66, v68, v3
	ds_load_b128 v[62:65], v41 offset:208
	v_add_f32_e32 v77, v67, v0
	s_wait_dscnt 0x2
	v_mul_f32_e32 v3, v51, v55
	v_mul_f32_e32 v68, v50, v55
	v_dual_fmac_f32 v66, v69, v2 :: v_dual_mul_f32 v69, v51, v57
	v_mul_f32_e32 v78, v50, v57
	s_delay_alu instid0(VALU_DEP_4) | instskip(NEXT) | instid1(VALU_DEP_4)
	v_fma_f32 v67, v50, v54, -v3
	v_fmac_f32_e32 v68, v51, v54
	s_delay_alu instid0(VALU_DEP_4)
	v_add_f32_e32 v71, v71, v66
	v_fma_f32 v50, v50, v56, -v69
	v_fmac_f32_e32 v78, v51, v56
	v_add_f32_e32 v74, v74, v67
	v_add_f32_e32 v72, v72, v68
	ds_load_b128 v[66:69], v41 offset:4304
	v_add_f32_e32 v70, v70, v1
	ds_load_2addr_b64 v[0:3], v49 offset0:32 offset1:48
	s_wait_dscnt 0x3
	v_mul_f32_e32 v79, v59, v55
	v_mul_f32_e32 v51, v58, v55
	v_dual_mul_f32 v55, v59, v57 :: v_dual_add_f32 v50, v73, v50
	v_add_f32_e32 v75, v75, v78
	s_delay_alu instid0(VALU_DEP_4) | instskip(NEXT) | instid1(VALU_DEP_4)
	v_fma_f32 v73, v58, v54, -v79
	v_dual_fmac_f32 v51, v59, v54 :: v_dual_mul_f32 v78, v58, v57
	s_delay_alu instid0(VALU_DEP_4) | instskip(NEXT) | instid1(VALU_DEP_2)
	v_fma_f32 v54, v58, v56, -v55
	v_dual_add_f32 v58, v76, v73 :: v_dual_add_f32 v51, v70, v51
	s_delay_alu instid0(VALU_DEP_2) | instskip(SKIP_4) | instid1(VALU_DEP_3)
	v_dual_fmac_f32 v78, v59, v56 :: v_dual_add_f32 v59, v77, v54
	s_wait_dscnt 0x0
	v_mul_f32_e32 v55, v53, v1
	v_mul_f32_e32 v70, v52, v1
	;; [unrolled: 1-line block ×3, first 2 shown]
	v_fma_f32 v73, v52, v0, -v55
	ds_load_2addr_b64 v[54:57], v49 offset0:64 offset1:80
	v_dual_fmac_f32 v70, v53, v0 :: v_dual_add_f32 v73, v74, v73
	v_mul_f32_e32 v74, v52, v3
	v_fma_f32 v52, v52, v2, -v76
	v_mul_f32_e32 v76, v61, v1
	v_mul_f32_e32 v1, v60, v1
	v_add_f32_e32 v70, v72, v70
	v_mul_f32_e32 v72, v60, v3
	v_add_f32_e32 v50, v50, v52
	v_fma_f32 v52, v60, v0, -v76
	v_fmac_f32_e32 v1, v61, v0
	v_mul_f32_e32 v0, v61, v3
	v_fmac_f32_e32 v74, v53, v2
	v_fmac_f32_e32 v72, v61, v2
	s_delay_alu instid0(VALU_DEP_4) | instskip(NEXT) | instid1(VALU_DEP_4)
	v_dual_add_f32 v52, v58, v52 :: v_dual_add_f32 v51, v51, v1
	v_fma_f32 v58, v60, v2, -v0
	s_wait_dscnt 0x0
	v_mul_f32_e32 v60, v63, v55
	ds_load_2addr_b64 v[0:3], v49 offset0:96 offset1:112
	v_dual_add_f32 v53, v75, v74 :: v_dual_mul_f32 v74, v62, v57
	v_add_f32_e32 v58, v59, v58
	v_fma_f32 v59, v62, v54, -v60
	v_dual_mul_f32 v60, v63, v57 :: v_dual_mul_f32 v61, v62, v55
	s_delay_alu instid0(VALU_DEP_2) | instskip(NEXT) | instid1(VALU_DEP_2)
	v_dual_fmac_f32 v74, v63, v56 :: v_dual_add_f32 v59, v73, v59
	v_fma_f32 v60, v62, v56, -v60
	v_mul_f32_e32 v62, v67, v55
	v_mul_f32_e32 v55, v66, v55
	v_fmac_f32_e32 v61, v63, v54
	s_delay_alu instid0(VALU_DEP_4)
	v_dual_add_f32 v63, v53, v74 :: v_dual_add_f32 v60, v50, v60
	v_mul_f32_e32 v50, v67, v57
	v_fma_f32 v53, v66, v54, -v62
	v_dual_fmac_f32 v55, v67, v54 :: v_dual_mul_f32 v62, v66, v57
	s_wait_dscnt 0x0
	v_mul_f32_e32 v54, v65, v1
	v_fma_f32 v50, v66, v56, -v50
	v_add_f32_e32 v61, v70, v61
	v_add_f32_e32 v66, v52, v53
	;; [unrolled: 1-line block ×3, first 2 shown]
	s_delay_alu instid0(VALU_DEP_4)
	v_dual_fmac_f32 v62, v67, v56 :: v_dual_add_f32 v67, v58, v50
	v_fma_f32 v58, v64, v0, -v54
	ds_load_b128 v[50:53], v41 offset:224
	ds_load_2addr_b64 v[54:57], v49 offset0:128 offset1:144
	v_mul_f32_e32 v73, v65, v3
	s_wait_dscnt 0x0
	v_mul_f32_e32 v79, v50, v57
	v_dual_add_f32 v71, v71, v78 :: v_dual_mul_f32 v78, v50, v55
	s_delay_alu instid0(VALU_DEP_2) | instskip(NEXT) | instid1(VALU_DEP_2)
	v_fmac_f32_e32 v79, v51, v56
	v_dual_add_f32 v71, v71, v72 :: v_dual_mul_f32 v72, v64, v1
	s_delay_alu instid0(VALU_DEP_3) | instskip(NEXT) | instid1(VALU_DEP_2)
	v_fmac_f32_e32 v78, v51, v54
	v_dual_add_f32 v71, v71, v62 :: v_dual_mul_f32 v62, v64, v3
	v_fma_f32 v64, v64, v2, -v73
	v_dual_add_f32 v73, v59, v58 :: v_dual_mul_f32 v58, v69, v1
	v_fmac_f32_e32 v72, v65, v0
	s_delay_alu instid0(VALU_DEP_4) | instskip(NEXT) | instid1(VALU_DEP_4)
	v_fmac_f32_e32 v62, v65, v2
	v_add_f32_e32 v74, v60, v64
	v_mul_f32_e32 v1, v68, v1
	v_fma_f32 v64, v68, v0, -v58
	s_delay_alu instid0(VALU_DEP_4)
	v_dual_add_f32 v72, v61, v72 :: v_dual_add_f32 v75, v63, v62
	v_mul_f32_e32 v62, v69, v3
	ds_load_b128 v[58:61], v41 offset:4320
	v_fmac_f32_e32 v1, v69, v0
	v_add_f32_e32 v76, v66, v64
	v_mul_f32_e32 v66, v68, v3
	v_fma_f32 v0, v68, v2, -v62
	v_mul_f32_e32 v3, v51, v55
	v_mul_f32_e32 v68, v51, v57
	ds_load_b128 v[62:65], v41 offset:240
	v_dual_fmac_f32 v66, v69, v2 :: v_dual_add_f32 v77, v67, v0
	v_fma_f32 v67, v50, v54, -v3
	v_fma_f32 v50, v50, v56, -v68
	v_add_f32_e32 v72, v72, v78
	s_delay_alu instid0(VALU_DEP_4)
	v_add_f32_e32 v71, v71, v66
	v_add_f32_e32 v75, v75, v79
	;; [unrolled: 1-line block ×3, first 2 shown]
	ds_load_b128 v[66:69], v41 offset:4336
	v_add_f32_e32 v70, v70, v1
	ds_load_2addr_b64 v[0:3], v49 offset0:160 offset1:176
	v_add_f32_e32 v50, v74, v50
	s_wait_dscnt 0x3
	v_mul_f32_e32 v80, v59, v55
	v_dual_mul_f32 v51, v58, v55 :: v_dual_mul_f32 v74, v59, v57
	v_mul_f32_e32 v78, v58, v57
	s_delay_alu instid0(VALU_DEP_3) | instskip(NEXT) | instid1(VALU_DEP_3)
	v_fma_f32 v55, v58, v54, -v80
	v_fmac_f32_e32 v51, v59, v54
	s_delay_alu instid0(VALU_DEP_4) | instskip(NEXT) | instid1(VALU_DEP_4)
	v_fma_f32 v54, v58, v56, -v74
	v_fmac_f32_e32 v78, v59, v56
	s_delay_alu instid0(VALU_DEP_4) | instskip(NEXT) | instid1(VALU_DEP_4)
	v_add_f32_e32 v76, v76, v55
	v_add_f32_e32 v51, v70, v51
	s_delay_alu instid0(VALU_DEP_4) | instskip(NEXT) | instid1(VALU_DEP_4)
	v_add_f32_e32 v59, v77, v54
	v_add_f32_e32 v71, v71, v78
	s_wait_dscnt 0x0
	v_mul_f32_e32 v55, v53, v1
	v_mul_f32_e32 v58, v52, v1
	;; [unrolled: 1-line block ×3, first 2 shown]
	s_delay_alu instid0(VALU_DEP_3) | instskip(SKIP_4) | instid1(VALU_DEP_3)
	v_fma_f32 v70, v52, v0, -v55
	ds_load_2addr_b64 v[54:57], v49 offset0:192 offset1:208
	v_fmac_f32_e32 v58, v53, v0
	v_dual_add_f32 v70, v73, v70 :: v_dual_mul_f32 v73, v52, v3
	v_fma_f32 v52, v52, v2, -v74
	v_add_f32_e32 v58, v72, v58
	v_mul_f32_e32 v72, v61, v1
	v_mul_f32_e32 v1, v60, v1
	s_delay_alu instid0(VALU_DEP_4) | instskip(SKIP_1) | instid1(VALU_DEP_4)
	v_dual_fmac_f32 v73, v53, v2 :: v_dual_add_f32 v50, v50, v52
	v_mul_f32_e32 v52, v61, v3
	v_fma_f32 v53, v60, v0, -v72
	s_delay_alu instid0(VALU_DEP_3) | instskip(SKIP_1) | instid1(VALU_DEP_4)
	v_dual_fmac_f32 v1, v61, v0 :: v_dual_add_f32 v72, v75, v73
	v_mul_f32_e32 v73, v60, v3
	v_fma_f32 v0, v60, v2, -v52
	s_delay_alu instid0(VALU_DEP_4) | instskip(NEXT) | instid1(VALU_DEP_4)
	v_add_f32_e32 v52, v76, v53
	v_add_f32_e32 v51, v51, v1
	s_wait_dscnt 0x0
	v_mul_f32_e32 v53, v63, v55
	v_fmac_f32_e32 v73, v61, v2
	v_add_f32_e32 v59, v59, v0
	ds_load_2addr_b64 v[0:3], v49 offset0:224 offset1:240
	v_mul_f32_e32 v60, v62, v55
	v_fma_f32 v53, v62, v54, -v53
	v_add_f32_e32 v61, v71, v73
	v_mul_f32_e32 v71, v63, v57
	s_delay_alu instid0(VALU_DEP_4) | instskip(NEXT) | instid1(VALU_DEP_4)
	v_dual_mul_f32 v73, v62, v57 :: v_dual_fmac_f32 v60, v63, v54
	v_dual_add_f32 v53, v70, v53 :: v_dual_mul_f32 v70, v67, v55
	s_delay_alu instid0(VALU_DEP_3) | instskip(SKIP_1) | instid1(VALU_DEP_4)
	v_fma_f32 v62, v62, v56, -v71
	v_mul_f32_e32 v55, v66, v55
	v_add_f32_e32 v58, v58, v60
	v_fmac_f32_e32 v73, v63, v56
	v_fma_f32 v60, v66, v54, -v70
	v_add_f32_e32 v50, v50, v62
	v_mul_f32_e32 v62, v67, v57
	v_dual_fmac_f32 v55, v67, v54 :: v_dual_mul_f32 v54, v66, v57
	s_delay_alu instid0(VALU_DEP_4) | instskip(SKIP_1) | instid1(VALU_DEP_4)
	v_add_f32_e32 v52, v52, v60
	v_add_f32_e32 v63, v72, v73
	v_fma_f32 v57, v66, v56, -v62
	s_wait_dscnt 0x0
	v_mul_f32_e32 v60, v65, v1
	v_dual_mul_f32 v62, v64, v1 :: v_dual_add_f32 v51, v51, v55
	v_fmac_f32_e32 v54, v67, v56
	v_add_f32_e32 v59, v59, v57
	s_delay_alu instid0(VALU_DEP_4) | instskip(NEXT) | instid1(VALU_DEP_4)
	v_fma_f32 v55, v64, v0, -v60
	v_fmac_f32_e32 v62, v65, v0
	v_mul_f32_e32 v60, v65, v3
	v_dual_mul_f32 v66, v64, v3 :: v_dual_add_f32 v61, v61, v54
	s_delay_alu instid0(VALU_DEP_3) | instskip(NEXT) | instid1(VALU_DEP_3)
	v_dual_add_f32 v56, v53, v55 :: v_dual_add_f32 v57, v58, v62
	v_fma_f32 v53, v64, v2, -v60
	v_mul_f32_e32 v55, v69, v1
	v_dual_mul_f32 v1, v68, v1 :: v_dual_mul_f32 v58, v69, v3
	v_dual_mul_f32 v3, v68, v3 :: v_dual_fmac_f32 v66, v65, v2
	s_delay_alu instid0(VALU_DEP_4) | instskip(NEXT) | instid1(VALU_DEP_4)
	v_add_f32_e32 v54, v50, v53
	v_fma_f32 v50, v68, v0, -v55
	s_delay_alu instid0(VALU_DEP_4) | instskip(SKIP_3) | instid1(VALU_DEP_4)
	v_fmac_f32_e32 v1, v69, v0
	v_fma_f32 v0, v68, v2, -v58
	v_fmac_f32_e32 v3, v69, v2
	v_add_f32_e32 v55, v63, v66
	v_dual_add_f32 v52, v52, v50 :: v_dual_add_f32 v53, v51, v1
	s_delay_alu instid0(VALU_DEP_3)
	v_dual_add_f32 v51, v59, v0 :: v_dual_add_f32 v50, v61, v3
	s_wait_loadcnt 0x0
	s_barrier_signal -1
	s_barrier_wait -1
	global_inv scope:SCOPE_SE
	s_cbranch_scc1 .LBB95_59
.LBB95_10:                              ;   Parent Loop BB95_4 Depth=1
                                        ;     Parent Loop BB95_7 Depth=2
                                        ; =>    This Inner Loop Header: Depth=3
	s_wait_alu 0xfffe
	v_add_co_u32 v0, s5, v16, s56
	s_wait_alu 0xf1ff
	v_add_co_ci_u32_e64 v1, null, s57, v17, s5
	v_cmp_eq_u64_e64 s7, s[56:57], v[20:21]
	v_add_co_u32 v2, s8, v26, v22
	s_delay_alu instid0(VALU_DEP_3)
	v_cmp_lt_i64_e64 s5, v[0:1], v[18:19]
	v_cmp_le_i64_e64 s6, s[44:45], v[0:1]
	s_wait_alu 0xf1ff
	v_add_co_ci_u32_e64 v3, null, v27, v23, s8
	s_and_b32 s66, s60, s7
	s_or_b32 s8, vcc_lo, s5
	s_wait_alu 0xfffe
	s_or_b32 s7, s6, s8
	s_wait_alu 0xfffe
	s_nor_b32 s7, s7, s66
	s_wait_alu 0xfffe
	s_and_saveexec_b32 s8, s7
	s_wait_alu 0xfffe
	s_xor_b32 s7, exec_lo, s8
	s_cbranch_execz .LBB95_12
; %bb.11:                               ;   in Loop: Header=BB95_10 Depth=3
	global_load_b64 v[58:59], v[2:3], off
	s_wait_loadcnt 0x0
	v_xor_b32_e32 v59, 0x80000000, v59
	ds_store_b64 v43, v[58:59]
.LBB95_12:                              ;   in Loop: Header=BB95_10 Depth=3
	s_wait_alu 0xfffe
	s_or_saveexec_b32 s7, s7
	s_xor_b32 s65, s66, -1
	s_wait_alu 0xfffe
	s_xor_b32 exec_lo, exec_lo, s7
	s_cbranch_execz .LBB95_18
; %bb.13:                               ;   in Loop: Header=BB95_10 Depth=3
	s_and_saveexec_b32 s8, s65
	s_wait_alu 0xfffe
	s_xor_b32 s8, exec_lo, s8
; %bb.14:                               ;   in Loop: Header=BB95_10 Depth=3
	v_dual_mov_b32 v58, v11 :: v_dual_mov_b32 v59, v11
	ds_store_b64 v43, v[58:59]
; %bb.15:                               ;   in Loop: Header=BB95_10 Depth=3
	s_wait_alu 0xfffe
	s_and_not1_saveexec_b32 s8, s8
; %bb.16:                               ;   in Loop: Header=BB95_10 Depth=3
	ds_store_b64 v43, v[10:11]
; %bb.17:                               ;   in Loop: Header=BB95_10 Depth=3
	s_wait_alu 0xfffe
	s_or_b32 exec_lo, exec_lo, s8
.LBB95_18:                              ;   in Loop: Header=BB95_10 Depth=3
	s_delay_alu instid0(SALU_CYCLE_1) | instskip(SKIP_4) | instid1(VALU_DEP_2)
	s_or_b32 exec_lo, exec_lo, s7
	v_add_co_u32 v58, s7, v0, 16
	s_wait_alu 0xf1ff
	v_add_co_ci_u32_e64 v59, null, 0, v1, s7
	v_cmp_eq_u64_e64 s9, s[56:57], v[36:37]
	v_cmp_lt_i64_e64 s8, v[58:59], v[18:19]
	v_cmp_le_i64_e64 s7, s[44:45], v[58:59]
	s_and_b32 s9, s60, s9
	s_or_b32 s8, vcc_lo, s8
	s_wait_alu 0xfffe
	s_or_b32 s8, s7, s8
	s_wait_alu 0xfffe
	s_nor_b32 s8, s8, s9
	s_wait_alu 0xfffe
	s_and_saveexec_b32 s67, s8
	s_delay_alu instid0(SALU_CYCLE_1)
	s_xor_b32 s67, exec_lo, s67
	s_cbranch_execz .LBB95_20
; %bb.19:                               ;   in Loop: Header=BB95_10 Depth=3
	v_add_co_u32 v58, s8, v24, v22
	s_wait_alu 0xf1ff
	v_add_co_ci_u32_e64 v59, null, v25, v23, s8
	global_load_b64 v[58:59], v[58:59], off
	s_wait_loadcnt 0x0
	v_xor_b32_e32 v59, 0x80000000, v59
	ds_store_b64 v43, v[58:59] offset:128
.LBB95_20:                              ;   in Loop: Header=BB95_10 Depth=3
	s_and_not1_saveexec_b32 s8, s67
	s_cbranch_execz .LBB95_26
; %bb.21:                               ;   in Loop: Header=BB95_10 Depth=3
	s_xor_b32 s9, s9, -1
	s_wait_alu 0xfffe
	s_and_saveexec_b32 s67, s9
	s_delay_alu instid0(SALU_CYCLE_1)
	s_xor_b32 s9, exec_lo, s67
; %bb.22:                               ;   in Loop: Header=BB95_10 Depth=3
	v_dual_mov_b32 v58, v11 :: v_dual_mov_b32 v59, v11
	ds_store_b64 v43, v[58:59] offset:128
; %bb.23:                               ;   in Loop: Header=BB95_10 Depth=3
	s_wait_alu 0xfffe
	s_and_not1_saveexec_b32 s9, s9
; %bb.24:                               ;   in Loop: Header=BB95_10 Depth=3
	ds_store_b64 v43, v[10:11] offset:128
; %bb.25:                               ;   in Loop: Header=BB95_10 Depth=3
	s_wait_alu 0xfffe
	s_or_b32 exec_lo, exec_lo, s9
.LBB95_26:                              ;   in Loop: Header=BB95_10 Depth=3
	s_wait_alu 0xfffe
	s_or_b32 exec_lo, exec_lo, s8
	v_cmp_eq_u64_e64 s8, s[56:57], v[34:35]
	v_cmp_lt_i64_e64 s9, v[0:1], v[32:33]
	s_and_b32 s8, s60, s8
	s_or_b32 s9, s4, s9
	s_wait_alu 0xfffe
	s_or_b32 s9, s9, s8
	s_wait_alu 0xfffe
	s_nor_b32 s6, s6, s9
	s_wait_alu 0xfffe
	s_and_saveexec_b32 s9, s6
	s_wait_alu 0xfffe
	s_xor_b32 s6, exec_lo, s9
	s_cbranch_execz .LBB95_28
; %bb.27:                               ;   in Loop: Header=BB95_10 Depth=3
	global_load_b64 v[0:1], v[2:3], off offset:128
	s_wait_loadcnt 0x0
	v_xor_b32_e32 v1, 0x80000000, v1
	ds_store_b64 v43, v[0:1] offset:4096
.LBB95_28:                              ;   in Loop: Header=BB95_10 Depth=3
	s_wait_alu 0xfffe
	s_and_not1_saveexec_b32 s6, s6
	s_cbranch_execz .LBB95_34
; %bb.29:                               ;   in Loop: Header=BB95_10 Depth=3
	s_xor_b32 s8, s8, -1
	s_wait_alu 0xfffe
	s_and_saveexec_b32 s9, s8
	s_wait_alu 0xfffe
	s_xor_b32 s8, exec_lo, s9
; %bb.30:                               ;   in Loop: Header=BB95_10 Depth=3
	v_dual_mov_b32 v0, v11 :: v_dual_mov_b32 v1, v11
	ds_store_b64 v43, v[0:1] offset:4096
; %bb.31:                               ;   in Loop: Header=BB95_10 Depth=3
	s_wait_alu 0xfffe
	s_and_not1_saveexec_b32 s8, s8
; %bb.32:                               ;   in Loop: Header=BB95_10 Depth=3
	ds_store_b64 v43, v[10:11] offset:4096
; %bb.33:                               ;   in Loop: Header=BB95_10 Depth=3
	s_wait_alu 0xfffe
	s_or_b32 exec_lo, exec_lo, s8
.LBB95_34:                              ;   in Loop: Header=BB95_10 Depth=3
	s_wait_alu 0xfffe
	s_or_b32 exec_lo, exec_lo, s6
	s_or_b32 s5, s4, s5
	s_wait_alu 0xfffe
	s_or_b32 s5, s7, s5
	s_wait_alu 0xfffe
	s_nor_b32 s5, s5, s66
	s_wait_alu 0xfffe
	s_and_saveexec_b32 s6, s5
	s_wait_alu 0xfffe
	s_xor_b32 s6, exec_lo, s6
	s_cbranch_execz .LBB95_36
; %bb.35:                               ;   in Loop: Header=BB95_10 Depth=3
	v_add_co_u32 v0, s5, v24, v22
	s_wait_alu 0xf1ff
	v_add_co_ci_u32_e64 v1, null, v25, v23, s5
	global_load_b64 v[0:1], v[0:1], off offset:128
	s_wait_loadcnt 0x0
	v_xor_b32_e32 v1, 0x80000000, v1
	ds_store_b64 v43, v[0:1] offset:4224
.LBB95_36:                              ;   in Loop: Header=BB95_10 Depth=3
	s_wait_alu 0xfffe
	s_and_not1_saveexec_b32 s5, s6
	s_cbranch_execz .LBB95_42
; %bb.37:                               ;   in Loop: Header=BB95_10 Depth=3
	s_and_saveexec_b32 s6, s65
	s_wait_alu 0xfffe
	s_xor_b32 s6, exec_lo, s6
; %bb.38:                               ;   in Loop: Header=BB95_10 Depth=3
	v_dual_mov_b32 v0, v11 :: v_dual_mov_b32 v1, v11
	ds_store_b64 v43, v[0:1] offset:4224
; %bb.39:                               ;   in Loop: Header=BB95_10 Depth=3
	s_wait_alu 0xfffe
	s_and_not1_saveexec_b32 s6, s6
; %bb.40:                               ;   in Loop: Header=BB95_10 Depth=3
	ds_store_b64 v43, v[10:11] offset:4224
; %bb.41:                               ;   in Loop: Header=BB95_10 Depth=3
	s_wait_alu 0xfffe
	s_or_b32 exec_lo, exec_lo, s6
.LBB95_42:                              ;   in Loop: Header=BB95_10 Depth=3
	s_wait_alu 0xfffe
	s_or_b32 exec_lo, exec_lo, s5
	v_add_co_u32 v0, s5, v14, s56
	s_wait_alu 0xf1ff
	v_add_co_ci_u32_e64 v1, null, s57, v15, s5
	v_add_co_u32 v2, s6, v28, v38
	s_wait_alu 0xf1ff
	v_add_co_ci_u32_e64 v3, null, v29, v39, s6
	s_delay_alu instid0(VALU_DEP_3)
	v_cmp_le_i64_e64 s5, s[44:45], v[0:1]
	s_nor_b32 s6, s5, s2
	s_wait_alu 0xfffe
	s_and_saveexec_b32 s7, s6
	s_wait_alu 0xfffe
	s_xor_b32 s6, exec_lo, s7
	s_cbranch_execz .LBB95_44
; %bb.43:                               ;   in Loop: Header=BB95_10 Depth=3
	global_load_b64 v[58:59], v[2:3], off offset:-128
	s_wait_loadcnt 0x0
	ds_store_b64 v44, v[58:59]
.LBB95_44:                              ;   in Loop: Header=BB95_10 Depth=3
	s_wait_alu 0xfffe
	s_and_not1_saveexec_b32 s6, s6
; %bb.45:                               ;   in Loop: Header=BB95_10 Depth=3
	v_dual_mov_b32 v58, v11 :: v_dual_mov_b32 v59, v11
	ds_store_b64 v44, v[58:59]
; %bb.46:                               ;   in Loop: Header=BB95_10 Depth=3
	s_wait_alu 0xfffe
	s_or_b32 exec_lo, exec_lo, s6
	s_nor_b32 s5, s5, s3
	s_wait_alu 0xfffe
	s_and_saveexec_b32 s6, s5
	s_wait_alu 0xfffe
	s_xor_b32 s5, exec_lo, s6
	s_cbranch_execz .LBB95_48
; %bb.47:                               ;   in Loop: Header=BB95_10 Depth=3
	global_load_b64 v[2:3], v[2:3], off
	s_wait_loadcnt 0x0
	ds_store_b64 v44, v[2:3] offset:128
.LBB95_48:                              ;   in Loop: Header=BB95_10 Depth=3
	s_wait_alu 0xfffe
	s_and_not1_saveexec_b32 s5, s5
; %bb.49:                               ;   in Loop: Header=BB95_10 Depth=3
	v_dual_mov_b32 v2, v11 :: v_dual_mov_b32 v3, v11
	ds_store_b64 v44, v[2:3] offset:128
; %bb.50:                               ;   in Loop: Header=BB95_10 Depth=3
	s_wait_alu 0xfffe
	s_or_b32 exec_lo, exec_lo, s5
	v_cmp_le_i64_e64 s5, s[26:27], v[0:1]
	v_add_co_u32 v0, s6, v30, v38
	s_wait_alu 0xf1ff
	v_add_co_ci_u32_e64 v1, null, v31, v39, s6
	s_nor_b32 s6, s5, s2
	s_wait_alu 0xfffe
	s_and_saveexec_b32 s7, s6
	s_wait_alu 0xfffe
	s_xor_b32 s6, exec_lo, s7
	s_cbranch_execz .LBB95_52
; %bb.51:                               ;   in Loop: Header=BB95_10 Depth=3
	global_load_b64 v[2:3], v[0:1], off
	s_wait_loadcnt 0x0
	ds_store_b64 v44, v[2:3] offset:4096
.LBB95_52:                              ;   in Loop: Header=BB95_10 Depth=3
	s_wait_alu 0xfffe
	s_and_not1_saveexec_b32 s6, s6
; %bb.53:                               ;   in Loop: Header=BB95_10 Depth=3
	v_dual_mov_b32 v2, v11 :: v_dual_mov_b32 v3, v11
	ds_store_b64 v44, v[2:3] offset:4096
; %bb.54:                               ;   in Loop: Header=BB95_10 Depth=3
	s_wait_alu 0xfffe
	s_or_b32 exec_lo, exec_lo, s6
	s_nor_b32 s5, s5, s3
	s_wait_alu 0xfffe
	s_and_saveexec_b32 s6, s5
	s_wait_alu 0xfffe
	s_xor_b32 s5, exec_lo, s6
	s_cbranch_execz .LBB95_56
; %bb.55:                               ;   in Loop: Header=BB95_10 Depth=3
	global_load_b64 v[0:1], v[0:1], off offset:128
	s_wait_loadcnt 0x0
	ds_store_b64 v44, v[0:1] offset:4224
.LBB95_56:                              ;   in Loop: Header=BB95_10 Depth=3
	s_wait_alu 0xfffe
	s_and_not1_saveexec_b32 s5, s5
	s_cbranch_execz .LBB95_9
; %bb.57:                               ;   in Loop: Header=BB95_10 Depth=3
	v_dual_mov_b32 v0, v11 :: v_dual_mov_b32 v1, v11
	ds_store_b64 v44, v[0:1] offset:4224
	s_branch .LBB95_9
.LBB95_58:                              ;   in Loop: Header=BB95_7 Depth=2
	v_dual_mov_b32 v56, 0 :: v_dual_mov_b32 v57, 0
	v_dual_mov_b32 v54, 0 :: v_dual_mov_b32 v55, 0
	;; [unrolled: 1-line block ×4, first 2 shown]
.LBB95_59:                              ;   in Loop: Header=BB95_7 Depth=2
	v_mul_lo_u32 v2, s29, v18
	v_mul_lo_u32 v3, s28, v19
	v_mad_co_u64_u32 v[0:1], null, s28, v18, 0
	v_cmp_gt_i32_e32 vcc_lo, s38, v18
	s_delay_alu instid0(VALU_DEP_2) | instskip(NEXT) | instid1(VALU_DEP_1)
	v_add3_u32 v1, v1, v3, v2
	v_lshlrev_b64_e32 v[0:1], 3, v[0:1]
	s_delay_alu instid0(VALU_DEP_1) | instskip(SKIP_1) | instid1(VALU_DEP_2)
	v_add_co_u32 v0, s4, s52, v0
	s_wait_alu 0xf1ff
	v_add_co_ci_u32_e64 v1, null, s53, v1, s4
	s_and_b32 s4, s0, vcc_lo
	s_wait_alu 0xfffe
	s_and_saveexec_b32 s5, s4
	s_cbranch_execz .LBB95_61
; %bb.60:                               ;   in Loop: Header=BB95_7 Depth=2
	v_add_co_u32 v2, s4, v0, v6
	s_wait_alu 0xf1ff
	v_add_co_ci_u32_e64 v3, null, v1, v7, s4
	v_mul_f32_e32 v17, s40, v57
	global_load_b64 v[19:20], v[2:3], off
	v_fmac_f32_e32 v17, s41, v56
	s_wait_loadcnt 0x0
	s_delay_alu instid0(VALU_DEP_1) | instskip(NEXT) | instid1(VALU_DEP_1)
	v_dual_mul_f32 v15, s41, v57 :: v_dual_add_f32 v20, v17, v20
	v_fma_f32 v15, v56, s40, -v15
	s_delay_alu instid0(VALU_DEP_1)
	v_add_f32_e32 v19, v19, v15
	global_store_b64 v[2:3], v[19:20], off
.LBB95_61:                              ;   in Loop: Header=BB95_7 Depth=2
	s_wait_alu 0xfffe
	s_or_b32 exec_lo, exec_lo, s5
	s_and_b32 s5, s1, vcc_lo
	s_wait_alu 0xfffe
	s_and_saveexec_b32 s4, s5
	s_cbranch_execz .LBB95_63
; %bb.62:                               ;   in Loop: Header=BB95_7 Depth=2
	v_lshlrev_b64_e32 v[2:3], 3, v[4:5]
	v_mul_f32_e32 v15, s41, v55
	v_mul_f32_e32 v17, s40, v55
	s_delay_alu instid0(VALU_DEP_2) | instskip(NEXT) | instid1(VALU_DEP_4)
	v_fma_f32 v15, v54, s40, -v15
	v_add_co_u32 v0, vcc_lo, v0, v2
	s_wait_alu 0xfffd
	v_add_co_ci_u32_e64 v1, null, v1, v3, vcc_lo
	global_load_b64 v[2:3], v[0:1], off
	s_wait_loadcnt 0x0
	v_dual_fmac_f32 v17, s41, v54 :: v_dual_add_f32 v2, v2, v15
	s_delay_alu instid0(VALU_DEP_1)
	v_add_f32_e32 v3, v17, v3
	global_store_b64 v[0:1], v[2:3], off
.LBB95_63:                              ;   in Loop: Header=BB95_7 Depth=2
	s_wait_alu 0xfffe
	s_or_b32 exec_lo, exec_lo, s4
	v_add_nc_u32_e32 v2, 16, v18
	s_delay_alu instid0(VALU_DEP_1) | instskip(SKIP_3) | instid1(VALU_DEP_4)
	v_ashrrev_i32_e32 v3, 31, v2
	v_mul_lo_u32 v15, s29, v2
	v_mad_co_u64_u32 v[0:1], null, s28, v2, 0
	v_cmp_gt_i32_e32 vcc_lo, s38, v2
	v_mul_lo_u32 v3, s28, v3
	s_delay_alu instid0(VALU_DEP_1) | instskip(NEXT) | instid1(VALU_DEP_1)
	v_add3_u32 v1, v1, v3, v15
	v_lshlrev_b64_e32 v[0:1], 3, v[0:1]
	s_delay_alu instid0(VALU_DEP_1) | instskip(SKIP_1) | instid1(VALU_DEP_2)
	v_add_co_u32 v0, s4, s52, v0
	s_wait_alu 0xf1ff
	v_add_co_ci_u32_e64 v1, null, s53, v1, s4
	s_and_b32 s4, s0, vcc_lo
	s_wait_alu 0xfffe
	s_and_saveexec_b32 s5, s4
	s_cbranch_execz .LBB95_65
; %bb.64:                               ;   in Loop: Header=BB95_7 Depth=2
	v_add_co_u32 v2, s4, v0, v6
	s_wait_alu 0xf1ff
	v_add_co_ci_u32_e64 v3, null, v1, v7, s4
	v_mul_f32_e32 v19, s40, v53
	global_load_b64 v[17:18], v[2:3], off
	v_fmac_f32_e32 v19, s41, v52
	s_wait_loadcnt 0x0
	s_delay_alu instid0(VALU_DEP_1) | instskip(NEXT) | instid1(VALU_DEP_1)
	v_dual_mul_f32 v15, s41, v53 :: v_dual_add_f32 v18, v19, v18
	v_fma_f32 v15, v52, s40, -v15
	s_delay_alu instid0(VALU_DEP_1)
	v_add_f32_e32 v17, v17, v15
	global_store_b64 v[2:3], v[17:18], off
.LBB95_65:                              ;   in Loop: Header=BB95_7 Depth=2
	s_wait_alu 0xfffe
	s_or_b32 exec_lo, exec_lo, s5
	s_and_b32 s5, s1, vcc_lo
	s_wait_alu 0xfffe
	s_and_saveexec_b32 s4, s5
	s_cbranch_execz .LBB95_6
; %bb.66:                               ;   in Loop: Header=BB95_7 Depth=2
	v_lshlrev_b64_e32 v[2:3], 3, v[4:5]
	v_mul_f32_e32 v15, s41, v50
	s_delay_alu instid0(VALU_DEP_1) | instskip(NEXT) | instid1(VALU_DEP_3)
	v_fma_f32 v15, v51, s40, -v15
	v_add_co_u32 v0, vcc_lo, v0, v2
	s_wait_alu 0xfffd
	s_delay_alu instid0(VALU_DEP_4) | instskip(SKIP_3) | instid1(VALU_DEP_1)
	v_add_co_ci_u32_e64 v1, null, v1, v3, vcc_lo
	global_load_b64 v[2:3], v[0:1], off
	s_wait_loadcnt 0x0
	v_dual_mul_f32 v17, s40, v50 :: v_dual_add_f32 v2, v2, v15
	v_fmac_f32_e32 v17, s41, v51
	s_delay_alu instid0(VALU_DEP_1)
	v_add_f32_e32 v3, v17, v3
	global_store_b64 v[0:1], v[2:3], off
	s_branch .LBB95_6
.LBB95_67:
	s_endpgm
	.section	.rodata,"a",@progbits
	.p2align	6, 0x0
	.amdhsa_kernel _ZL30rocblas_trmm_outofplace_kernelI19rocblas_complex_numIfELi32ELi2ELb0ELb1ELb1ELb1ES1_KS1_S1_Ev17rocblas_diagonal_iiT6_lPT7_lllS6_lllPT8_llli
		.amdhsa_group_segment_fixed_size 16384
		.amdhsa_private_segment_fixed_size 0
		.amdhsa_kernarg_size 392
		.amdhsa_user_sgpr_count 2
		.amdhsa_user_sgpr_dispatch_ptr 0
		.amdhsa_user_sgpr_queue_ptr 0
		.amdhsa_user_sgpr_kernarg_segment_ptr 1
		.amdhsa_user_sgpr_dispatch_id 0
		.amdhsa_user_sgpr_private_segment_size 0
		.amdhsa_wavefront_size32 1
		.amdhsa_uses_dynamic_stack 0
		.amdhsa_enable_private_segment 0
		.amdhsa_system_sgpr_workgroup_id_x 1
		.amdhsa_system_sgpr_workgroup_id_y 1
		.amdhsa_system_sgpr_workgroup_id_z 1
		.amdhsa_system_sgpr_workgroup_info 0
		.amdhsa_system_vgpr_workitem_id 1
		.amdhsa_next_free_vgpr 92
		.amdhsa_next_free_sgpr 68
		.amdhsa_reserve_vcc 1
		.amdhsa_float_round_mode_32 0
		.amdhsa_float_round_mode_16_64 0
		.amdhsa_float_denorm_mode_32 3
		.amdhsa_float_denorm_mode_16_64 3
		.amdhsa_fp16_overflow 0
		.amdhsa_workgroup_processor_mode 1
		.amdhsa_memory_ordered 1
		.amdhsa_forward_progress 1
		.amdhsa_inst_pref_size 60
		.amdhsa_round_robin_scheduling 0
		.amdhsa_exception_fp_ieee_invalid_op 0
		.amdhsa_exception_fp_denorm_src 0
		.amdhsa_exception_fp_ieee_div_zero 0
		.amdhsa_exception_fp_ieee_overflow 0
		.amdhsa_exception_fp_ieee_underflow 0
		.amdhsa_exception_fp_ieee_inexact 0
		.amdhsa_exception_int_div_zero 0
	.end_amdhsa_kernel
	.section	.text._ZL30rocblas_trmm_outofplace_kernelI19rocblas_complex_numIfELi32ELi2ELb0ELb1ELb1ELb1ES1_KS1_S1_Ev17rocblas_diagonal_iiT6_lPT7_lllS6_lllPT8_llli,"axG",@progbits,_ZL30rocblas_trmm_outofplace_kernelI19rocblas_complex_numIfELi32ELi2ELb0ELb1ELb1ELb1ES1_KS1_S1_Ev17rocblas_diagonal_iiT6_lPT7_lllS6_lllPT8_llli,comdat
.Lfunc_end95:
	.size	_ZL30rocblas_trmm_outofplace_kernelI19rocblas_complex_numIfELi32ELi2ELb0ELb1ELb1ELb1ES1_KS1_S1_Ev17rocblas_diagonal_iiT6_lPT7_lllS6_lllPT8_llli, .Lfunc_end95-_ZL30rocblas_trmm_outofplace_kernelI19rocblas_complex_numIfELi32ELi2ELb0ELb1ELb1ELb1ES1_KS1_S1_Ev17rocblas_diagonal_iiT6_lPT7_lllS6_lllPT8_llli
                                        ; -- End function
	.set _ZL30rocblas_trmm_outofplace_kernelI19rocblas_complex_numIfELi32ELi2ELb0ELb1ELb1ELb1ES1_KS1_S1_Ev17rocblas_diagonal_iiT6_lPT7_lllS6_lllPT8_llli.num_vgpr, 92
	.set _ZL30rocblas_trmm_outofplace_kernelI19rocblas_complex_numIfELi32ELi2ELb0ELb1ELb1ELb1ES1_KS1_S1_Ev17rocblas_diagonal_iiT6_lPT7_lllS6_lllPT8_llli.num_agpr, 0
	.set _ZL30rocblas_trmm_outofplace_kernelI19rocblas_complex_numIfELi32ELi2ELb0ELb1ELb1ELb1ES1_KS1_S1_Ev17rocblas_diagonal_iiT6_lPT7_lllS6_lllPT8_llli.numbered_sgpr, 68
	.set _ZL30rocblas_trmm_outofplace_kernelI19rocblas_complex_numIfELi32ELi2ELb0ELb1ELb1ELb1ES1_KS1_S1_Ev17rocblas_diagonal_iiT6_lPT7_lllS6_lllPT8_llli.num_named_barrier, 0
	.set _ZL30rocblas_trmm_outofplace_kernelI19rocblas_complex_numIfELi32ELi2ELb0ELb1ELb1ELb1ES1_KS1_S1_Ev17rocblas_diagonal_iiT6_lPT7_lllS6_lllPT8_llli.private_seg_size, 0
	.set _ZL30rocblas_trmm_outofplace_kernelI19rocblas_complex_numIfELi32ELi2ELb0ELb1ELb1ELb1ES1_KS1_S1_Ev17rocblas_diagonal_iiT6_lPT7_lllS6_lllPT8_llli.uses_vcc, 1
	.set _ZL30rocblas_trmm_outofplace_kernelI19rocblas_complex_numIfELi32ELi2ELb0ELb1ELb1ELb1ES1_KS1_S1_Ev17rocblas_diagonal_iiT6_lPT7_lllS6_lllPT8_llli.uses_flat_scratch, 0
	.set _ZL30rocblas_trmm_outofplace_kernelI19rocblas_complex_numIfELi32ELi2ELb0ELb1ELb1ELb1ES1_KS1_S1_Ev17rocblas_diagonal_iiT6_lPT7_lllS6_lllPT8_llli.has_dyn_sized_stack, 0
	.set _ZL30rocblas_trmm_outofplace_kernelI19rocblas_complex_numIfELi32ELi2ELb0ELb1ELb1ELb1ES1_KS1_S1_Ev17rocblas_diagonal_iiT6_lPT7_lllS6_lllPT8_llli.has_recursion, 0
	.set _ZL30rocblas_trmm_outofplace_kernelI19rocblas_complex_numIfELi32ELi2ELb0ELb1ELb1ELb1ES1_KS1_S1_Ev17rocblas_diagonal_iiT6_lPT7_lllS6_lllPT8_llli.has_indirect_call, 0
	.section	.AMDGPU.csdata,"",@progbits
; Kernel info:
; codeLenInByte = 7640
; TotalNumSgprs: 70
; NumVgprs: 92
; ScratchSize: 0
; MemoryBound: 0
; FloatMode: 240
; IeeeMode: 1
; LDSByteSize: 16384 bytes/workgroup (compile time only)
; SGPRBlocks: 0
; VGPRBlocks: 11
; NumSGPRsForWavesPerEU: 70
; NumVGPRsForWavesPerEU: 92
; Occupancy: 16
; WaveLimiterHint : 0
; COMPUTE_PGM_RSRC2:SCRATCH_EN: 0
; COMPUTE_PGM_RSRC2:USER_SGPR: 2
; COMPUTE_PGM_RSRC2:TRAP_HANDLER: 0
; COMPUTE_PGM_RSRC2:TGID_X_EN: 1
; COMPUTE_PGM_RSRC2:TGID_Y_EN: 1
; COMPUTE_PGM_RSRC2:TGID_Z_EN: 1
; COMPUTE_PGM_RSRC2:TIDIG_COMP_CNT: 1
	.section	.text._ZL23rocblas_trmm_lNx_kernelILi16E19rocblas_complex_numIfEPKS1_S2_S1_Ev13rocblas_fill_17rocblas_diagonal_iiT1_lPT2_llS8_llPT3_lli,"axG",@progbits,_ZL23rocblas_trmm_lNx_kernelILi16E19rocblas_complex_numIfEPKS1_S2_S1_Ev13rocblas_fill_17rocblas_diagonal_iiT1_lPT2_llS8_llPT3_lli,comdat
	.globl	_ZL23rocblas_trmm_lNx_kernelILi16E19rocblas_complex_numIfEPKS1_S2_S1_Ev13rocblas_fill_17rocblas_diagonal_iiT1_lPT2_llS8_llPT3_lli ; -- Begin function _ZL23rocblas_trmm_lNx_kernelILi16E19rocblas_complex_numIfEPKS1_S2_S1_Ev13rocblas_fill_17rocblas_diagonal_iiT1_lPT2_llS8_llPT3_lli
	.p2align	8
	.type	_ZL23rocblas_trmm_lNx_kernelILi16E19rocblas_complex_numIfEPKS1_S2_S1_Ev13rocblas_fill_17rocblas_diagonal_iiT1_lPT2_llS8_llPT3_lli,@function
_ZL23rocblas_trmm_lNx_kernelILi16E19rocblas_complex_numIfEPKS1_S2_S1_Ev13rocblas_fill_17rocblas_diagonal_iiT1_lPT2_llS8_llPT3_lli: ; @_ZL23rocblas_trmm_lNx_kernelILi16E19rocblas_complex_numIfEPKS1_S2_S1_Ev13rocblas_fill_17rocblas_diagonal_iiT1_lPT2_llS8_llPT3_lli
; %bb.0:
	s_load_b32 s3, s[0:1], 0x68
	s_lshr_b32 s28, ttmp7, 16
	s_wait_kmcnt 0x0
	s_cmp_ge_u32 s28, s3
	s_cbranch_scc1 .LBB96_19
; %bb.1:
	s_clause 0x1
	s_load_b128 s[20:23], s[0:1], 0x0
	s_load_b512 s[4:19], s[0:1], 0x10
	v_bfe_u32 v13, v0, 10, 10
	v_dual_mov_b32 v1, 0 :: v_dual_and_b32 v14, 0x3ff, v0
	s_clause 0x1
	s_load_b128 s[24:27], s[0:1], 0x50
	s_load_b64 s[30:31], s[0:1], 0x60
	s_mov_b32 s29, 0
	s_wait_kmcnt 0x0
	s_add_co_i32 s1, s23, -1
	v_mad_co_u64_u32 v[2:3], null, s10, v13, 0
	v_mad_co_u64_u32 v[7:8], null, s16, v13, 0
	v_lshlrev_b32_e32 v0, 4, v13
	v_lshlrev_b32_e32 v5, 3, v14
	s_ashr_i32 s0, s1, 31
	v_mad_co_u64_u32 v[11:12], null, s26, v13, 0
	s_delay_alu instid0(VALU_DEP_3) | instskip(SKIP_4) | instid1(VALU_DEP_2)
	v_add_lshl_u32 v4, v0, v14, 3
	v_dual_mov_b32 v0, v3 :: v_dual_mov_b32 v3, v8
	s_lshr_b32 s2, s0, 28
	v_cmp_gt_i32_e32 vcc_lo, s22, v13
	s_add_co_i32 s1, s1, s2
	v_mad_co_u64_u32 v[8:9], null, s11, v13, v[0:1]
	v_add_nc_u32_e32 v6, 0x800, v4
	v_mad_co_u64_u32 v[9:10], null, s17, v13, v[3:4]
	s_ashr_i32 s2, s1, 4
	s_and_b32 s1, s1, -16
	v_cmp_gt_i32_e64 s0, s22, v14
	v_mov_b32_e32 v3, v8
	s_sub_co_i32 s1, s23, s1
	s_cmp_ge_i32 ttmp9, s2
	v_mov_b32_e32 v8, v9
	s_cselect_b32 s1, s1, 16
	v_lshlrev_b64_e32 v[2:3], 3, v[2:3]
	s_and_b32 s10, vcc_lo, s0
	v_cmp_gt_i32_e32 vcc_lo, s1, v13
	v_mov_b32_e32 v0, v12
	s_lshl_b32 s22, ttmp9, 4
	s_delay_alu instid0(VALU_DEP_3)
	v_add_co_u32 v9, s1, s8, v2
	s_wait_alu 0xf1ff
	v_add_co_ci_u32_e64 v10, null, s9, v3, s1
	s_wait_alu 0xfffe
	s_ashr_i32 s23, s22, 31
	v_lshlrev_b64_e32 v[2:3], 3, v[7:8]
	v_add_co_u32 v7, s1, v9, v5
	s_wait_alu 0xfffe
	s_mul_u64 s[16:17], s[16:17], s[22:23]
	v_add_co_ci_u32_e64 v8, null, 0, v10, s1
	v_mad_co_u64_u32 v[9:10], null, s27, v13, v[0:1]
	s_wait_alu 0xfffe
	s_lshl_b64 s[16:17], s[16:17], 3
	s_and_b32 s8, s0, vcc_lo
	s_wait_alu 0xfffe
	s_add_nc_u64 s[14:15], s[14:15], s[16:17]
	s_mul_u64 s[22:23], s[26:27], s[22:23]
	v_add_co_u32 v0, vcc_lo, s14, v2
	s_delay_alu instid0(VALU_DEP_1) | instskip(SKIP_1) | instid1(VALU_DEP_3)
	v_add_co_ci_u32_e64 v2, null, s15, v3, vcc_lo
	v_mov_b32_e32 v12, v9
	v_add_co_u32 v9, s0, v0, v5
	s_wait_alu 0xf1ff
	s_delay_alu instid0(VALU_DEP_3) | instskip(NEXT) | instid1(VALU_DEP_3)
	v_add_co_ci_u32_e64 v10, null, 0, v2, s0
	v_lshlrev_b64_e32 v[2:3], 3, v[11:12]
	s_wait_alu 0xfffe
	s_lshl_b64 s[22:23], s[22:23], 3
	v_cmp_eq_u32_e32 vcc_lo, v13, v14
	s_cmp_eq_u32 s21, 0x84
	s_wait_alu 0xfffe
	s_add_nc_u64 s[16:17], s[24:25], s[22:23]
	s_cselect_b32 s0, -1, 0
	v_cmp_gt_u32_e64 s1, v14, v13
	s_wait_alu 0xfffe
	s_and_b32 s9, vcc_lo, s0
	v_add_co_u32 v0, vcc_lo, s16, v2
	s_wait_alu 0xfffd
	v_add_co_ci_u32_e64 v2, null, s17, v3, vcc_lo
	v_cmp_lt_u32_e64 s0, v14, v13
	s_delay_alu instid0(VALU_DEP_3)
	v_add_co_u32 v12, vcc_lo, v0, v5
	v_lshl_add_u32 v11, v13, 7, 0x800
	s_wait_alu 0xfffd
	v_add_co_ci_u32_e64 v13, null, 0, v2, vcc_lo
	v_mov_b32_e32 v0, 1.0
	s_cmp_lg_u32 s20, 0x79
	s_cselect_b32 s11, -1, 0
	s_branch .LBB96_4
.LBB96_2:                               ;   in Loop: Header=BB96_4 Depth=1
	s_or_b32 exec_lo, exec_lo, s2
.LBB96_3:                               ;   in Loop: Header=BB96_4 Depth=1
	s_add_co_i32 s28, s28, 0x10000
	s_delay_alu instid0(SALU_CYCLE_1)
	s_cmp_lt_u32 s28, s3
	s_cbranch_scc0 .LBB96_19
.LBB96_4:                               ; =>This Inner Loop Header: Depth=1
	s_mul_u64 s[14:15], s[6:7], s[28:29]
	s_wait_alu 0xfffe
	s_lshl_b64 s[14:15], s[14:15], 3
	s_wait_alu 0xfffe
	s_add_nc_u64 s[14:15], s[4:5], s[14:15]
	global_load_b64 v[2:3], v1, s[14:15]
	s_wait_loadcnt 0x0
	v_cmp_neq_f32_e32 vcc_lo, 0, v2
	v_cmp_neq_f32_e64 s2, 0, v3
	s_or_b32 s2, vcc_lo, s2
	s_delay_alu instid0(SALU_CYCLE_1)
	s_and_not1_b32 vcc_lo, exec_lo, s2
	s_wait_alu 0xfffe
	s_cbranch_vccnz .LBB96_3
; %bb.5:                                ;   in Loop: Header=BB96_4 Depth=1
	s_mov_b32 s14, s29
	s_mov_b32 s15, s29
	s_wait_alu 0xfffe
	v_dual_mov_b32 v14, s14 :: v_dual_mov_b32 v15, s15
	ds_store_b64 v4, v[14:15]
	ds_store_b64 v6, v[14:15]
	s_and_saveexec_b32 s2, s10
	s_cbranch_execnz .LBB96_10
; %bb.6:                                ;   in Loop: Header=BB96_4 Depth=1
	s_or_b32 exec_lo, exec_lo, s2
	s_and_saveexec_b32 s2, s8
	s_cbranch_execnz .LBB96_11
.LBB96_7:                               ;   in Loop: Header=BB96_4 Depth=1
	s_or_b32 exec_lo, exec_lo, s2
	s_and_saveexec_b32 s2, s9
	s_cbranch_execnz .LBB96_12
.LBB96_8:                               ;   in Loop: Header=BB96_4 Depth=1
	s_or_b32 exec_lo, exec_lo, s2
	s_delay_alu instid0(SALU_CYCLE_1)
	s_and_b32 vcc_lo, exec_lo, s11
	s_wait_alu 0xfffe
	s_cbranch_vccz .LBB96_13
.LBB96_9:                               ;   in Loop: Header=BB96_4 Depth=1
	s_and_b32 s2, s0, exec_lo
	s_cbranch_execz .LBB96_14
	s_branch .LBB96_15
.LBB96_10:                              ;   in Loop: Header=BB96_4 Depth=1
	s_mul_u64 s[14:15], s[12:13], s[28:29]
	s_wait_alu 0xfffe
	s_lshl_b64 s[14:15], s[14:15], 3
	s_wait_alu 0xfffe
	v_add_co_u32 v14, vcc_lo, v7, s14
	s_wait_alu 0xfffd
	v_add_co_ci_u32_e64 v15, null, s15, v8, vcc_lo
	global_load_b64 v[14:15], v[14:15], off
	s_wait_loadcnt 0x0
	ds_store_b64 v4, v[14:15]
	s_or_b32 exec_lo, exec_lo, s2
	s_and_saveexec_b32 s2, s8
	s_cbranch_execz .LBB96_7
.LBB96_11:                              ;   in Loop: Header=BB96_4 Depth=1
	s_mul_u64 s[14:15], s[18:19], s[28:29]
	s_wait_alu 0xfffe
	s_lshl_b64 s[14:15], s[14:15], 3
	s_wait_alu 0xfffe
	v_add_co_u32 v14, vcc_lo, v9, s14
	s_wait_alu 0xfffd
	v_add_co_ci_u32_e64 v15, null, s15, v10, vcc_lo
	global_load_b64 v[14:15], v[14:15], off
	s_wait_loadcnt 0x0
	ds_store_b64 v6, v[14:15]
	s_or_b32 exec_lo, exec_lo, s2
	s_and_saveexec_b32 s2, s9
	s_cbranch_execz .LBB96_8
.LBB96_12:                              ;   in Loop: Header=BB96_4 Depth=1
	ds_store_b64 v4, v[0:1]
	s_or_b32 exec_lo, exec_lo, s2
	s_delay_alu instid0(SALU_CYCLE_1)
	s_and_b32 vcc_lo, exec_lo, s11
	s_wait_alu 0xfffe
	s_cbranch_vccnz .LBB96_9
.LBB96_13:                              ;   in Loop: Header=BB96_4 Depth=1
	s_mov_b32 s2, 0
.LBB96_14:                              ;   in Loop: Header=BB96_4 Depth=1
	s_delay_alu instid0(SALU_CYCLE_1)
	s_and_not1_b32 s2, s2, exec_lo
	s_and_b32 s14, s1, exec_lo
	s_wait_alu 0xfffe
	s_or_b32 s2, s2, s14
.LBB96_15:                              ;   in Loop: Header=BB96_4 Depth=1
	s_delay_alu instid0(SALU_CYCLE_1)
	s_and_saveexec_b32 s14, s2
; %bb.16:                               ;   in Loop: Header=BB96_4 Depth=1
	v_dual_mov_b32 v14, v1 :: v_dual_mov_b32 v15, v1
	ds_store_b64 v4, v[14:15]
; %bb.17:                               ;   in Loop: Header=BB96_4 Depth=1
	s_wait_alu 0xfffe
	s_or_b32 exec_lo, exec_lo, s14
	s_wait_dscnt 0x0
	s_barrier_signal -1
	s_barrier_wait -1
	global_inv scope:SCOPE_SE
	s_and_saveexec_b32 s2, s8
	s_cbranch_execz .LBB96_2
; %bb.18:                               ;   in Loop: Header=BB96_4 Depth=1
	ds_load_2addr_b64 v[14:17], v5 offset1:16
	ds_load_b128 v[18:21], v11
	ds_load_b128 v[22:25], v11 offset:16
	ds_load_2addr_b64 v[26:29], v5 offset0:32 offset1:48
	ds_load_2addr_b64 v[30:33], v5 offset0:64 offset1:80
	ds_load_b128 v[34:37], v11 offset:32
	ds_load_b128 v[38:41], v11 offset:48
	ds_load_2addr_b64 v[42:45], v5 offset0:96 offset1:112
	ds_load_2addr_b64 v[46:49], v5 offset0:128 offset1:144
	ds_load_b128 v[50:53], v11 offset:64
	ds_load_b128 v[54:57], v11 offset:80
	ds_load_2addr_b64 v[58:61], v5 offset0:160 offset1:176
	ds_load_2addr_b64 v[62:65], v5 offset0:192 offset1:208
	ds_load_b128 v[66:69], v11 offset:96
	ds_load_b128 v[70:73], v11 offset:112
	ds_load_2addr_b64 v[74:77], v5 offset0:224 offset1:240
	s_mul_u64 s[14:15], s[30:31], s[28:29]
	s_wait_alu 0xfffe
	s_lshl_b64 s[14:15], s[14:15], 3
	s_wait_dscnt 0xe
	v_dual_mul_f32 v78, v18, v15 :: v_dual_mul_f32 v79, v20, v17
	v_mul_f32_e32 v15, v19, v15
	s_wait_dscnt 0xc
	v_dual_mul_f32 v80, v22, v27 :: v_dual_mul_f32 v81, v24, v29
	s_delay_alu instid0(VALU_DEP_3) | instskip(NEXT) | instid1(VALU_DEP_2)
	v_dual_fmac_f32 v78, v19, v14 :: v_dual_fmac_f32 v79, v21, v16
	v_dual_mul_f32 v17, v21, v17 :: v_dual_fmac_f32 v80, v23, v26
	s_wait_dscnt 0xa
	v_dual_mul_f32 v82, v34, v31 :: v_dual_mul_f32 v83, v36, v33
	s_wait_dscnt 0x4
	v_dual_mul_f32 v88, v54, v59 :: v_dual_add_f32 v19, 0, v78
	v_mul_f32_e32 v78, v56, v61
	v_fma_f32 v14, v18, v14, -v15
	v_dual_mul_f32 v18, v23, v27 :: v_dual_fmac_f32 v81, v25, v28
	s_delay_alu instid0(VALU_DEP_4) | instskip(SKIP_1) | instid1(VALU_DEP_4)
	v_add_f32_e32 v15, v19, v79
	v_fma_f32 v16, v20, v16, -v17
	v_dual_add_f32 v14, 0, v14 :: v_dual_mul_f32 v17, v25, v29
	s_delay_alu instid0(VALU_DEP_4) | instskip(SKIP_1) | instid1(VALU_DEP_3)
	v_fma_f32 v18, v22, v26, -v18
	v_dual_mul_f32 v84, v38, v43 :: v_dual_mul_f32 v85, v40, v45
	v_add_f32_e32 v14, v14, v16
	v_add_f32_e32 v15, v15, v80
	v_mul_f32_e32 v16, v35, v31
	v_fma_f32 v17, v24, v28, -v17
	v_dual_fmac_f32 v82, v35, v30 :: v_dual_fmac_f32 v83, v37, v32
	v_dual_add_f32 v14, v14, v18 :: v_dual_fmac_f32 v85, v41, v44
	s_delay_alu instid0(VALU_DEP_4) | instskip(SKIP_1) | instid1(VALU_DEP_3)
	v_fma_f32 v16, v34, v30, -v16
	v_dual_mul_f32 v86, v50, v47 :: v_dual_mul_f32 v87, v52, v49
	v_add_f32_e32 v14, v14, v17
	v_add_f32_e32 v15, v15, v81
	v_mul_f32_e32 v18, v37, v33
	s_delay_alu instid0(VALU_DEP_4) | instskip(NEXT) | instid1(VALU_DEP_3)
	v_dual_fmac_f32 v84, v39, v42 :: v_dual_fmac_f32 v87, v53, v48
	v_dual_add_f32 v14, v14, v16 :: v_dual_add_f32 v15, v15, v82
	v_dual_mul_f32 v17, v39, v43 :: v_dual_mul_f32 v16, v41, v45
	s_delay_alu instid0(VALU_DEP_4) | instskip(SKIP_1) | instid1(VALU_DEP_4)
	v_fma_f32 v18, v36, v32, -v18
	v_fmac_f32_e32 v86, v51, v46
	v_add_f32_e32 v15, v15, v83
	s_delay_alu instid0(VALU_DEP_4)
	v_fma_f32 v17, v38, v42, -v17
	v_fma_f32 v16, v40, v44, -v16
	v_add_f32_e32 v14, v14, v18
	v_mul_f32_e32 v18, v51, v47
	v_add_f32_e32 v15, v15, v84
	s_wait_dscnt 0x2
	v_dual_fmac_f32 v88, v55, v58 :: v_dual_mul_f32 v19, v68, v65
	v_add_f32_e32 v14, v14, v17
	v_mul_f32_e32 v17, v53, v49
	v_add_f32_e32 v15, v15, v85
	v_fma_f32 v18, v50, v46, -v18
	v_fmac_f32_e32 v78, v57, v60
	v_add_f32_e32 v14, v14, v16
	v_dual_mul_f32 v16, v55, v59 :: v_dual_fmac_f32 v19, v69, v64
	v_add_f32_e32 v15, v15, v86
	v_fma_f32 v17, v52, v48, -v17
	s_delay_alu instid0(VALU_DEP_4) | instskip(SKIP_3) | instid1(VALU_DEP_3)
	v_add_f32_e32 v14, v14, v18
	v_mul_f32_e32 v18, v66, v63
	v_fma_f32 v16, v54, v58, -v16
	v_add_f32_e32 v15, v15, v87
	v_fmac_f32_e32 v18, v67, v62
	s_delay_alu instid0(VALU_DEP_2) | instskip(NEXT) | instid1(VALU_DEP_1)
	v_dual_add_f32 v15, v15, v88 :: v_dual_add_f32 v14, v14, v17
	v_dual_mul_f32 v17, v57, v61 :: v_dual_add_f32 v14, v14, v16
	s_delay_alu instid0(VALU_DEP_1) | instskip(SKIP_1) | instid1(VALU_DEP_2)
	v_fma_f32 v16, v56, v60, -v17
	v_mul_f32_e32 v17, v67, v63
	v_dual_add_f32 v15, v15, v78 :: v_dual_add_f32 v14, v14, v16
	s_delay_alu instid0(VALU_DEP_2) | instskip(SKIP_2) | instid1(VALU_DEP_3)
	v_fma_f32 v16, v66, v62, -v17
	v_mul_f32_e32 v17, v69, v65
	s_wait_dscnt 0x0
	v_dual_add_f32 v15, v15, v18 :: v_dual_mul_f32 v18, v70, v75
	s_delay_alu instid0(VALU_DEP_1) | instskip(NEXT) | instid1(VALU_DEP_3)
	v_dual_add_f32 v15, v15, v19 :: v_dual_add_f32 v14, v14, v16
	v_fma_f32 v16, v68, v64, -v17
	v_mul_f32_e32 v17, v71, v75
	s_delay_alu instid0(VALU_DEP_4) | instskip(NEXT) | instid1(VALU_DEP_1)
	v_dual_mul_f32 v19, v72, v77 :: v_dual_fmac_f32 v18, v71, v74
	v_fmac_f32_e32 v19, v73, v76
	s_delay_alu instid0(VALU_DEP_4) | instskip(NEXT) | instid1(VALU_DEP_4)
	v_add_f32_e32 v14, v14, v16
	v_fma_f32 v16, v70, v74, -v17
	v_mul_f32_e32 v17, v73, v77
	s_delay_alu instid0(VALU_DEP_2) | instskip(NEXT) | instid1(VALU_DEP_2)
	v_dual_add_f32 v15, v15, v18 :: v_dual_add_f32 v14, v14, v16
	v_fma_f32 v16, v72, v76, -v17
	s_delay_alu instid0(VALU_DEP_1) | instskip(NEXT) | instid1(VALU_DEP_1)
	v_dual_add_f32 v17, v15, v19 :: v_dual_add_f32 v14, v14, v16
	v_mul_f32_e32 v15, v2, v17
	v_mul_f32_e32 v16, v3, v17
	s_delay_alu instid0(VALU_DEP_2) | instskip(NEXT) | instid1(VALU_DEP_2)
	v_fmac_f32_e32 v15, v3, v14
	v_fma_f32 v14, v2, v14, -v16
	s_wait_alu 0xfffe
	v_add_co_u32 v2, vcc_lo, v12, s14
	s_wait_alu 0xfffd
	v_add_co_ci_u32_e64 v3, null, s15, v13, vcc_lo
	global_store_b64 v[2:3], v[14:15], off
	s_branch .LBB96_2
.LBB96_19:
	s_endpgm
	.section	.rodata,"a",@progbits
	.p2align	6, 0x0
	.amdhsa_kernel _ZL23rocblas_trmm_lNx_kernelILi16E19rocblas_complex_numIfEPKS1_S2_S1_Ev13rocblas_fill_17rocblas_diagonal_iiT1_lPT2_llS8_llPT3_lli
		.amdhsa_group_segment_fixed_size 4096
		.amdhsa_private_segment_fixed_size 0
		.amdhsa_kernarg_size 108
		.amdhsa_user_sgpr_count 2
		.amdhsa_user_sgpr_dispatch_ptr 0
		.amdhsa_user_sgpr_queue_ptr 0
		.amdhsa_user_sgpr_kernarg_segment_ptr 1
		.amdhsa_user_sgpr_dispatch_id 0
		.amdhsa_user_sgpr_private_segment_size 0
		.amdhsa_wavefront_size32 1
		.amdhsa_uses_dynamic_stack 0
		.amdhsa_enable_private_segment 0
		.amdhsa_system_sgpr_workgroup_id_x 1
		.amdhsa_system_sgpr_workgroup_id_y 0
		.amdhsa_system_sgpr_workgroup_id_z 1
		.amdhsa_system_sgpr_workgroup_info 0
		.amdhsa_system_vgpr_workitem_id 1
		.amdhsa_next_free_vgpr 89
		.amdhsa_next_free_sgpr 32
		.amdhsa_reserve_vcc 1
		.amdhsa_float_round_mode_32 0
		.amdhsa_float_round_mode_16_64 0
		.amdhsa_float_denorm_mode_32 3
		.amdhsa_float_denorm_mode_16_64 3
		.amdhsa_fp16_overflow 0
		.amdhsa_workgroup_processor_mode 1
		.amdhsa_memory_ordered 1
		.amdhsa_forward_progress 1
		.amdhsa_inst_pref_size 14
		.amdhsa_round_robin_scheduling 0
		.amdhsa_exception_fp_ieee_invalid_op 0
		.amdhsa_exception_fp_denorm_src 0
		.amdhsa_exception_fp_ieee_div_zero 0
		.amdhsa_exception_fp_ieee_overflow 0
		.amdhsa_exception_fp_ieee_underflow 0
		.amdhsa_exception_fp_ieee_inexact 0
		.amdhsa_exception_int_div_zero 0
	.end_amdhsa_kernel
	.section	.text._ZL23rocblas_trmm_lNx_kernelILi16E19rocblas_complex_numIfEPKS1_S2_S1_Ev13rocblas_fill_17rocblas_diagonal_iiT1_lPT2_llS8_llPT3_lli,"axG",@progbits,_ZL23rocblas_trmm_lNx_kernelILi16E19rocblas_complex_numIfEPKS1_S2_S1_Ev13rocblas_fill_17rocblas_diagonal_iiT1_lPT2_llS8_llPT3_lli,comdat
.Lfunc_end96:
	.size	_ZL23rocblas_trmm_lNx_kernelILi16E19rocblas_complex_numIfEPKS1_S2_S1_Ev13rocblas_fill_17rocblas_diagonal_iiT1_lPT2_llS8_llPT3_lli, .Lfunc_end96-_ZL23rocblas_trmm_lNx_kernelILi16E19rocblas_complex_numIfEPKS1_S2_S1_Ev13rocblas_fill_17rocblas_diagonal_iiT1_lPT2_llS8_llPT3_lli
                                        ; -- End function
	.set _ZL23rocblas_trmm_lNx_kernelILi16E19rocblas_complex_numIfEPKS1_S2_S1_Ev13rocblas_fill_17rocblas_diagonal_iiT1_lPT2_llS8_llPT3_lli.num_vgpr, 89
	.set _ZL23rocblas_trmm_lNx_kernelILi16E19rocblas_complex_numIfEPKS1_S2_S1_Ev13rocblas_fill_17rocblas_diagonal_iiT1_lPT2_llS8_llPT3_lli.num_agpr, 0
	.set _ZL23rocblas_trmm_lNx_kernelILi16E19rocblas_complex_numIfEPKS1_S2_S1_Ev13rocblas_fill_17rocblas_diagonal_iiT1_lPT2_llS8_llPT3_lli.numbered_sgpr, 32
	.set _ZL23rocblas_trmm_lNx_kernelILi16E19rocblas_complex_numIfEPKS1_S2_S1_Ev13rocblas_fill_17rocblas_diagonal_iiT1_lPT2_llS8_llPT3_lli.num_named_barrier, 0
	.set _ZL23rocblas_trmm_lNx_kernelILi16E19rocblas_complex_numIfEPKS1_S2_S1_Ev13rocblas_fill_17rocblas_diagonal_iiT1_lPT2_llS8_llPT3_lli.private_seg_size, 0
	.set _ZL23rocblas_trmm_lNx_kernelILi16E19rocblas_complex_numIfEPKS1_S2_S1_Ev13rocblas_fill_17rocblas_diagonal_iiT1_lPT2_llS8_llPT3_lli.uses_vcc, 1
	.set _ZL23rocblas_trmm_lNx_kernelILi16E19rocblas_complex_numIfEPKS1_S2_S1_Ev13rocblas_fill_17rocblas_diagonal_iiT1_lPT2_llS8_llPT3_lli.uses_flat_scratch, 0
	.set _ZL23rocblas_trmm_lNx_kernelILi16E19rocblas_complex_numIfEPKS1_S2_S1_Ev13rocblas_fill_17rocblas_diagonal_iiT1_lPT2_llS8_llPT3_lli.has_dyn_sized_stack, 0
	.set _ZL23rocblas_trmm_lNx_kernelILi16E19rocblas_complex_numIfEPKS1_S2_S1_Ev13rocblas_fill_17rocblas_diagonal_iiT1_lPT2_llS8_llPT3_lli.has_recursion, 0
	.set _ZL23rocblas_trmm_lNx_kernelILi16E19rocblas_complex_numIfEPKS1_S2_S1_Ev13rocblas_fill_17rocblas_diagonal_iiT1_lPT2_llS8_llPT3_lli.has_indirect_call, 0
	.section	.AMDGPU.csdata,"",@progbits
; Kernel info:
; codeLenInByte = 1716
; TotalNumSgprs: 34
; NumVgprs: 89
; ScratchSize: 0
; MemoryBound: 0
; FloatMode: 240
; IeeeMode: 1
; LDSByteSize: 4096 bytes/workgroup (compile time only)
; SGPRBlocks: 0
; VGPRBlocks: 11
; NumSGPRsForWavesPerEU: 34
; NumVGPRsForWavesPerEU: 89
; Occupancy: 16
; WaveLimiterHint : 0
; COMPUTE_PGM_RSRC2:SCRATCH_EN: 0
; COMPUTE_PGM_RSRC2:USER_SGPR: 2
; COMPUTE_PGM_RSRC2:TRAP_HANDLER: 0
; COMPUTE_PGM_RSRC2:TGID_X_EN: 1
; COMPUTE_PGM_RSRC2:TGID_Y_EN: 0
; COMPUTE_PGM_RSRC2:TGID_Z_EN: 1
; COMPUTE_PGM_RSRC2:TIDIG_COMP_CNT: 1
	.section	.text._ZL23rocblas_trmm_lNx_kernelILi16E19rocblas_complex_numIfES1_KS1_S1_Ev13rocblas_fill_17rocblas_diagonal_iiT1_lPT2_llS7_llPT3_lli,"axG",@progbits,_ZL23rocblas_trmm_lNx_kernelILi16E19rocblas_complex_numIfES1_KS1_S1_Ev13rocblas_fill_17rocblas_diagonal_iiT1_lPT2_llS7_llPT3_lli,comdat
	.globl	_ZL23rocblas_trmm_lNx_kernelILi16E19rocblas_complex_numIfES1_KS1_S1_Ev13rocblas_fill_17rocblas_diagonal_iiT1_lPT2_llS7_llPT3_lli ; -- Begin function _ZL23rocblas_trmm_lNx_kernelILi16E19rocblas_complex_numIfES1_KS1_S1_Ev13rocblas_fill_17rocblas_diagonal_iiT1_lPT2_llS7_llPT3_lli
	.p2align	8
	.type	_ZL23rocblas_trmm_lNx_kernelILi16E19rocblas_complex_numIfES1_KS1_S1_Ev13rocblas_fill_17rocblas_diagonal_iiT1_lPT2_llS7_llPT3_lli,@function
_ZL23rocblas_trmm_lNx_kernelILi16E19rocblas_complex_numIfES1_KS1_S1_Ev13rocblas_fill_17rocblas_diagonal_iiT1_lPT2_llS7_llPT3_lli: ; @_ZL23rocblas_trmm_lNx_kernelILi16E19rocblas_complex_numIfES1_KS1_S1_Ev13rocblas_fill_17rocblas_diagonal_iiT1_lPT2_llS7_llPT3_lli
; %bb.0:
	s_load_b32 s28, s[0:1], 0x68
	s_lshr_b32 s2, ttmp7, 16
	s_wait_kmcnt 0x0
	s_cmp_ge_u32 s2, s28
	s_cbranch_scc1 .LBB97_19
; %bb.1:
	s_clause 0x1
	s_load_b64 s[24:25], s[0:1], 0x10
	s_load_b512 s[4:19], s[0:1], 0x20
	v_bfe_u32 v12, v0, 10, 10
	s_clause 0x1
	s_load_b128 s[20:23], s[0:1], 0x0
	s_load_b64 s[26:27], s[0:1], 0x60
	s_wait_kmcnt 0x0
	s_cmp_neq_f32 s24, 0
	v_mad_co_u64_u32 v[5:6], null, s12, v12, 0
	v_and_b32_e32 v13, 0x3ff, v0
	v_lshlrev_b32_e32 v0, 4, v12
	s_cselect_b32 s1, -1, 0
	s_cmp_neq_f32 s25, 0
	v_cmp_gt_i32_e32 vcc_lo, s22, v12
	v_mad_co_u64_u32 v[7:8], null, s18, v12, 0
	v_mov_b32_e32 v4, v6
	v_add_lshl_u32 v2, v0, v13, 3
	v_mad_co_u64_u32 v[0:1], null, s6, v12, 0
	v_cmp_gt_i32_e64 s0, s22, v13
	s_cselect_b32 s3, -1, 0
	s_add_co_i32 s22, s23, -1
	s_wait_alu 0xfffe
	s_ashr_i32 s6, s22, 31
	v_mad_co_u64_u32 v[9:10], null, s7, v12, v[1:2]
	s_wait_alu 0xfffe
	s_lshr_b32 s29, s6, 28
	s_or_b32 s6, s1, s3
	s_add_co_i32 s22, s22, s29
	v_mad_co_u64_u32 v[10:11], null, s13, v12, v[4:5]
	s_wait_alu 0xfffe
	s_and_b32 s1, s22, -16
	v_mov_b32_e32 v1, v9
	s_ashr_i32 s3, s22, 4
	s_sub_co_i32 s1, s23, s1
	s_cmp_ge_i32 ttmp9, s3
	s_delay_alu instid0(VALU_DEP_2)
	v_dual_mov_b32 v6, v10 :: v_dual_add_nc_u32 v3, 0x800, v2
	v_lshlrev_b64_e32 v[0:1], 3, v[0:1]
	s_cselect_b32 s1, s1, 16
	s_and_b32 s7, vcc_lo, s0
	s_lshl_b32 s22, ttmp9, 4
	v_lshlrev_b32_e32 v4, 3, v13
	s_wait_alu 0xfffe
	s_ashr_i32 s23, s22, 31
	v_add_co_u32 v11, vcc_lo, s4, v0
	s_delay_alu instid0(VALU_DEP_1)
	v_add_co_ci_u32_e64 v14, null, s5, v1, vcc_lo
	v_mad_co_u64_u32 v[0:1], null, s19, v12, v[8:9]
	s_wait_alu 0xfffe
	s_mul_u64 s[12:13], s[12:13], s[22:23]
	v_lshlrev_b64_e32 v[9:10], 3, v[5:6]
	v_cmp_gt_i32_e32 vcc_lo, s1, v12
	s_wait_alu 0xfffe
	s_lshl_b64 s[12:13], s[12:13], 3
	s_mul_u64 s[22:23], s[18:19], s[22:23]
	s_wait_alu 0xfffe
	s_add_nc_u64 s[10:11], s[10:11], s[12:13]
	v_mov_b32_e32 v8, v0
	s_and_b32 s4, s0, vcc_lo
	v_add_co_u32 v9, vcc_lo, s10, v9
	s_lshl_b64 s[22:23], s[22:23], 3
	v_lshlrev_b64_e32 v[0:1], 3, v[7:8]
	s_wait_alu 0xfffd
	v_add_co_ci_u32_e64 v10, null, s11, v10, vcc_lo
	v_cmp_eq_u32_e32 vcc_lo, v12, v13
	v_add_co_u32 v5, s1, v11, v4
	s_cmp_eq_u32 s21, 0x84
	s_wait_alu 0xfffe
	s_add_nc_u64 s[12:13], s[16:17], s[22:23]
	v_add_co_ci_u32_e64 v6, null, 0, v14, s1
	s_cselect_b32 s1, -1, 0
	v_add_co_u32 v7, s0, v9, v4
	s_wait_alu 0xfffe
	s_and_b32 s5, vcc_lo, s1
	v_add_co_u32 v0, vcc_lo, s12, v0
	s_wait_alu 0xfffd
	v_add_co_ci_u32_e64 v1, null, s13, v1, vcc_lo
	v_add_co_ci_u32_e64 v8, null, 0, v10, s0
	s_delay_alu instid0(VALU_DEP_3)
	v_add_co_u32 v10, vcc_lo, v0, v4
	v_cmp_lt_u32_e64 s0, v13, v12
	v_cmp_gt_u32_e64 s1, v13, v12
	v_lshl_add_u32 v9, v12, 7, 0x800
	s_wait_alu 0xfffd
	v_add_co_ci_u32_e64 v11, null, 0, v1, vcc_lo
	v_dual_mov_b32 v0, 1.0 :: v_dual_mov_b32 v1, 0
	s_cmp_lg_u32 s20, 0x79
	s_mov_b32 s3, 0
	s_cselect_b32 s10, -1, 0
	s_branch .LBB97_4
.LBB97_2:                               ;   in Loop: Header=BB97_4 Depth=1
	s_wait_alu 0xfffe
	s_or_b32 exec_lo, exec_lo, s11
.LBB97_3:                               ;   in Loop: Header=BB97_4 Depth=1
	s_add_co_i32 s2, s2, 0x10000
	s_delay_alu instid0(SALU_CYCLE_1)
	s_cmp_lt_u32 s2, s28
	s_cbranch_scc0 .LBB97_19
.LBB97_4:                               ; =>This Inner Loop Header: Depth=1
	s_and_not1_b32 vcc_lo, exec_lo, s6
	s_wait_alu 0xfffe
	s_cbranch_vccnz .LBB97_3
; %bb.5:                                ;   in Loop: Header=BB97_4 Depth=1
	s_mov_b32 s12, s3
	s_mov_b32 s13, s3
	s_wait_alu 0xfffe
	v_dual_mov_b32 v12, s12 :: v_dual_mov_b32 v13, s13
	ds_store_b64 v2, v[12:13]
	ds_store_b64 v3, v[12:13]
	s_and_saveexec_b32 s11, s7
	s_cbranch_execnz .LBB97_10
; %bb.6:                                ;   in Loop: Header=BB97_4 Depth=1
	s_wait_alu 0xfffe
	s_or_b32 exec_lo, exec_lo, s11
	s_and_saveexec_b32 s11, s4
	s_cbranch_execnz .LBB97_11
.LBB97_7:                               ;   in Loop: Header=BB97_4 Depth=1
	s_wait_alu 0xfffe
	s_or_b32 exec_lo, exec_lo, s11
	s_and_saveexec_b32 s11, s5
	s_cbranch_execnz .LBB97_12
.LBB97_8:                               ;   in Loop: Header=BB97_4 Depth=1
	s_wait_alu 0xfffe
	s_or_b32 exec_lo, exec_lo, s11
	s_delay_alu instid0(SALU_CYCLE_1)
	s_and_b32 vcc_lo, exec_lo, s10
	s_wait_alu 0xfffe
	s_cbranch_vccz .LBB97_13
.LBB97_9:                               ;   in Loop: Header=BB97_4 Depth=1
	s_and_b32 s11, s0, exec_lo
	s_cbranch_execz .LBB97_14
	s_branch .LBB97_15
.LBB97_10:                              ;   in Loop: Header=BB97_4 Depth=1
	s_mul_u64 s[12:13], s[8:9], s[2:3]
	s_wait_alu 0xfffe
	s_lshl_b64 s[12:13], s[12:13], 3
	s_wait_alu 0xfffe
	v_add_co_u32 v12, vcc_lo, v5, s12
	s_wait_alu 0xfffd
	v_add_co_ci_u32_e64 v13, null, s13, v6, vcc_lo
	global_load_b64 v[12:13], v[12:13], off
	s_wait_loadcnt 0x0
	ds_store_b64 v2, v[12:13]
	s_or_b32 exec_lo, exec_lo, s11
	s_and_saveexec_b32 s11, s4
	s_cbranch_execz .LBB97_7
.LBB97_11:                              ;   in Loop: Header=BB97_4 Depth=1
	s_mul_u64 s[12:13], s[14:15], s[2:3]
	s_wait_alu 0xfffe
	s_lshl_b64 s[12:13], s[12:13], 3
	s_wait_alu 0xfffe
	v_add_co_u32 v12, vcc_lo, v7, s12
	s_wait_alu 0xfffd
	v_add_co_ci_u32_e64 v13, null, s13, v8, vcc_lo
	global_load_b64 v[12:13], v[12:13], off
	s_wait_loadcnt 0x0
	ds_store_b64 v3, v[12:13]
	s_or_b32 exec_lo, exec_lo, s11
	s_and_saveexec_b32 s11, s5
	s_cbranch_execz .LBB97_8
.LBB97_12:                              ;   in Loop: Header=BB97_4 Depth=1
	ds_store_b64 v2, v[0:1]
	s_wait_alu 0xfffe
	s_or_b32 exec_lo, exec_lo, s11
	s_delay_alu instid0(SALU_CYCLE_1)
	s_and_b32 vcc_lo, exec_lo, s10
	s_wait_alu 0xfffe
	s_cbranch_vccnz .LBB97_9
.LBB97_13:                              ;   in Loop: Header=BB97_4 Depth=1
	s_mov_b32 s11, 0
.LBB97_14:                              ;   in Loop: Header=BB97_4 Depth=1
	s_wait_alu 0xfffe
	s_and_not1_b32 s11, s11, exec_lo
	s_and_b32 s12, s1, exec_lo
	s_wait_alu 0xfffe
	s_or_b32 s11, s11, s12
.LBB97_15:                              ;   in Loop: Header=BB97_4 Depth=1
	s_wait_alu 0xfffe
	s_and_saveexec_b32 s12, s11
; %bb.16:                               ;   in Loop: Header=BB97_4 Depth=1
	v_dual_mov_b32 v12, v1 :: v_dual_mov_b32 v13, v1
	ds_store_b64 v2, v[12:13]
; %bb.17:                               ;   in Loop: Header=BB97_4 Depth=1
	s_wait_alu 0xfffe
	s_or_b32 exec_lo, exec_lo, s12
	s_wait_dscnt 0x0
	s_barrier_signal -1
	s_barrier_wait -1
	global_inv scope:SCOPE_SE
	s_and_saveexec_b32 s11, s4
	s_cbranch_execz .LBB97_2
; %bb.18:                               ;   in Loop: Header=BB97_4 Depth=1
	ds_load_2addr_b64 v[12:15], v4 offset1:16
	ds_load_b128 v[16:19], v9
	ds_load_b128 v[20:23], v9 offset:16
	ds_load_2addr_b64 v[24:27], v4 offset0:32 offset1:48
	ds_load_2addr_b64 v[28:31], v4 offset0:64 offset1:80
	ds_load_b128 v[32:35], v9 offset:32
	ds_load_b128 v[36:39], v9 offset:48
	ds_load_2addr_b64 v[40:43], v4 offset0:96 offset1:112
	ds_load_2addr_b64 v[44:47], v4 offset0:128 offset1:144
	ds_load_b128 v[48:51], v9 offset:64
	;; [unrolled: 4-line block ×3, first 2 shown]
	ds_load_b128 v[68:71], v9 offset:112
	ds_load_2addr_b64 v[72:75], v4 offset0:224 offset1:240
	s_mul_u64 s[12:13], s[26:27], s[2:3]
	s_wait_alu 0xfffe
	s_lshl_b64 s[12:13], s[12:13], 3
	s_wait_dscnt 0xe
	v_dual_mul_f32 v76, v16, v13 :: v_dual_mul_f32 v77, v18, v15
	v_mul_f32_e32 v13, v17, v13
	s_wait_dscnt 0xc
	v_dual_mul_f32 v78, v20, v25 :: v_dual_mul_f32 v79, v22, v27
	s_delay_alu instid0(VALU_DEP_3) | instskip(NEXT) | instid1(VALU_DEP_2)
	v_dual_fmac_f32 v76, v17, v12 :: v_dual_fmac_f32 v77, v19, v14
	v_dual_mul_f32 v15, v19, v15 :: v_dual_fmac_f32 v78, v21, v24
	s_wait_dscnt 0xa
	v_dual_mul_f32 v80, v32, v29 :: v_dual_mul_f32 v81, v34, v31
	s_wait_dscnt 0x4
	v_dual_mul_f32 v86, v52, v57 :: v_dual_add_f32 v17, 0, v76
	v_mul_f32_e32 v76, v54, v59
	v_fma_f32 v12, v16, v12, -v13
	v_dual_mul_f32 v16, v21, v25 :: v_dual_fmac_f32 v79, v23, v26
	s_delay_alu instid0(VALU_DEP_4) | instskip(SKIP_1) | instid1(VALU_DEP_4)
	v_add_f32_e32 v13, v17, v77
	v_fma_f32 v14, v18, v14, -v15
	v_dual_add_f32 v12, 0, v12 :: v_dual_mul_f32 v15, v23, v27
	s_delay_alu instid0(VALU_DEP_4) | instskip(SKIP_1) | instid1(VALU_DEP_3)
	v_fma_f32 v16, v20, v24, -v16
	v_dual_mul_f32 v82, v36, v41 :: v_dual_mul_f32 v83, v38, v43
	v_add_f32_e32 v12, v12, v14
	v_add_f32_e32 v13, v13, v78
	v_mul_f32_e32 v14, v33, v29
	v_fma_f32 v15, v22, v26, -v15
	v_dual_fmac_f32 v80, v33, v28 :: v_dual_fmac_f32 v81, v35, v30
	v_dual_add_f32 v12, v12, v16 :: v_dual_fmac_f32 v83, v39, v42
	s_delay_alu instid0(VALU_DEP_4) | instskip(SKIP_1) | instid1(VALU_DEP_3)
	v_fma_f32 v14, v32, v28, -v14
	v_dual_mul_f32 v84, v48, v45 :: v_dual_mul_f32 v85, v50, v47
	v_add_f32_e32 v12, v12, v15
	v_add_f32_e32 v13, v13, v79
	v_mul_f32_e32 v16, v35, v31
	s_delay_alu instid0(VALU_DEP_4) | instskip(NEXT) | instid1(VALU_DEP_3)
	v_dual_fmac_f32 v82, v37, v40 :: v_dual_fmac_f32 v85, v51, v46
	v_dual_add_f32 v12, v12, v14 :: v_dual_add_f32 v13, v13, v80
	v_dual_mul_f32 v15, v37, v41 :: v_dual_mul_f32 v14, v39, v43
	s_delay_alu instid0(VALU_DEP_4) | instskip(SKIP_1) | instid1(VALU_DEP_4)
	v_fma_f32 v16, v34, v30, -v16
	v_fmac_f32_e32 v84, v49, v44
	v_add_f32_e32 v13, v13, v81
	s_delay_alu instid0(VALU_DEP_4)
	v_fma_f32 v15, v36, v40, -v15
	v_fma_f32 v14, v38, v42, -v14
	v_add_f32_e32 v12, v12, v16
	v_mul_f32_e32 v16, v49, v45
	v_add_f32_e32 v13, v13, v82
	s_wait_dscnt 0x2
	v_dual_fmac_f32 v86, v53, v56 :: v_dual_mul_f32 v17, v66, v63
	v_add_f32_e32 v12, v12, v15
	v_mul_f32_e32 v15, v51, v47
	v_add_f32_e32 v13, v13, v83
	v_fma_f32 v16, v48, v44, -v16
	v_fmac_f32_e32 v76, v55, v58
	v_add_f32_e32 v12, v12, v14
	v_dual_mul_f32 v14, v53, v57 :: v_dual_fmac_f32 v17, v67, v62
	v_add_f32_e32 v13, v13, v84
	v_fma_f32 v15, v50, v46, -v15
	s_delay_alu instid0(VALU_DEP_4) | instskip(SKIP_3) | instid1(VALU_DEP_3)
	v_add_f32_e32 v12, v12, v16
	v_mul_f32_e32 v16, v64, v61
	v_fma_f32 v14, v52, v56, -v14
	v_add_f32_e32 v13, v13, v85
	v_fmac_f32_e32 v16, v65, v60
	s_delay_alu instid0(VALU_DEP_2) | instskip(NEXT) | instid1(VALU_DEP_1)
	v_dual_add_f32 v13, v13, v86 :: v_dual_add_f32 v12, v12, v15
	v_dual_mul_f32 v15, v55, v59 :: v_dual_add_f32 v12, v12, v14
	s_delay_alu instid0(VALU_DEP_1) | instskip(SKIP_1) | instid1(VALU_DEP_2)
	v_fma_f32 v14, v54, v58, -v15
	v_mul_f32_e32 v15, v65, v61
	v_dual_add_f32 v13, v13, v76 :: v_dual_add_f32 v12, v12, v14
	s_delay_alu instid0(VALU_DEP_2) | instskip(SKIP_2) | instid1(VALU_DEP_3)
	v_fma_f32 v14, v64, v60, -v15
	v_mul_f32_e32 v15, v67, v63
	s_wait_dscnt 0x0
	v_dual_add_f32 v13, v13, v16 :: v_dual_mul_f32 v16, v68, v73
	s_delay_alu instid0(VALU_DEP_1) | instskip(NEXT) | instid1(VALU_DEP_3)
	v_dual_add_f32 v13, v13, v17 :: v_dual_add_f32 v12, v12, v14
	v_fma_f32 v14, v66, v62, -v15
	v_mul_f32_e32 v15, v69, v73
	s_delay_alu instid0(VALU_DEP_4) | instskip(NEXT) | instid1(VALU_DEP_1)
	v_dual_mul_f32 v17, v70, v75 :: v_dual_fmac_f32 v16, v69, v72
	v_fmac_f32_e32 v17, v71, v74
	s_delay_alu instid0(VALU_DEP_4) | instskip(NEXT) | instid1(VALU_DEP_4)
	v_add_f32_e32 v12, v12, v14
	v_fma_f32 v14, v68, v72, -v15
	v_mul_f32_e32 v15, v71, v75
	s_delay_alu instid0(VALU_DEP_2) | instskip(NEXT) | instid1(VALU_DEP_2)
	v_dual_add_f32 v13, v13, v16 :: v_dual_add_f32 v12, v12, v14
	v_fma_f32 v14, v70, v74, -v15
	s_delay_alu instid0(VALU_DEP_1) | instskip(NEXT) | instid1(VALU_DEP_1)
	v_dual_add_f32 v15, v13, v17 :: v_dual_add_f32 v12, v12, v14
	v_mul_f32_e32 v13, s24, v15
	s_delay_alu instid0(VALU_DEP_1) | instskip(NEXT) | instid1(VALU_DEP_1)
	v_dual_mul_f32 v14, s25, v15 :: v_dual_fmac_f32 v13, s25, v12
	v_fma_f32 v12, s24, v12, -v14
	s_wait_alu 0xfffe
	v_add_co_u32 v14, vcc_lo, v10, s12
	s_wait_alu 0xfffd
	v_add_co_ci_u32_e64 v15, null, s13, v11, vcc_lo
	global_store_b64 v[14:15], v[12:13], off
	s_branch .LBB97_2
.LBB97_19:
	s_endpgm
	.section	.rodata,"a",@progbits
	.p2align	6, 0x0
	.amdhsa_kernel _ZL23rocblas_trmm_lNx_kernelILi16E19rocblas_complex_numIfES1_KS1_S1_Ev13rocblas_fill_17rocblas_diagonal_iiT1_lPT2_llS7_llPT3_lli
		.amdhsa_group_segment_fixed_size 4096
		.amdhsa_private_segment_fixed_size 0
		.amdhsa_kernarg_size 108
		.amdhsa_user_sgpr_count 2
		.amdhsa_user_sgpr_dispatch_ptr 0
		.amdhsa_user_sgpr_queue_ptr 0
		.amdhsa_user_sgpr_kernarg_segment_ptr 1
		.amdhsa_user_sgpr_dispatch_id 0
		.amdhsa_user_sgpr_private_segment_size 0
		.amdhsa_wavefront_size32 1
		.amdhsa_uses_dynamic_stack 0
		.amdhsa_enable_private_segment 0
		.amdhsa_system_sgpr_workgroup_id_x 1
		.amdhsa_system_sgpr_workgroup_id_y 0
		.amdhsa_system_sgpr_workgroup_id_z 1
		.amdhsa_system_sgpr_workgroup_info 0
		.amdhsa_system_vgpr_workitem_id 1
		.amdhsa_next_free_vgpr 87
		.amdhsa_next_free_sgpr 30
		.amdhsa_reserve_vcc 1
		.amdhsa_float_round_mode_32 0
		.amdhsa_float_round_mode_16_64 0
		.amdhsa_float_denorm_mode_32 3
		.amdhsa_float_denorm_mode_16_64 3
		.amdhsa_fp16_overflow 0
		.amdhsa_workgroup_processor_mode 1
		.amdhsa_memory_ordered 1
		.amdhsa_forward_progress 1
		.amdhsa_inst_pref_size 14
		.amdhsa_round_robin_scheduling 0
		.amdhsa_exception_fp_ieee_invalid_op 0
		.amdhsa_exception_fp_denorm_src 0
		.amdhsa_exception_fp_ieee_div_zero 0
		.amdhsa_exception_fp_ieee_overflow 0
		.amdhsa_exception_fp_ieee_underflow 0
		.amdhsa_exception_fp_ieee_inexact 0
		.amdhsa_exception_int_div_zero 0
	.end_amdhsa_kernel
	.section	.text._ZL23rocblas_trmm_lNx_kernelILi16E19rocblas_complex_numIfES1_KS1_S1_Ev13rocblas_fill_17rocblas_diagonal_iiT1_lPT2_llS7_llPT3_lli,"axG",@progbits,_ZL23rocblas_trmm_lNx_kernelILi16E19rocblas_complex_numIfES1_KS1_S1_Ev13rocblas_fill_17rocblas_diagonal_iiT1_lPT2_llS7_llPT3_lli,comdat
.Lfunc_end97:
	.size	_ZL23rocblas_trmm_lNx_kernelILi16E19rocblas_complex_numIfES1_KS1_S1_Ev13rocblas_fill_17rocblas_diagonal_iiT1_lPT2_llS7_llPT3_lli, .Lfunc_end97-_ZL23rocblas_trmm_lNx_kernelILi16E19rocblas_complex_numIfES1_KS1_S1_Ev13rocblas_fill_17rocblas_diagonal_iiT1_lPT2_llS7_llPT3_lli
                                        ; -- End function
	.set _ZL23rocblas_trmm_lNx_kernelILi16E19rocblas_complex_numIfES1_KS1_S1_Ev13rocblas_fill_17rocblas_diagonal_iiT1_lPT2_llS7_llPT3_lli.num_vgpr, 87
	.set _ZL23rocblas_trmm_lNx_kernelILi16E19rocblas_complex_numIfES1_KS1_S1_Ev13rocblas_fill_17rocblas_diagonal_iiT1_lPT2_llS7_llPT3_lli.num_agpr, 0
	.set _ZL23rocblas_trmm_lNx_kernelILi16E19rocblas_complex_numIfES1_KS1_S1_Ev13rocblas_fill_17rocblas_diagonal_iiT1_lPT2_llS7_llPT3_lli.numbered_sgpr, 30
	.set _ZL23rocblas_trmm_lNx_kernelILi16E19rocblas_complex_numIfES1_KS1_S1_Ev13rocblas_fill_17rocblas_diagonal_iiT1_lPT2_llS7_llPT3_lli.num_named_barrier, 0
	.set _ZL23rocblas_trmm_lNx_kernelILi16E19rocblas_complex_numIfES1_KS1_S1_Ev13rocblas_fill_17rocblas_diagonal_iiT1_lPT2_llS7_llPT3_lli.private_seg_size, 0
	.set _ZL23rocblas_trmm_lNx_kernelILi16E19rocblas_complex_numIfES1_KS1_S1_Ev13rocblas_fill_17rocblas_diagonal_iiT1_lPT2_llS7_llPT3_lli.uses_vcc, 1
	.set _ZL23rocblas_trmm_lNx_kernelILi16E19rocblas_complex_numIfES1_KS1_S1_Ev13rocblas_fill_17rocblas_diagonal_iiT1_lPT2_llS7_llPT3_lli.uses_flat_scratch, 0
	.set _ZL23rocblas_trmm_lNx_kernelILi16E19rocblas_complex_numIfES1_KS1_S1_Ev13rocblas_fill_17rocblas_diagonal_iiT1_lPT2_llS7_llPT3_lli.has_dyn_sized_stack, 0
	.set _ZL23rocblas_trmm_lNx_kernelILi16E19rocblas_complex_numIfES1_KS1_S1_Ev13rocblas_fill_17rocblas_diagonal_iiT1_lPT2_llS7_llPT3_lli.has_recursion, 0
	.set _ZL23rocblas_trmm_lNx_kernelILi16E19rocblas_complex_numIfES1_KS1_S1_Ev13rocblas_fill_17rocblas_diagonal_iiT1_lPT2_llS7_llPT3_lli.has_indirect_call, 0
	.section	.AMDGPU.csdata,"",@progbits
; Kernel info:
; codeLenInByte = 1688
; TotalNumSgprs: 32
; NumVgprs: 87
; ScratchSize: 0
; MemoryBound: 0
; FloatMode: 240
; IeeeMode: 1
; LDSByteSize: 4096 bytes/workgroup (compile time only)
; SGPRBlocks: 0
; VGPRBlocks: 10
; NumSGPRsForWavesPerEU: 32
; NumVGPRsForWavesPerEU: 87
; Occupancy: 16
; WaveLimiterHint : 0
; COMPUTE_PGM_RSRC2:SCRATCH_EN: 0
; COMPUTE_PGM_RSRC2:USER_SGPR: 2
; COMPUTE_PGM_RSRC2:TRAP_HANDLER: 0
; COMPUTE_PGM_RSRC2:TGID_X_EN: 1
; COMPUTE_PGM_RSRC2:TGID_Y_EN: 0
; COMPUTE_PGM_RSRC2:TGID_Z_EN: 1
; COMPUTE_PGM_RSRC2:TIDIG_COMP_CNT: 1
	.section	.text._ZL23rocblas_trmm_lTx_kernelILi16ELb0E19rocblas_complex_numIfEPKS1_S2_S1_Ev13rocblas_fill_17rocblas_diagonal_iiT2_lPT3_llS8_llPT4_lli,"axG",@progbits,_ZL23rocblas_trmm_lTx_kernelILi16ELb0E19rocblas_complex_numIfEPKS1_S2_S1_Ev13rocblas_fill_17rocblas_diagonal_iiT2_lPT3_llS8_llPT4_lli,comdat
	.globl	_ZL23rocblas_trmm_lTx_kernelILi16ELb0E19rocblas_complex_numIfEPKS1_S2_S1_Ev13rocblas_fill_17rocblas_diagonal_iiT2_lPT3_llS8_llPT4_lli ; -- Begin function _ZL23rocblas_trmm_lTx_kernelILi16ELb0E19rocblas_complex_numIfEPKS1_S2_S1_Ev13rocblas_fill_17rocblas_diagonal_iiT2_lPT3_llS8_llPT4_lli
	.p2align	8
	.type	_ZL23rocblas_trmm_lTx_kernelILi16ELb0E19rocblas_complex_numIfEPKS1_S2_S1_Ev13rocblas_fill_17rocblas_diagonal_iiT2_lPT3_llS8_llPT4_lli,@function
_ZL23rocblas_trmm_lTx_kernelILi16ELb0E19rocblas_complex_numIfEPKS1_S2_S1_Ev13rocblas_fill_17rocblas_diagonal_iiT2_lPT3_llS8_llPT4_lli: ; @_ZL23rocblas_trmm_lTx_kernelILi16ELb0E19rocblas_complex_numIfEPKS1_S2_S1_Ev13rocblas_fill_17rocblas_diagonal_iiT2_lPT3_llS8_llPT4_lli
; %bb.0:
	s_load_b32 s3, s[0:1], 0x68
	s_lshr_b32 s28, ttmp7, 16
	s_wait_kmcnt 0x0
	s_cmp_ge_u32 s28, s3
	s_cbranch_scc1 .LBB98_19
; %bb.1:
	s_clause 0x1
	s_load_b128 s[20:23], s[0:1], 0x0
	s_load_b512 s[4:19], s[0:1], 0x10
	v_bfe_u32 v13, v0, 10, 10
	v_dual_mov_b32 v1, 0 :: v_dual_and_b32 v14, 0x3ff, v0
	s_clause 0x1
	s_load_b128 s[24:27], s[0:1], 0x50
	s_load_b64 s[30:31], s[0:1], 0x60
	s_mov_b32 s29, 0
	v_lshlrev_b32_e32 v16, 7, v14
	s_wait_kmcnt 0x0
	s_add_co_i32 s1, s23, -1
	v_mad_co_u64_u32 v[2:3], null, s10, v13, 0
	v_mad_co_u64_u32 v[7:8], null, s16, v13, 0
	v_lshlrev_b32_e32 v0, 4, v13
	v_lshlrev_b32_e32 v15, 3, v13
	s_ashr_i32 s0, s1, 31
	v_mad_co_u64_u32 v[11:12], null, s26, v13, 0
	s_delay_alu instid0(VALU_DEP_3) | instskip(SKIP_4) | instid1(VALU_DEP_2)
	v_add_lshl_u32 v4, v0, v14, 3
	v_dual_mov_b32 v0, v3 :: v_dual_mov_b32 v3, v8
	s_lshr_b32 s2, s0, 28
	v_cmp_gt_i32_e32 vcc_lo, s22, v13
	s_add_co_i32 s1, s1, s2
	v_mad_co_u64_u32 v[8:9], null, s11, v13, v[0:1]
	v_add_nc_u32_e32 v6, 0x800, v4
	v_mad_co_u64_u32 v[9:10], null, s17, v13, v[3:4]
	s_ashr_i32 s2, s1, 4
	s_and_b32 s1, s1, -16
	v_cmp_gt_i32_e64 s0, s22, v14
	v_mov_b32_e32 v3, v8
	s_sub_co_i32 s1, s23, s1
	s_cmp_ge_i32 ttmp9, s2
	v_dual_mov_b32 v0, v12 :: v_dual_lshlrev_b32 v5, 3, v14
	s_delay_alu instid0(VALU_DEP_2)
	v_lshlrev_b64_e32 v[2:3], 3, v[2:3]
	s_cselect_b32 s1, s1, 16
	s_and_b32 s10, vcc_lo, s0
	v_cmp_gt_i32_e32 vcc_lo, s1, v13
	v_mov_b32_e32 v8, v9
	s_lshl_b32 s22, ttmp9, 4
	v_add_co_u32 v9, s1, s8, v2
	s_wait_alu 0xf1ff
	v_add_co_ci_u32_e64 v10, null, s9, v3, s1
	s_wait_alu 0xfffe
	s_ashr_i32 s23, s22, 31
	v_lshlrev_b64_e32 v[2:3], 3, v[7:8]
	v_add_co_u32 v7, s1, v9, v5
	s_wait_alu 0xfffe
	s_mul_u64 s[16:17], s[16:17], s[22:23]
	v_add_co_ci_u32_e64 v8, null, 0, v10, s1
	v_mad_co_u64_u32 v[9:10], null, s27, v13, v[0:1]
	s_wait_alu 0xfffe
	s_lshl_b64 s[16:17], s[16:17], 3
	s_and_b32 s8, s0, vcc_lo
	s_wait_alu 0xfffe
	s_add_nc_u64 s[14:15], s[14:15], s[16:17]
	s_mul_u64 s[22:23], s[26:27], s[22:23]
	v_add_co_u32 v0, vcc_lo, s14, v2
	s_delay_alu instid0(VALU_DEP_1) | instskip(SKIP_1) | instid1(VALU_DEP_3)
	v_add_co_ci_u32_e64 v2, null, s15, v3, vcc_lo
	v_mov_b32_e32 v12, v9
	v_add_co_u32 v9, s0, v0, v5
	s_wait_alu 0xf1ff
	s_delay_alu instid0(VALU_DEP_3) | instskip(NEXT) | instid1(VALU_DEP_3)
	v_add_co_ci_u32_e64 v10, null, 0, v2, s0
	v_lshlrev_b64_e32 v[2:3], 3, v[11:12]
	s_wait_alu 0xfffe
	s_lshl_b64 s[22:23], s[22:23], 3
	v_cmp_eq_u32_e32 vcc_lo, v13, v14
	s_cmp_eq_u32 s21, 0x84
	s_wait_alu 0xfffe
	s_add_nc_u64 s[16:17], s[24:25], s[22:23]
	s_cselect_b32 s0, -1, 0
	v_cmp_gt_u32_e64 s1, v14, v13
	s_wait_alu 0xfffe
	s_and_b32 s9, vcc_lo, s0
	v_add_co_u32 v0, vcc_lo, s16, v2
	s_wait_alu 0xfffd
	v_add_co_ci_u32_e64 v2, null, s17, v3, vcc_lo
	v_cmp_lt_u32_e64 s0, v14, v13
	s_delay_alu instid0(VALU_DEP_3)
	v_add_co_u32 v12, vcc_lo, v0, v5
	v_lshl_add_u32 v11, v13, 7, 0x800
	s_wait_alu 0xfffd
	v_add_co_ci_u32_e64 v13, null, 0, v2, vcc_lo
	v_add_nc_u32_e32 v14, v15, v16
	v_mov_b32_e32 v0, 1.0
	s_cmp_lg_u32 s20, 0x7a
	s_cselect_b32 s11, -1, 0
	s_branch .LBB98_4
.LBB98_2:                               ;   in Loop: Header=BB98_4 Depth=1
	s_or_b32 exec_lo, exec_lo, s2
.LBB98_3:                               ;   in Loop: Header=BB98_4 Depth=1
	s_add_co_i32 s28, s28, 0x10000
	s_delay_alu instid0(SALU_CYCLE_1)
	s_cmp_lt_u32 s28, s3
	s_cbranch_scc0 .LBB98_19
.LBB98_4:                               ; =>This Inner Loop Header: Depth=1
	s_mul_u64 s[14:15], s[6:7], s[28:29]
	s_wait_alu 0xfffe
	s_lshl_b64 s[14:15], s[14:15], 3
	s_wait_alu 0xfffe
	s_add_nc_u64 s[14:15], s[4:5], s[14:15]
	global_load_b64 v[2:3], v1, s[14:15]
	s_wait_loadcnt 0x0
	v_cmp_neq_f32_e32 vcc_lo, 0, v2
	v_cmp_neq_f32_e64 s2, 0, v3
	s_or_b32 s2, vcc_lo, s2
	s_delay_alu instid0(SALU_CYCLE_1)
	s_and_not1_b32 vcc_lo, exec_lo, s2
	s_wait_alu 0xfffe
	s_cbranch_vccnz .LBB98_3
; %bb.5:                                ;   in Loop: Header=BB98_4 Depth=1
	s_mov_b32 s14, s29
	s_mov_b32 s15, s29
	s_wait_alu 0xfffe
	v_dual_mov_b32 v16, s15 :: v_dual_mov_b32 v15, s14
	ds_store_b64 v4, v[15:16]
	ds_store_b64 v6, v[15:16]
	s_wait_dscnt 0x0
	s_barrier_signal -1
	s_barrier_wait -1
	global_inv scope:SCOPE_SE
	s_and_saveexec_b32 s2, s10
	s_cbranch_execnz .LBB98_11
; %bb.6:                                ;   in Loop: Header=BB98_4 Depth=1
	s_or_b32 exec_lo, exec_lo, s2
	s_and_saveexec_b32 s2, s8
	s_cbranch_execnz .LBB98_12
.LBB98_7:                               ;   in Loop: Header=BB98_4 Depth=1
	s_or_b32 exec_lo, exec_lo, s2
	s_and_saveexec_b32 s2, s9
.LBB98_8:                               ;   in Loop: Header=BB98_4 Depth=1
	ds_store_b64 v4, v[0:1]
.LBB98_9:                               ;   in Loop: Header=BB98_4 Depth=1
	s_or_b32 exec_lo, exec_lo, s2
	s_delay_alu instid0(SALU_CYCLE_1)
	s_and_b32 vcc_lo, exec_lo, s11
	s_wait_loadcnt_dscnt 0x0
	s_barrier_signal -1
	s_barrier_wait -1
	global_inv scope:SCOPE_SE
	s_wait_alu 0xfffe
	s_cbranch_vccz .LBB98_13
; %bb.10:                               ;   in Loop: Header=BB98_4 Depth=1
	s_and_b32 s2, s0, exec_lo
	s_cbranch_execz .LBB98_14
	s_branch .LBB98_15
.LBB98_11:                              ;   in Loop: Header=BB98_4 Depth=1
	s_mul_u64 s[14:15], s[12:13], s[28:29]
	s_wait_alu 0xfffe
	s_lshl_b64 s[14:15], s[14:15], 3
	s_wait_alu 0xfffe
	v_add_co_u32 v15, vcc_lo, v7, s14
	s_wait_alu 0xfffd
	v_add_co_ci_u32_e64 v16, null, s15, v8, vcc_lo
	global_load_b64 v[15:16], v[15:16], off
	s_wait_loadcnt 0x0
	ds_store_b64 v14, v[15:16]
	s_or_b32 exec_lo, exec_lo, s2
	s_and_saveexec_b32 s2, s8
	s_cbranch_execz .LBB98_7
.LBB98_12:                              ;   in Loop: Header=BB98_4 Depth=1
	s_mul_u64 s[14:15], s[18:19], s[28:29]
	s_wait_alu 0xfffe
	s_lshl_b64 s[14:15], s[14:15], 3
	s_wait_alu 0xfffe
	v_add_co_u32 v15, vcc_lo, v9, s14
	s_wait_alu 0xfffd
	v_add_co_ci_u32_e64 v16, null, s15, v10, vcc_lo
	global_load_b64 v[15:16], v[15:16], off
	s_wait_loadcnt 0x0
	ds_store_b64 v6, v[15:16]
	s_or_b32 exec_lo, exec_lo, s2
	s_and_saveexec_b32 s2, s9
	s_cbranch_execnz .LBB98_8
	s_branch .LBB98_9
.LBB98_13:                              ;   in Loop: Header=BB98_4 Depth=1
	s_mov_b32 s2, 0
.LBB98_14:                              ;   in Loop: Header=BB98_4 Depth=1
	s_delay_alu instid0(SALU_CYCLE_1)
	s_and_not1_b32 s2, s2, exec_lo
	s_and_b32 s14, s1, exec_lo
	s_wait_alu 0xfffe
	s_or_b32 s2, s2, s14
.LBB98_15:                              ;   in Loop: Header=BB98_4 Depth=1
	s_delay_alu instid0(SALU_CYCLE_1)
	s_and_saveexec_b32 s14, s2
; %bb.16:                               ;   in Loop: Header=BB98_4 Depth=1
	v_dual_mov_b32 v15, v1 :: v_dual_mov_b32 v16, v1
	ds_store_b64 v4, v[15:16]
; %bb.17:                               ;   in Loop: Header=BB98_4 Depth=1
	s_wait_alu 0xfffe
	s_or_b32 exec_lo, exec_lo, s14
	s_wait_loadcnt_dscnt 0x0
	s_barrier_signal -1
	s_barrier_wait -1
	global_inv scope:SCOPE_SE
	s_and_saveexec_b32 s2, s8
	s_cbranch_execz .LBB98_2
; %bb.18:                               ;   in Loop: Header=BB98_4 Depth=1
	ds_load_2addr_b64 v[15:18], v5 offset1:16
	ds_load_b128 v[19:22], v11
	ds_load_b128 v[23:26], v11 offset:16
	ds_load_2addr_b64 v[27:30], v5 offset0:32 offset1:48
	ds_load_2addr_b64 v[31:34], v5 offset0:64 offset1:80
	ds_load_b128 v[35:38], v11 offset:32
	ds_load_b128 v[39:42], v11 offset:48
	ds_load_2addr_b64 v[43:46], v5 offset0:96 offset1:112
	ds_load_2addr_b64 v[47:50], v5 offset0:128 offset1:144
	ds_load_b128 v[51:54], v11 offset:64
	;; [unrolled: 4-line block ×3, first 2 shown]
	ds_load_b128 v[71:74], v11 offset:112
	ds_load_2addr_b64 v[75:78], v5 offset0:224 offset1:240
	s_mul_u64 s[14:15], s[30:31], s[28:29]
	s_wait_alu 0xfffe
	s_lshl_b64 s[14:15], s[14:15], 3
	s_wait_dscnt 0xe
	v_dual_mul_f32 v79, v19, v16 :: v_dual_mul_f32 v80, v21, v18
	v_mul_f32_e32 v16, v20, v16
	s_wait_dscnt 0xc
	v_dual_mul_f32 v81, v23, v28 :: v_dual_mul_f32 v82, v25, v30
	s_delay_alu instid0(VALU_DEP_3) | instskip(NEXT) | instid1(VALU_DEP_2)
	v_dual_fmac_f32 v79, v20, v15 :: v_dual_fmac_f32 v80, v22, v17
	v_dual_mul_f32 v18, v22, v18 :: v_dual_fmac_f32 v81, v24, v27
	s_wait_dscnt 0xa
	v_dual_mul_f32 v83, v35, v32 :: v_dual_mul_f32 v84, v37, v34
	s_wait_dscnt 0x4
	v_dual_mul_f32 v89, v55, v60 :: v_dual_add_f32 v20, 0, v79
	v_mul_f32_e32 v79, v57, v62
	v_fma_f32 v15, v19, v15, -v16
	v_dual_mul_f32 v19, v24, v28 :: v_dual_fmac_f32 v82, v26, v29
	s_delay_alu instid0(VALU_DEP_4) | instskip(SKIP_1) | instid1(VALU_DEP_4)
	v_add_f32_e32 v16, v20, v80
	v_fma_f32 v17, v21, v17, -v18
	v_dual_add_f32 v15, 0, v15 :: v_dual_mul_f32 v18, v26, v30
	s_delay_alu instid0(VALU_DEP_4) | instskip(SKIP_1) | instid1(VALU_DEP_3)
	v_fma_f32 v19, v23, v27, -v19
	v_dual_mul_f32 v85, v39, v44 :: v_dual_mul_f32 v86, v41, v46
	v_add_f32_e32 v15, v15, v17
	v_add_f32_e32 v16, v16, v81
	v_mul_f32_e32 v17, v36, v32
	v_fma_f32 v18, v25, v29, -v18
	v_dual_fmac_f32 v83, v36, v31 :: v_dual_fmac_f32 v84, v38, v33
	v_dual_add_f32 v15, v15, v19 :: v_dual_fmac_f32 v86, v42, v45
	s_delay_alu instid0(VALU_DEP_4) | instskip(SKIP_1) | instid1(VALU_DEP_3)
	v_fma_f32 v17, v35, v31, -v17
	v_dual_mul_f32 v87, v51, v48 :: v_dual_mul_f32 v88, v53, v50
	v_add_f32_e32 v15, v15, v18
	v_add_f32_e32 v16, v16, v82
	v_mul_f32_e32 v19, v38, v34
	s_delay_alu instid0(VALU_DEP_4) | instskip(NEXT) | instid1(VALU_DEP_3)
	v_dual_fmac_f32 v85, v40, v43 :: v_dual_fmac_f32 v88, v54, v49
	v_dual_add_f32 v15, v15, v17 :: v_dual_add_f32 v16, v16, v83
	v_dual_mul_f32 v18, v40, v44 :: v_dual_mul_f32 v17, v42, v46
	s_delay_alu instid0(VALU_DEP_4) | instskip(SKIP_1) | instid1(VALU_DEP_4)
	v_fma_f32 v19, v37, v33, -v19
	v_fmac_f32_e32 v87, v52, v47
	v_add_f32_e32 v16, v16, v84
	s_delay_alu instid0(VALU_DEP_4)
	v_fma_f32 v18, v39, v43, -v18
	v_fma_f32 v17, v41, v45, -v17
	v_add_f32_e32 v15, v15, v19
	v_mul_f32_e32 v19, v52, v48
	v_add_f32_e32 v16, v16, v85
	s_wait_dscnt 0x2
	v_dual_fmac_f32 v89, v56, v59 :: v_dual_mul_f32 v20, v69, v66
	v_add_f32_e32 v15, v15, v18
	v_mul_f32_e32 v18, v54, v50
	v_add_f32_e32 v16, v16, v86
	v_fma_f32 v19, v51, v47, -v19
	v_fmac_f32_e32 v79, v58, v61
	v_add_f32_e32 v15, v15, v17
	v_dual_mul_f32 v17, v56, v60 :: v_dual_fmac_f32 v20, v70, v65
	v_add_f32_e32 v16, v16, v87
	v_fma_f32 v18, v53, v49, -v18
	s_delay_alu instid0(VALU_DEP_4) | instskip(SKIP_3) | instid1(VALU_DEP_3)
	v_add_f32_e32 v15, v15, v19
	v_mul_f32_e32 v19, v67, v64
	v_fma_f32 v17, v55, v59, -v17
	v_add_f32_e32 v16, v16, v88
	v_fmac_f32_e32 v19, v68, v63
	s_delay_alu instid0(VALU_DEP_2) | instskip(NEXT) | instid1(VALU_DEP_1)
	v_dual_add_f32 v16, v16, v89 :: v_dual_add_f32 v15, v15, v18
	v_dual_mul_f32 v18, v58, v62 :: v_dual_add_f32 v15, v15, v17
	s_delay_alu instid0(VALU_DEP_1) | instskip(SKIP_1) | instid1(VALU_DEP_2)
	v_fma_f32 v17, v57, v61, -v18
	v_mul_f32_e32 v18, v68, v64
	v_dual_add_f32 v16, v16, v79 :: v_dual_add_f32 v15, v15, v17
	s_delay_alu instid0(VALU_DEP_2) | instskip(SKIP_2) | instid1(VALU_DEP_3)
	v_fma_f32 v17, v67, v63, -v18
	v_mul_f32_e32 v18, v70, v66
	s_wait_dscnt 0x0
	v_dual_add_f32 v16, v16, v19 :: v_dual_mul_f32 v19, v71, v76
	s_delay_alu instid0(VALU_DEP_1) | instskip(NEXT) | instid1(VALU_DEP_3)
	v_dual_add_f32 v16, v16, v20 :: v_dual_add_f32 v15, v15, v17
	v_fma_f32 v17, v69, v65, -v18
	v_mul_f32_e32 v18, v72, v76
	s_delay_alu instid0(VALU_DEP_4) | instskip(NEXT) | instid1(VALU_DEP_1)
	v_dual_mul_f32 v20, v73, v78 :: v_dual_fmac_f32 v19, v72, v75
	v_fmac_f32_e32 v20, v74, v77
	s_delay_alu instid0(VALU_DEP_4) | instskip(NEXT) | instid1(VALU_DEP_4)
	v_add_f32_e32 v15, v15, v17
	v_fma_f32 v17, v71, v75, -v18
	v_mul_f32_e32 v18, v74, v78
	s_delay_alu instid0(VALU_DEP_2) | instskip(NEXT) | instid1(VALU_DEP_2)
	v_dual_add_f32 v16, v16, v19 :: v_dual_add_f32 v15, v15, v17
	v_fma_f32 v17, v73, v77, -v18
	s_delay_alu instid0(VALU_DEP_1) | instskip(NEXT) | instid1(VALU_DEP_1)
	v_dual_add_f32 v18, v16, v20 :: v_dual_add_f32 v15, v15, v17
	v_mul_f32_e32 v16, v2, v18
	v_mul_f32_e32 v17, v3, v18
	s_delay_alu instid0(VALU_DEP_2) | instskip(NEXT) | instid1(VALU_DEP_2)
	v_fmac_f32_e32 v16, v3, v15
	v_fma_f32 v15, v2, v15, -v17
	s_wait_alu 0xfffe
	v_add_co_u32 v2, vcc_lo, v12, s14
	s_wait_alu 0xfffd
	v_add_co_ci_u32_e64 v3, null, s15, v13, vcc_lo
	global_store_b64 v[2:3], v[15:16], off
	s_branch .LBB98_2
.LBB98_19:
	s_endpgm
	.section	.rodata,"a",@progbits
	.p2align	6, 0x0
	.amdhsa_kernel _ZL23rocblas_trmm_lTx_kernelILi16ELb0E19rocblas_complex_numIfEPKS1_S2_S1_Ev13rocblas_fill_17rocblas_diagonal_iiT2_lPT3_llS8_llPT4_lli
		.amdhsa_group_segment_fixed_size 4096
		.amdhsa_private_segment_fixed_size 0
		.amdhsa_kernarg_size 108
		.amdhsa_user_sgpr_count 2
		.amdhsa_user_sgpr_dispatch_ptr 0
		.amdhsa_user_sgpr_queue_ptr 0
		.amdhsa_user_sgpr_kernarg_segment_ptr 1
		.amdhsa_user_sgpr_dispatch_id 0
		.amdhsa_user_sgpr_private_segment_size 0
		.amdhsa_wavefront_size32 1
		.amdhsa_uses_dynamic_stack 0
		.amdhsa_enable_private_segment 0
		.amdhsa_system_sgpr_workgroup_id_x 1
		.amdhsa_system_sgpr_workgroup_id_y 0
		.amdhsa_system_sgpr_workgroup_id_z 1
		.amdhsa_system_sgpr_workgroup_info 0
		.amdhsa_system_vgpr_workitem_id 1
		.amdhsa_next_free_vgpr 90
		.amdhsa_next_free_sgpr 32
		.amdhsa_reserve_vcc 1
		.amdhsa_float_round_mode_32 0
		.amdhsa_float_round_mode_16_64 0
		.amdhsa_float_denorm_mode_32 3
		.amdhsa_float_denorm_mode_16_64 3
		.amdhsa_fp16_overflow 0
		.amdhsa_workgroup_processor_mode 1
		.amdhsa_memory_ordered 1
		.amdhsa_forward_progress 1
		.amdhsa_inst_pref_size 14
		.amdhsa_round_robin_scheduling 0
		.amdhsa_exception_fp_ieee_invalid_op 0
		.amdhsa_exception_fp_denorm_src 0
		.amdhsa_exception_fp_ieee_div_zero 0
		.amdhsa_exception_fp_ieee_overflow 0
		.amdhsa_exception_fp_ieee_underflow 0
		.amdhsa_exception_fp_ieee_inexact 0
		.amdhsa_exception_int_div_zero 0
	.end_amdhsa_kernel
	.section	.text._ZL23rocblas_trmm_lTx_kernelILi16ELb0E19rocblas_complex_numIfEPKS1_S2_S1_Ev13rocblas_fill_17rocblas_diagonal_iiT2_lPT3_llS8_llPT4_lli,"axG",@progbits,_ZL23rocblas_trmm_lTx_kernelILi16ELb0E19rocblas_complex_numIfEPKS1_S2_S1_Ev13rocblas_fill_17rocblas_diagonal_iiT2_lPT3_llS8_llPT4_lli,comdat
.Lfunc_end98:
	.size	_ZL23rocblas_trmm_lTx_kernelILi16ELb0E19rocblas_complex_numIfEPKS1_S2_S1_Ev13rocblas_fill_17rocblas_diagonal_iiT2_lPT3_llS8_llPT4_lli, .Lfunc_end98-_ZL23rocblas_trmm_lTx_kernelILi16ELb0E19rocblas_complex_numIfEPKS1_S2_S1_Ev13rocblas_fill_17rocblas_diagonal_iiT2_lPT3_llS8_llPT4_lli
                                        ; -- End function
	.set _ZL23rocblas_trmm_lTx_kernelILi16ELb0E19rocblas_complex_numIfEPKS1_S2_S1_Ev13rocblas_fill_17rocblas_diagonal_iiT2_lPT3_llS8_llPT4_lli.num_vgpr, 90
	.set _ZL23rocblas_trmm_lTx_kernelILi16ELb0E19rocblas_complex_numIfEPKS1_S2_S1_Ev13rocblas_fill_17rocblas_diagonal_iiT2_lPT3_llS8_llPT4_lli.num_agpr, 0
	.set _ZL23rocblas_trmm_lTx_kernelILi16ELb0E19rocblas_complex_numIfEPKS1_S2_S1_Ev13rocblas_fill_17rocblas_diagonal_iiT2_lPT3_llS8_llPT4_lli.numbered_sgpr, 32
	.set _ZL23rocblas_trmm_lTx_kernelILi16ELb0E19rocblas_complex_numIfEPKS1_S2_S1_Ev13rocblas_fill_17rocblas_diagonal_iiT2_lPT3_llS8_llPT4_lli.num_named_barrier, 0
	.set _ZL23rocblas_trmm_lTx_kernelILi16ELb0E19rocblas_complex_numIfEPKS1_S2_S1_Ev13rocblas_fill_17rocblas_diagonal_iiT2_lPT3_llS8_llPT4_lli.private_seg_size, 0
	.set _ZL23rocblas_trmm_lTx_kernelILi16ELb0E19rocblas_complex_numIfEPKS1_S2_S1_Ev13rocblas_fill_17rocblas_diagonal_iiT2_lPT3_llS8_llPT4_lli.uses_vcc, 1
	.set _ZL23rocblas_trmm_lTx_kernelILi16ELb0E19rocblas_complex_numIfEPKS1_S2_S1_Ev13rocblas_fill_17rocblas_diagonal_iiT2_lPT3_llS8_llPT4_lli.uses_flat_scratch, 0
	.set _ZL23rocblas_trmm_lTx_kernelILi16ELb0E19rocblas_complex_numIfEPKS1_S2_S1_Ev13rocblas_fill_17rocblas_diagonal_iiT2_lPT3_llS8_llPT4_lli.has_dyn_sized_stack, 0
	.set _ZL23rocblas_trmm_lTx_kernelILi16ELb0E19rocblas_complex_numIfEPKS1_S2_S1_Ev13rocblas_fill_17rocblas_diagonal_iiT2_lPT3_llS8_llPT4_lli.has_recursion, 0
	.set _ZL23rocblas_trmm_lTx_kernelILi16ELb0E19rocblas_complex_numIfEPKS1_S2_S1_Ev13rocblas_fill_17rocblas_diagonal_iiT2_lPT3_llS8_llPT4_lli.has_indirect_call, 0
	.section	.AMDGPU.csdata,"",@progbits
; Kernel info:
; codeLenInByte = 1756
; TotalNumSgprs: 34
; NumVgprs: 90
; ScratchSize: 0
; MemoryBound: 0
; FloatMode: 240
; IeeeMode: 1
; LDSByteSize: 4096 bytes/workgroup (compile time only)
; SGPRBlocks: 0
; VGPRBlocks: 11
; NumSGPRsForWavesPerEU: 34
; NumVGPRsForWavesPerEU: 90
; Occupancy: 16
; WaveLimiterHint : 0
; COMPUTE_PGM_RSRC2:SCRATCH_EN: 0
; COMPUTE_PGM_RSRC2:USER_SGPR: 2
; COMPUTE_PGM_RSRC2:TRAP_HANDLER: 0
; COMPUTE_PGM_RSRC2:TGID_X_EN: 1
; COMPUTE_PGM_RSRC2:TGID_Y_EN: 0
; COMPUTE_PGM_RSRC2:TGID_Z_EN: 1
; COMPUTE_PGM_RSRC2:TIDIG_COMP_CNT: 1
	.section	.text._ZL23rocblas_trmm_lTx_kernelILi16ELb0E19rocblas_complex_numIfES1_KS1_S1_Ev13rocblas_fill_17rocblas_diagonal_iiT2_lPT3_llS7_llPT4_lli,"axG",@progbits,_ZL23rocblas_trmm_lTx_kernelILi16ELb0E19rocblas_complex_numIfES1_KS1_S1_Ev13rocblas_fill_17rocblas_diagonal_iiT2_lPT3_llS7_llPT4_lli,comdat
	.globl	_ZL23rocblas_trmm_lTx_kernelILi16ELb0E19rocblas_complex_numIfES1_KS1_S1_Ev13rocblas_fill_17rocblas_diagonal_iiT2_lPT3_llS7_llPT4_lli ; -- Begin function _ZL23rocblas_trmm_lTx_kernelILi16ELb0E19rocblas_complex_numIfES1_KS1_S1_Ev13rocblas_fill_17rocblas_diagonal_iiT2_lPT3_llS7_llPT4_lli
	.p2align	8
	.type	_ZL23rocblas_trmm_lTx_kernelILi16ELb0E19rocblas_complex_numIfES1_KS1_S1_Ev13rocblas_fill_17rocblas_diagonal_iiT2_lPT3_llS7_llPT4_lli,@function
_ZL23rocblas_trmm_lTx_kernelILi16ELb0E19rocblas_complex_numIfES1_KS1_S1_Ev13rocblas_fill_17rocblas_diagonal_iiT2_lPT3_llS7_llPT4_lli: ; @_ZL23rocblas_trmm_lTx_kernelILi16ELb0E19rocblas_complex_numIfES1_KS1_S1_Ev13rocblas_fill_17rocblas_diagonal_iiT2_lPT3_llS7_llPT4_lli
; %bb.0:
	s_load_b32 s28, s[0:1], 0x68
	s_lshr_b32 s2, ttmp7, 16
	s_wait_kmcnt 0x0
	s_cmp_ge_u32 s2, s28
	s_cbranch_scc1 .LBB99_19
; %bb.1:
	s_clause 0x2
	s_load_b64 s[24:25], s[0:1], 0x10
	s_load_b128 s[20:23], s[0:1], 0x0
	s_load_b512 s[4:19], s[0:1], 0x20
	v_bfe_u32 v13, v0, 10, 10
	v_and_b32_e32 v14, 0x3ff, v0
	s_load_b64 s[26:27], s[0:1], 0x60
	s_delay_alu instid0(VALU_DEP_2) | instskip(NEXT) | instid1(VALU_DEP_1)
	v_lshlrev_b32_e32 v0, 4, v13
	v_add_lshl_u32 v2, v0, v14, 3
	s_wait_kmcnt 0x0
	s_cmp_neq_f32 s24, 0
	v_cmp_gt_i32_e32 vcc_lo, s22, v13
	v_mad_co_u64_u32 v[0:1], null, s6, v13, 0
	s_cselect_b32 s1, -1, 0
	s_cmp_neq_f32 s25, 0
	v_mad_co_u64_u32 v[7:8], null, s12, v13, 0
	v_mad_co_u64_u32 v[9:10], null, s18, v13, 0
	;; [unrolled: 1-line block ×3, first 2 shown]
	s_cselect_b32 s3, -1, 0
	v_dual_mov_b32 v4, v8 :: v_dual_lshlrev_b32 v15, 3, v13
	v_add_nc_u32_e32 v3, 0x800, v2
	v_mov_b32_e32 v1, v5
	v_cmp_gt_i32_e64 s0, s22, v14
	s_add_co_i32 s22, s23, -1
	v_mad_co_u64_u32 v[11:12], null, s13, v13, v[4:5]
	s_wait_alu 0xfffe
	s_ashr_i32 s6, s22, 31
	v_lshlrev_b64_e32 v[0:1], 3, v[0:1]
	s_wait_alu 0xfffe
	s_lshr_b32 s29, s6, 28
	s_or_b32 s6, s1, s3
	s_add_co_i32 s22, s22, s29
	v_lshlrev_b32_e32 v4, 3, v14
	s_wait_alu 0xfffe
	s_and_b32 s1, s22, -16
	s_ashr_i32 s3, s22, 4
	s_sub_co_i32 s1, s23, s1
	s_cmp_ge_i32 ttmp9, s3
	v_mov_b32_e32 v8, v11
	s_cselect_b32 s1, s1, 16
	s_and_b32 s7, vcc_lo, s0
	v_add_co_u32 v5, vcc_lo, s4, v0
	v_mov_b32_e32 v0, v10
	v_add_co_ci_u32_e64 v6, null, s5, v1, vcc_lo
	s_lshl_b32 s22, ttmp9, 4
	v_lshlrev_b64_e32 v[7:8], 3, v[7:8]
	v_mad_co_u64_u32 v[0:1], null, s19, v13, v[0:1]
	s_wait_alu 0xfffe
	s_ashr_i32 s23, s22, 31
	v_cmp_gt_i32_e32 vcc_lo, s1, v13
	s_wait_alu 0xfffe
	s_mul_u64 s[12:13], s[12:13], s[22:23]
	s_mul_u64 s[22:23], s[18:19], s[22:23]
	s_wait_alu 0xfffe
	s_lshl_b64 s[12:13], s[12:13], 3
	s_lshl_b64 s[22:23], s[22:23], 3
	v_mov_b32_e32 v10, v0
	s_wait_alu 0xfffe
	s_add_nc_u64 s[10:11], s[10:11], s[12:13]
	s_and_b32 s4, s0, vcc_lo
	v_add_co_u32 v7, vcc_lo, s10, v7
	v_lshlrev_b64_e32 v[0:1], 3, v[9:10]
	s_wait_alu 0xfffd
	v_add_co_ci_u32_e64 v8, null, s11, v8, vcc_lo
	v_cmp_eq_u32_e32 vcc_lo, v13, v14
	v_add_co_u32 v5, s1, v5, v4
	s_cmp_eq_u32 s21, 0x84
	s_add_nc_u64 s[12:13], s[16:17], s[22:23]
	v_add_co_ci_u32_e64 v6, null, 0, v6, s1
	s_cselect_b32 s1, -1, 0
	v_lshlrev_b32_e32 v12, 7, v14
	s_wait_alu 0xfffe
	s_and_b32 s5, vcc_lo, s1
	v_add_co_u32 v0, vcc_lo, s12, v0
	s_wait_alu 0xfffd
	v_add_co_ci_u32_e64 v1, null, s13, v1, vcc_lo
	v_add_co_u32 v7, s0, v7, v4
	s_delay_alu instid0(VALU_DEP_3)
	v_add_co_u32 v10, vcc_lo, v0, v4
	s_wait_alu 0xf1ff
	v_add_co_ci_u32_e64 v8, null, 0, v8, s0
	v_cmp_lt_u32_e64 s0, v14, v13
	v_cmp_gt_u32_e64 s1, v14, v13
	v_lshl_add_u32 v9, v13, 7, 0x800
	s_wait_alu 0xfffd
	v_add_co_ci_u32_e64 v11, null, 0, v1, vcc_lo
	v_add_nc_u32_e32 v12, v15, v12
	v_dual_mov_b32 v0, 1.0 :: v_dual_mov_b32 v1, 0
	s_cmp_lg_u32 s20, 0x7a
	s_mov_b32 s3, 0
	s_cselect_b32 s10, -1, 0
	s_branch .LBB99_4
.LBB99_2:                               ;   in Loop: Header=BB99_4 Depth=1
	s_wait_alu 0xfffe
	s_or_b32 exec_lo, exec_lo, s11
.LBB99_3:                               ;   in Loop: Header=BB99_4 Depth=1
	s_add_co_i32 s2, s2, 0x10000
	s_delay_alu instid0(SALU_CYCLE_1)
	s_cmp_lt_u32 s2, s28
	s_cbranch_scc0 .LBB99_19
.LBB99_4:                               ; =>This Inner Loop Header: Depth=1
	s_and_not1_b32 vcc_lo, exec_lo, s6
	s_wait_alu 0xfffe
	s_cbranch_vccnz .LBB99_3
; %bb.5:                                ;   in Loop: Header=BB99_4 Depth=1
	s_mov_b32 s12, s3
	s_mov_b32 s13, s3
	s_wait_alu 0xfffe
	v_dual_mov_b32 v14, s13 :: v_dual_mov_b32 v13, s12
	ds_store_b64 v2, v[13:14]
	ds_store_b64 v3, v[13:14]
	s_wait_dscnt 0x0
	s_barrier_signal -1
	s_barrier_wait -1
	global_inv scope:SCOPE_SE
	s_and_saveexec_b32 s11, s7
	s_cbranch_execnz .LBB99_11
; %bb.6:                                ;   in Loop: Header=BB99_4 Depth=1
	s_wait_alu 0xfffe
	s_or_b32 exec_lo, exec_lo, s11
	s_and_saveexec_b32 s11, s4
	s_cbranch_execnz .LBB99_12
.LBB99_7:                               ;   in Loop: Header=BB99_4 Depth=1
	s_wait_alu 0xfffe
	s_or_b32 exec_lo, exec_lo, s11
	s_and_saveexec_b32 s11, s5
.LBB99_8:                               ;   in Loop: Header=BB99_4 Depth=1
	ds_store_b64 v2, v[0:1]
.LBB99_9:                               ;   in Loop: Header=BB99_4 Depth=1
	s_wait_alu 0xfffe
	s_or_b32 exec_lo, exec_lo, s11
	s_delay_alu instid0(SALU_CYCLE_1)
	s_and_b32 vcc_lo, exec_lo, s10
	s_wait_loadcnt_dscnt 0x0
	s_barrier_signal -1
	s_barrier_wait -1
	global_inv scope:SCOPE_SE
	s_wait_alu 0xfffe
	s_cbranch_vccz .LBB99_13
; %bb.10:                               ;   in Loop: Header=BB99_4 Depth=1
	s_and_b32 s11, s0, exec_lo
	s_cbranch_execz .LBB99_14
	s_branch .LBB99_15
.LBB99_11:                              ;   in Loop: Header=BB99_4 Depth=1
	s_mul_u64 s[12:13], s[8:9], s[2:3]
	s_wait_alu 0xfffe
	s_lshl_b64 s[12:13], s[12:13], 3
	s_wait_alu 0xfffe
	v_add_co_u32 v13, vcc_lo, v5, s12
	s_wait_alu 0xfffd
	v_add_co_ci_u32_e64 v14, null, s13, v6, vcc_lo
	global_load_b64 v[13:14], v[13:14], off
	s_wait_loadcnt 0x0
	ds_store_b64 v12, v[13:14]
	s_or_b32 exec_lo, exec_lo, s11
	s_and_saveexec_b32 s11, s4
	s_cbranch_execz .LBB99_7
.LBB99_12:                              ;   in Loop: Header=BB99_4 Depth=1
	s_mul_u64 s[12:13], s[14:15], s[2:3]
	s_wait_alu 0xfffe
	s_lshl_b64 s[12:13], s[12:13], 3
	s_wait_alu 0xfffe
	v_add_co_u32 v13, vcc_lo, v7, s12
	s_wait_alu 0xfffd
	v_add_co_ci_u32_e64 v14, null, s13, v8, vcc_lo
	global_load_b64 v[13:14], v[13:14], off
	s_wait_loadcnt 0x0
	ds_store_b64 v3, v[13:14]
	s_or_b32 exec_lo, exec_lo, s11
	s_and_saveexec_b32 s11, s5
	s_cbranch_execnz .LBB99_8
	s_branch .LBB99_9
.LBB99_13:                              ;   in Loop: Header=BB99_4 Depth=1
	s_mov_b32 s11, 0
.LBB99_14:                              ;   in Loop: Header=BB99_4 Depth=1
	s_wait_alu 0xfffe
	s_and_not1_b32 s11, s11, exec_lo
	s_and_b32 s12, s1, exec_lo
	s_wait_alu 0xfffe
	s_or_b32 s11, s11, s12
.LBB99_15:                              ;   in Loop: Header=BB99_4 Depth=1
	s_wait_alu 0xfffe
	s_and_saveexec_b32 s12, s11
; %bb.16:                               ;   in Loop: Header=BB99_4 Depth=1
	v_dual_mov_b32 v13, v1 :: v_dual_mov_b32 v14, v1
	ds_store_b64 v2, v[13:14]
; %bb.17:                               ;   in Loop: Header=BB99_4 Depth=1
	s_wait_alu 0xfffe
	s_or_b32 exec_lo, exec_lo, s12
	s_wait_loadcnt_dscnt 0x0
	s_barrier_signal -1
	s_barrier_wait -1
	global_inv scope:SCOPE_SE
	s_and_saveexec_b32 s11, s4
	s_cbranch_execz .LBB99_2
; %bb.18:                               ;   in Loop: Header=BB99_4 Depth=1
	ds_load_2addr_b64 v[13:16], v4 offset1:16
	ds_load_b128 v[17:20], v9
	ds_load_b128 v[21:24], v9 offset:16
	ds_load_2addr_b64 v[25:28], v4 offset0:32 offset1:48
	ds_load_2addr_b64 v[29:32], v4 offset0:64 offset1:80
	ds_load_b128 v[33:36], v9 offset:32
	ds_load_b128 v[37:40], v9 offset:48
	ds_load_2addr_b64 v[41:44], v4 offset0:96 offset1:112
	ds_load_2addr_b64 v[45:48], v4 offset0:128 offset1:144
	ds_load_b128 v[49:52], v9 offset:64
	;; [unrolled: 4-line block ×3, first 2 shown]
	ds_load_b128 v[69:72], v9 offset:112
	ds_load_2addr_b64 v[73:76], v4 offset0:224 offset1:240
	s_mul_u64 s[12:13], s[26:27], s[2:3]
	s_wait_alu 0xfffe
	s_lshl_b64 s[12:13], s[12:13], 3
	s_wait_dscnt 0xe
	v_dual_mul_f32 v77, v17, v14 :: v_dual_mul_f32 v78, v19, v16
	v_mul_f32_e32 v14, v18, v14
	s_wait_dscnt 0xc
	v_dual_mul_f32 v79, v21, v26 :: v_dual_mul_f32 v80, v23, v28
	s_delay_alu instid0(VALU_DEP_3) | instskip(NEXT) | instid1(VALU_DEP_2)
	v_dual_fmac_f32 v77, v18, v13 :: v_dual_fmac_f32 v78, v20, v15
	v_dual_mul_f32 v16, v20, v16 :: v_dual_fmac_f32 v79, v22, v25
	s_wait_dscnt 0xa
	v_dual_mul_f32 v81, v33, v30 :: v_dual_mul_f32 v82, v35, v32
	s_wait_dscnt 0x4
	v_dual_mul_f32 v87, v53, v58 :: v_dual_add_f32 v18, 0, v77
	v_mul_f32_e32 v77, v55, v60
	v_fma_f32 v13, v17, v13, -v14
	v_dual_mul_f32 v17, v22, v26 :: v_dual_fmac_f32 v80, v24, v27
	s_delay_alu instid0(VALU_DEP_4) | instskip(SKIP_1) | instid1(VALU_DEP_4)
	v_add_f32_e32 v14, v18, v78
	v_fma_f32 v15, v19, v15, -v16
	v_dual_add_f32 v13, 0, v13 :: v_dual_mul_f32 v16, v24, v28
	s_delay_alu instid0(VALU_DEP_4) | instskip(SKIP_1) | instid1(VALU_DEP_3)
	v_fma_f32 v17, v21, v25, -v17
	v_dual_mul_f32 v83, v37, v42 :: v_dual_mul_f32 v84, v39, v44
	v_add_f32_e32 v13, v13, v15
	v_add_f32_e32 v14, v14, v79
	v_mul_f32_e32 v15, v34, v30
	v_fma_f32 v16, v23, v27, -v16
	v_dual_fmac_f32 v81, v34, v29 :: v_dual_fmac_f32 v82, v36, v31
	v_dual_add_f32 v13, v13, v17 :: v_dual_fmac_f32 v84, v40, v43
	s_delay_alu instid0(VALU_DEP_4) | instskip(SKIP_1) | instid1(VALU_DEP_3)
	v_fma_f32 v15, v33, v29, -v15
	v_dual_mul_f32 v85, v49, v46 :: v_dual_mul_f32 v86, v51, v48
	v_add_f32_e32 v13, v13, v16
	v_add_f32_e32 v14, v14, v80
	v_mul_f32_e32 v17, v36, v32
	s_delay_alu instid0(VALU_DEP_4) | instskip(NEXT) | instid1(VALU_DEP_3)
	v_dual_fmac_f32 v83, v38, v41 :: v_dual_fmac_f32 v86, v52, v47
	v_dual_add_f32 v13, v13, v15 :: v_dual_add_f32 v14, v14, v81
	v_dual_mul_f32 v16, v38, v42 :: v_dual_mul_f32 v15, v40, v44
	s_delay_alu instid0(VALU_DEP_4) | instskip(SKIP_1) | instid1(VALU_DEP_4)
	v_fma_f32 v17, v35, v31, -v17
	v_fmac_f32_e32 v85, v50, v45
	v_add_f32_e32 v14, v14, v82
	s_delay_alu instid0(VALU_DEP_4)
	v_fma_f32 v16, v37, v41, -v16
	v_fma_f32 v15, v39, v43, -v15
	v_add_f32_e32 v13, v13, v17
	v_mul_f32_e32 v17, v50, v46
	v_add_f32_e32 v14, v14, v83
	s_wait_dscnt 0x2
	v_dual_fmac_f32 v87, v54, v57 :: v_dual_mul_f32 v18, v67, v64
	v_add_f32_e32 v13, v13, v16
	v_mul_f32_e32 v16, v52, v48
	v_add_f32_e32 v14, v14, v84
	v_fma_f32 v17, v49, v45, -v17
	v_fmac_f32_e32 v77, v56, v59
	v_add_f32_e32 v13, v13, v15
	v_dual_mul_f32 v15, v54, v58 :: v_dual_fmac_f32 v18, v68, v63
	v_add_f32_e32 v14, v14, v85
	v_fma_f32 v16, v51, v47, -v16
	s_delay_alu instid0(VALU_DEP_4) | instskip(SKIP_3) | instid1(VALU_DEP_3)
	v_add_f32_e32 v13, v13, v17
	v_mul_f32_e32 v17, v65, v62
	v_fma_f32 v15, v53, v57, -v15
	v_add_f32_e32 v14, v14, v86
	v_fmac_f32_e32 v17, v66, v61
	s_delay_alu instid0(VALU_DEP_2) | instskip(NEXT) | instid1(VALU_DEP_1)
	v_dual_add_f32 v14, v14, v87 :: v_dual_add_f32 v13, v13, v16
	v_dual_mul_f32 v16, v56, v60 :: v_dual_add_f32 v13, v13, v15
	s_delay_alu instid0(VALU_DEP_1) | instskip(SKIP_1) | instid1(VALU_DEP_2)
	v_fma_f32 v15, v55, v59, -v16
	v_mul_f32_e32 v16, v66, v62
	v_dual_add_f32 v14, v14, v77 :: v_dual_add_f32 v13, v13, v15
	s_delay_alu instid0(VALU_DEP_2) | instskip(SKIP_2) | instid1(VALU_DEP_3)
	v_fma_f32 v15, v65, v61, -v16
	v_mul_f32_e32 v16, v68, v64
	s_wait_dscnt 0x0
	v_dual_add_f32 v14, v14, v17 :: v_dual_mul_f32 v17, v69, v74
	s_delay_alu instid0(VALU_DEP_1) | instskip(NEXT) | instid1(VALU_DEP_3)
	v_dual_add_f32 v14, v14, v18 :: v_dual_add_f32 v13, v13, v15
	v_fma_f32 v15, v67, v63, -v16
	v_mul_f32_e32 v16, v70, v74
	s_delay_alu instid0(VALU_DEP_4) | instskip(NEXT) | instid1(VALU_DEP_1)
	v_dual_mul_f32 v18, v71, v76 :: v_dual_fmac_f32 v17, v70, v73
	v_fmac_f32_e32 v18, v72, v75
	s_delay_alu instid0(VALU_DEP_4) | instskip(NEXT) | instid1(VALU_DEP_4)
	v_add_f32_e32 v13, v13, v15
	v_fma_f32 v15, v69, v73, -v16
	v_mul_f32_e32 v16, v72, v76
	s_delay_alu instid0(VALU_DEP_2) | instskip(NEXT) | instid1(VALU_DEP_2)
	v_dual_add_f32 v14, v14, v17 :: v_dual_add_f32 v13, v13, v15
	v_fma_f32 v15, v71, v75, -v16
	s_delay_alu instid0(VALU_DEP_1) | instskip(NEXT) | instid1(VALU_DEP_1)
	v_dual_add_f32 v16, v14, v18 :: v_dual_add_f32 v13, v13, v15
	v_mul_f32_e32 v14, s24, v16
	s_delay_alu instid0(VALU_DEP_1) | instskip(NEXT) | instid1(VALU_DEP_1)
	v_dual_mul_f32 v15, s25, v16 :: v_dual_fmac_f32 v14, s25, v13
	v_fma_f32 v13, s24, v13, -v15
	s_wait_alu 0xfffe
	v_add_co_u32 v15, vcc_lo, v10, s12
	s_wait_alu 0xfffd
	v_add_co_ci_u32_e64 v16, null, s13, v11, vcc_lo
	global_store_b64 v[15:16], v[13:14], off
	s_branch .LBB99_2
.LBB99_19:
	s_endpgm
	.section	.rodata,"a",@progbits
	.p2align	6, 0x0
	.amdhsa_kernel _ZL23rocblas_trmm_lTx_kernelILi16ELb0E19rocblas_complex_numIfES1_KS1_S1_Ev13rocblas_fill_17rocblas_diagonal_iiT2_lPT3_llS7_llPT4_lli
		.amdhsa_group_segment_fixed_size 4096
		.amdhsa_private_segment_fixed_size 0
		.amdhsa_kernarg_size 108
		.amdhsa_user_sgpr_count 2
		.amdhsa_user_sgpr_dispatch_ptr 0
		.amdhsa_user_sgpr_queue_ptr 0
		.amdhsa_user_sgpr_kernarg_segment_ptr 1
		.amdhsa_user_sgpr_dispatch_id 0
		.amdhsa_user_sgpr_private_segment_size 0
		.amdhsa_wavefront_size32 1
		.amdhsa_uses_dynamic_stack 0
		.amdhsa_enable_private_segment 0
		.amdhsa_system_sgpr_workgroup_id_x 1
		.amdhsa_system_sgpr_workgroup_id_y 0
		.amdhsa_system_sgpr_workgroup_id_z 1
		.amdhsa_system_sgpr_workgroup_info 0
		.amdhsa_system_vgpr_workitem_id 1
		.amdhsa_next_free_vgpr 88
		.amdhsa_next_free_sgpr 30
		.amdhsa_reserve_vcc 1
		.amdhsa_float_round_mode_32 0
		.amdhsa_float_round_mode_16_64 0
		.amdhsa_float_denorm_mode_32 3
		.amdhsa_float_denorm_mode_16_64 3
		.amdhsa_fp16_overflow 0
		.amdhsa_workgroup_processor_mode 1
		.amdhsa_memory_ordered 1
		.amdhsa_forward_progress 1
		.amdhsa_inst_pref_size 14
		.amdhsa_round_robin_scheduling 0
		.amdhsa_exception_fp_ieee_invalid_op 0
		.amdhsa_exception_fp_denorm_src 0
		.amdhsa_exception_fp_ieee_div_zero 0
		.amdhsa_exception_fp_ieee_overflow 0
		.amdhsa_exception_fp_ieee_underflow 0
		.amdhsa_exception_fp_ieee_inexact 0
		.amdhsa_exception_int_div_zero 0
	.end_amdhsa_kernel
	.section	.text._ZL23rocblas_trmm_lTx_kernelILi16ELb0E19rocblas_complex_numIfES1_KS1_S1_Ev13rocblas_fill_17rocblas_diagonal_iiT2_lPT3_llS7_llPT4_lli,"axG",@progbits,_ZL23rocblas_trmm_lTx_kernelILi16ELb0E19rocblas_complex_numIfES1_KS1_S1_Ev13rocblas_fill_17rocblas_diagonal_iiT2_lPT3_llS7_llPT4_lli,comdat
.Lfunc_end99:
	.size	_ZL23rocblas_trmm_lTx_kernelILi16ELb0E19rocblas_complex_numIfES1_KS1_S1_Ev13rocblas_fill_17rocblas_diagonal_iiT2_lPT3_llS7_llPT4_lli, .Lfunc_end99-_ZL23rocblas_trmm_lTx_kernelILi16ELb0E19rocblas_complex_numIfES1_KS1_S1_Ev13rocblas_fill_17rocblas_diagonal_iiT2_lPT3_llS7_llPT4_lli
                                        ; -- End function
	.set _ZL23rocblas_trmm_lTx_kernelILi16ELb0E19rocblas_complex_numIfES1_KS1_S1_Ev13rocblas_fill_17rocblas_diagonal_iiT2_lPT3_llS7_llPT4_lli.num_vgpr, 88
	.set _ZL23rocblas_trmm_lTx_kernelILi16ELb0E19rocblas_complex_numIfES1_KS1_S1_Ev13rocblas_fill_17rocblas_diagonal_iiT2_lPT3_llS7_llPT4_lli.num_agpr, 0
	.set _ZL23rocblas_trmm_lTx_kernelILi16ELb0E19rocblas_complex_numIfES1_KS1_S1_Ev13rocblas_fill_17rocblas_diagonal_iiT2_lPT3_llS7_llPT4_lli.numbered_sgpr, 30
	.set _ZL23rocblas_trmm_lTx_kernelILi16ELb0E19rocblas_complex_numIfES1_KS1_S1_Ev13rocblas_fill_17rocblas_diagonal_iiT2_lPT3_llS7_llPT4_lli.num_named_barrier, 0
	.set _ZL23rocblas_trmm_lTx_kernelILi16ELb0E19rocblas_complex_numIfES1_KS1_S1_Ev13rocblas_fill_17rocblas_diagonal_iiT2_lPT3_llS7_llPT4_lli.private_seg_size, 0
	.set _ZL23rocblas_trmm_lTx_kernelILi16ELb0E19rocblas_complex_numIfES1_KS1_S1_Ev13rocblas_fill_17rocblas_diagonal_iiT2_lPT3_llS7_llPT4_lli.uses_vcc, 1
	.set _ZL23rocblas_trmm_lTx_kernelILi16ELb0E19rocblas_complex_numIfES1_KS1_S1_Ev13rocblas_fill_17rocblas_diagonal_iiT2_lPT3_llS7_llPT4_lli.uses_flat_scratch, 0
	.set _ZL23rocblas_trmm_lTx_kernelILi16ELb0E19rocblas_complex_numIfES1_KS1_S1_Ev13rocblas_fill_17rocblas_diagonal_iiT2_lPT3_llS7_llPT4_lli.has_dyn_sized_stack, 0
	.set _ZL23rocblas_trmm_lTx_kernelILi16ELb0E19rocblas_complex_numIfES1_KS1_S1_Ev13rocblas_fill_17rocblas_diagonal_iiT2_lPT3_llS7_llPT4_lli.has_recursion, 0
	.set _ZL23rocblas_trmm_lTx_kernelILi16ELb0E19rocblas_complex_numIfES1_KS1_S1_Ev13rocblas_fill_17rocblas_diagonal_iiT2_lPT3_llS7_llPT4_lli.has_indirect_call, 0
	.section	.AMDGPU.csdata,"",@progbits
; Kernel info:
; codeLenInByte = 1720
; TotalNumSgprs: 32
; NumVgprs: 88
; ScratchSize: 0
; MemoryBound: 0
; FloatMode: 240
; IeeeMode: 1
; LDSByteSize: 4096 bytes/workgroup (compile time only)
; SGPRBlocks: 0
; VGPRBlocks: 10
; NumSGPRsForWavesPerEU: 32
; NumVGPRsForWavesPerEU: 88
; Occupancy: 16
; WaveLimiterHint : 0
; COMPUTE_PGM_RSRC2:SCRATCH_EN: 0
; COMPUTE_PGM_RSRC2:USER_SGPR: 2
; COMPUTE_PGM_RSRC2:TRAP_HANDLER: 0
; COMPUTE_PGM_RSRC2:TGID_X_EN: 1
; COMPUTE_PGM_RSRC2:TGID_Y_EN: 0
; COMPUTE_PGM_RSRC2:TGID_Z_EN: 1
; COMPUTE_PGM_RSRC2:TIDIG_COMP_CNT: 1
	.section	.text._ZL23rocblas_trmm_lTx_kernelILi16ELb1E19rocblas_complex_numIfEPKS1_S2_S1_Ev13rocblas_fill_17rocblas_diagonal_iiT2_lPT3_llS8_llPT4_lli,"axG",@progbits,_ZL23rocblas_trmm_lTx_kernelILi16ELb1E19rocblas_complex_numIfEPKS1_S2_S1_Ev13rocblas_fill_17rocblas_diagonal_iiT2_lPT3_llS8_llPT4_lli,comdat
	.globl	_ZL23rocblas_trmm_lTx_kernelILi16ELb1E19rocblas_complex_numIfEPKS1_S2_S1_Ev13rocblas_fill_17rocblas_diagonal_iiT2_lPT3_llS8_llPT4_lli ; -- Begin function _ZL23rocblas_trmm_lTx_kernelILi16ELb1E19rocblas_complex_numIfEPKS1_S2_S1_Ev13rocblas_fill_17rocblas_diagonal_iiT2_lPT3_llS8_llPT4_lli
	.p2align	8
	.type	_ZL23rocblas_trmm_lTx_kernelILi16ELb1E19rocblas_complex_numIfEPKS1_S2_S1_Ev13rocblas_fill_17rocblas_diagonal_iiT2_lPT3_llS8_llPT4_lli,@function
_ZL23rocblas_trmm_lTx_kernelILi16ELb1E19rocblas_complex_numIfEPKS1_S2_S1_Ev13rocblas_fill_17rocblas_diagonal_iiT2_lPT3_llS8_llPT4_lli: ; @_ZL23rocblas_trmm_lTx_kernelILi16ELb1E19rocblas_complex_numIfEPKS1_S2_S1_Ev13rocblas_fill_17rocblas_diagonal_iiT2_lPT3_llS8_llPT4_lli
; %bb.0:
	s_load_b32 s3, s[0:1], 0x68
	s_lshr_b32 s28, ttmp7, 16
	s_wait_kmcnt 0x0
	s_cmp_ge_u32 s28, s3
	s_cbranch_scc1 .LBB100_19
; %bb.1:
	s_clause 0x1
	s_load_b128 s[20:23], s[0:1], 0x0
	s_load_b512 s[4:19], s[0:1], 0x10
	v_bfe_u32 v13, v0, 10, 10
	v_dual_mov_b32 v1, 0 :: v_dual_and_b32 v14, 0x3ff, v0
	s_clause 0x1
	s_load_b128 s[24:27], s[0:1], 0x50
	s_load_b64 s[30:31], s[0:1], 0x60
	s_mov_b32 s29, 0
	v_lshlrev_b32_e32 v16, 7, v14
	s_wait_kmcnt 0x0
	s_add_co_i32 s1, s23, -1
	v_mad_co_u64_u32 v[2:3], null, s10, v13, 0
	v_mad_co_u64_u32 v[7:8], null, s16, v13, 0
	v_lshlrev_b32_e32 v0, 4, v13
	v_lshlrev_b32_e32 v15, 3, v13
	s_ashr_i32 s0, s1, 31
	v_mad_co_u64_u32 v[11:12], null, s26, v13, 0
	s_delay_alu instid0(VALU_DEP_3) | instskip(SKIP_4) | instid1(VALU_DEP_2)
	v_add_lshl_u32 v4, v0, v14, 3
	v_dual_mov_b32 v0, v3 :: v_dual_mov_b32 v3, v8
	s_lshr_b32 s2, s0, 28
	v_cmp_gt_i32_e32 vcc_lo, s22, v13
	s_add_co_i32 s1, s1, s2
	v_mad_co_u64_u32 v[8:9], null, s11, v13, v[0:1]
	v_add_nc_u32_e32 v6, 0x800, v4
	v_mad_co_u64_u32 v[9:10], null, s17, v13, v[3:4]
	s_ashr_i32 s2, s1, 4
	s_and_b32 s1, s1, -16
	v_cmp_gt_i32_e64 s0, s22, v14
	v_mov_b32_e32 v3, v8
	s_sub_co_i32 s1, s23, s1
	s_cmp_ge_i32 ttmp9, s2
	v_dual_mov_b32 v0, v12 :: v_dual_lshlrev_b32 v5, 3, v14
	s_delay_alu instid0(VALU_DEP_2)
	v_lshlrev_b64_e32 v[2:3], 3, v[2:3]
	s_cselect_b32 s1, s1, 16
	s_and_b32 s10, vcc_lo, s0
	v_cmp_gt_i32_e32 vcc_lo, s1, v13
	v_mov_b32_e32 v8, v9
	s_lshl_b32 s22, ttmp9, 4
	v_add_co_u32 v9, s1, s8, v2
	s_wait_alu 0xf1ff
	v_add_co_ci_u32_e64 v10, null, s9, v3, s1
	s_wait_alu 0xfffe
	s_ashr_i32 s23, s22, 31
	v_lshlrev_b64_e32 v[2:3], 3, v[7:8]
	v_add_co_u32 v7, s1, v9, v5
	s_wait_alu 0xfffe
	s_mul_u64 s[16:17], s[16:17], s[22:23]
	v_add_co_ci_u32_e64 v8, null, 0, v10, s1
	v_mad_co_u64_u32 v[9:10], null, s27, v13, v[0:1]
	s_wait_alu 0xfffe
	s_lshl_b64 s[16:17], s[16:17], 3
	s_and_b32 s8, s0, vcc_lo
	s_wait_alu 0xfffe
	s_add_nc_u64 s[14:15], s[14:15], s[16:17]
	s_mul_u64 s[22:23], s[26:27], s[22:23]
	v_add_co_u32 v0, vcc_lo, s14, v2
	s_delay_alu instid0(VALU_DEP_1) | instskip(SKIP_1) | instid1(VALU_DEP_3)
	v_add_co_ci_u32_e64 v2, null, s15, v3, vcc_lo
	v_mov_b32_e32 v12, v9
	v_add_co_u32 v9, s0, v0, v5
	s_wait_alu 0xf1ff
	s_delay_alu instid0(VALU_DEP_3) | instskip(NEXT) | instid1(VALU_DEP_3)
	v_add_co_ci_u32_e64 v10, null, 0, v2, s0
	v_lshlrev_b64_e32 v[2:3], 3, v[11:12]
	s_wait_alu 0xfffe
	s_lshl_b64 s[22:23], s[22:23], 3
	v_cmp_eq_u32_e32 vcc_lo, v13, v14
	s_cmp_eq_u32 s21, 0x84
	s_wait_alu 0xfffe
	s_add_nc_u64 s[16:17], s[24:25], s[22:23]
	s_cselect_b32 s0, -1, 0
	v_cmp_gt_u32_e64 s1, v14, v13
	s_wait_alu 0xfffe
	s_and_b32 s9, vcc_lo, s0
	v_add_co_u32 v0, vcc_lo, s16, v2
	s_wait_alu 0xfffd
	v_add_co_ci_u32_e64 v2, null, s17, v3, vcc_lo
	v_cmp_lt_u32_e64 s0, v14, v13
	s_delay_alu instid0(VALU_DEP_3)
	v_add_co_u32 v12, vcc_lo, v0, v5
	v_lshl_add_u32 v11, v13, 7, 0x800
	s_wait_alu 0xfffd
	v_add_co_ci_u32_e64 v13, null, 0, v2, vcc_lo
	v_add_nc_u32_e32 v14, v15, v16
	v_mov_b32_e32 v0, 1.0
	s_cmp_lg_u32 s20, 0x7a
	s_cselect_b32 s11, -1, 0
	s_branch .LBB100_4
.LBB100_2:                              ;   in Loop: Header=BB100_4 Depth=1
	s_or_b32 exec_lo, exec_lo, s2
.LBB100_3:                              ;   in Loop: Header=BB100_4 Depth=1
	s_add_co_i32 s28, s28, 0x10000
	s_delay_alu instid0(SALU_CYCLE_1)
	s_cmp_lt_u32 s28, s3
	s_cbranch_scc0 .LBB100_19
.LBB100_4:                              ; =>This Inner Loop Header: Depth=1
	s_mul_u64 s[14:15], s[6:7], s[28:29]
	s_wait_alu 0xfffe
	s_lshl_b64 s[14:15], s[14:15], 3
	s_wait_alu 0xfffe
	s_add_nc_u64 s[14:15], s[4:5], s[14:15]
	global_load_b64 v[2:3], v1, s[14:15]
	s_wait_loadcnt 0x0
	v_cmp_neq_f32_e32 vcc_lo, 0, v2
	v_cmp_neq_f32_e64 s2, 0, v3
	s_or_b32 s2, vcc_lo, s2
	s_delay_alu instid0(SALU_CYCLE_1)
	s_and_not1_b32 vcc_lo, exec_lo, s2
	s_wait_alu 0xfffe
	s_cbranch_vccnz .LBB100_3
; %bb.5:                                ;   in Loop: Header=BB100_4 Depth=1
	s_mov_b32 s14, s29
	s_mov_b32 s15, s29
	s_wait_alu 0xfffe
	v_dual_mov_b32 v16, s15 :: v_dual_mov_b32 v15, s14
	ds_store_b64 v4, v[15:16]
	ds_store_b64 v6, v[15:16]
	s_wait_dscnt 0x0
	s_barrier_signal -1
	s_barrier_wait -1
	global_inv scope:SCOPE_SE
	s_and_saveexec_b32 s2, s10
	s_cbranch_execnz .LBB100_11
; %bb.6:                                ;   in Loop: Header=BB100_4 Depth=1
	s_or_b32 exec_lo, exec_lo, s2
	s_and_saveexec_b32 s2, s8
	s_cbranch_execnz .LBB100_12
.LBB100_7:                              ;   in Loop: Header=BB100_4 Depth=1
	s_or_b32 exec_lo, exec_lo, s2
	s_and_saveexec_b32 s2, s9
.LBB100_8:                              ;   in Loop: Header=BB100_4 Depth=1
	ds_store_b64 v4, v[0:1]
.LBB100_9:                              ;   in Loop: Header=BB100_4 Depth=1
	s_or_b32 exec_lo, exec_lo, s2
	s_delay_alu instid0(SALU_CYCLE_1)
	s_and_b32 vcc_lo, exec_lo, s11
	s_wait_loadcnt_dscnt 0x0
	s_barrier_signal -1
	s_barrier_wait -1
	global_inv scope:SCOPE_SE
	s_wait_alu 0xfffe
	s_cbranch_vccz .LBB100_13
; %bb.10:                               ;   in Loop: Header=BB100_4 Depth=1
	s_and_b32 s2, s0, exec_lo
	s_cbranch_execz .LBB100_14
	s_branch .LBB100_15
.LBB100_11:                             ;   in Loop: Header=BB100_4 Depth=1
	s_mul_u64 s[14:15], s[12:13], s[28:29]
	s_wait_alu 0xfffe
	s_lshl_b64 s[14:15], s[14:15], 3
	s_wait_alu 0xfffe
	v_add_co_u32 v15, vcc_lo, v7, s14
	s_wait_alu 0xfffd
	v_add_co_ci_u32_e64 v16, null, s15, v8, vcc_lo
	global_load_b64 v[15:16], v[15:16], off
	s_wait_loadcnt 0x0
	v_xor_b32_e32 v16, 0x80000000, v16
	ds_store_b64 v14, v[15:16]
	s_or_b32 exec_lo, exec_lo, s2
	s_and_saveexec_b32 s2, s8
	s_cbranch_execz .LBB100_7
.LBB100_12:                             ;   in Loop: Header=BB100_4 Depth=1
	s_mul_u64 s[14:15], s[18:19], s[28:29]
	s_wait_alu 0xfffe
	s_lshl_b64 s[14:15], s[14:15], 3
	s_wait_alu 0xfffe
	v_add_co_u32 v15, vcc_lo, v9, s14
	s_wait_alu 0xfffd
	v_add_co_ci_u32_e64 v16, null, s15, v10, vcc_lo
	global_load_b64 v[15:16], v[15:16], off
	s_wait_loadcnt 0x0
	ds_store_b64 v6, v[15:16]
	s_or_b32 exec_lo, exec_lo, s2
	s_and_saveexec_b32 s2, s9
	s_cbranch_execnz .LBB100_8
	s_branch .LBB100_9
.LBB100_13:                             ;   in Loop: Header=BB100_4 Depth=1
	s_mov_b32 s2, 0
.LBB100_14:                             ;   in Loop: Header=BB100_4 Depth=1
	s_delay_alu instid0(SALU_CYCLE_1)
	s_and_not1_b32 s2, s2, exec_lo
	s_and_b32 s14, s1, exec_lo
	s_wait_alu 0xfffe
	s_or_b32 s2, s2, s14
.LBB100_15:                             ;   in Loop: Header=BB100_4 Depth=1
	s_delay_alu instid0(SALU_CYCLE_1)
	s_and_saveexec_b32 s14, s2
; %bb.16:                               ;   in Loop: Header=BB100_4 Depth=1
	v_dual_mov_b32 v15, v1 :: v_dual_mov_b32 v16, v1
	ds_store_b64 v4, v[15:16]
; %bb.17:                               ;   in Loop: Header=BB100_4 Depth=1
	s_wait_alu 0xfffe
	s_or_b32 exec_lo, exec_lo, s14
	s_wait_loadcnt_dscnt 0x0
	s_barrier_signal -1
	s_barrier_wait -1
	global_inv scope:SCOPE_SE
	s_and_saveexec_b32 s2, s8
	s_cbranch_execz .LBB100_2
; %bb.18:                               ;   in Loop: Header=BB100_4 Depth=1
	ds_load_2addr_b64 v[15:18], v5 offset1:16
	ds_load_b128 v[19:22], v11
	ds_load_b128 v[23:26], v11 offset:16
	ds_load_2addr_b64 v[27:30], v5 offset0:32 offset1:48
	ds_load_2addr_b64 v[31:34], v5 offset0:64 offset1:80
	ds_load_b128 v[35:38], v11 offset:32
	ds_load_b128 v[39:42], v11 offset:48
	ds_load_2addr_b64 v[43:46], v5 offset0:96 offset1:112
	ds_load_2addr_b64 v[47:50], v5 offset0:128 offset1:144
	ds_load_b128 v[51:54], v11 offset:64
	;; [unrolled: 4-line block ×3, first 2 shown]
	ds_load_b128 v[71:74], v11 offset:112
	ds_load_2addr_b64 v[75:78], v5 offset0:224 offset1:240
	s_mul_u64 s[14:15], s[30:31], s[28:29]
	s_wait_alu 0xfffe
	s_lshl_b64 s[14:15], s[14:15], 3
	s_wait_dscnt 0xe
	v_dual_mul_f32 v79, v19, v16 :: v_dual_mul_f32 v80, v21, v18
	v_mul_f32_e32 v16, v20, v16
	s_wait_dscnt 0xc
	v_dual_mul_f32 v81, v23, v28 :: v_dual_mul_f32 v82, v25, v30
	s_delay_alu instid0(VALU_DEP_3) | instskip(NEXT) | instid1(VALU_DEP_2)
	v_dual_fmac_f32 v79, v20, v15 :: v_dual_fmac_f32 v80, v22, v17
	v_dual_mul_f32 v18, v22, v18 :: v_dual_fmac_f32 v81, v24, v27
	s_wait_dscnt 0xa
	v_dual_mul_f32 v83, v35, v32 :: v_dual_mul_f32 v84, v37, v34
	s_wait_dscnt 0x4
	v_dual_mul_f32 v89, v55, v60 :: v_dual_add_f32 v20, 0, v79
	v_mul_f32_e32 v79, v57, v62
	v_fma_f32 v15, v19, v15, -v16
	v_dual_mul_f32 v19, v24, v28 :: v_dual_fmac_f32 v82, v26, v29
	s_delay_alu instid0(VALU_DEP_4) | instskip(SKIP_1) | instid1(VALU_DEP_4)
	v_add_f32_e32 v16, v20, v80
	v_fma_f32 v17, v21, v17, -v18
	v_dual_add_f32 v15, 0, v15 :: v_dual_mul_f32 v18, v26, v30
	s_delay_alu instid0(VALU_DEP_4) | instskip(SKIP_1) | instid1(VALU_DEP_3)
	v_fma_f32 v19, v23, v27, -v19
	v_dual_mul_f32 v85, v39, v44 :: v_dual_mul_f32 v86, v41, v46
	v_add_f32_e32 v15, v15, v17
	v_add_f32_e32 v16, v16, v81
	v_mul_f32_e32 v17, v36, v32
	v_fma_f32 v18, v25, v29, -v18
	v_dual_fmac_f32 v83, v36, v31 :: v_dual_fmac_f32 v84, v38, v33
	v_dual_add_f32 v15, v15, v19 :: v_dual_fmac_f32 v86, v42, v45
	s_delay_alu instid0(VALU_DEP_4) | instskip(SKIP_1) | instid1(VALU_DEP_3)
	v_fma_f32 v17, v35, v31, -v17
	v_dual_mul_f32 v87, v51, v48 :: v_dual_mul_f32 v88, v53, v50
	v_add_f32_e32 v15, v15, v18
	v_add_f32_e32 v16, v16, v82
	v_mul_f32_e32 v19, v38, v34
	s_delay_alu instid0(VALU_DEP_4) | instskip(NEXT) | instid1(VALU_DEP_3)
	v_dual_fmac_f32 v85, v40, v43 :: v_dual_fmac_f32 v88, v54, v49
	v_dual_add_f32 v15, v15, v17 :: v_dual_add_f32 v16, v16, v83
	v_dual_mul_f32 v18, v40, v44 :: v_dual_mul_f32 v17, v42, v46
	s_delay_alu instid0(VALU_DEP_4) | instskip(SKIP_1) | instid1(VALU_DEP_4)
	v_fma_f32 v19, v37, v33, -v19
	v_fmac_f32_e32 v87, v52, v47
	v_add_f32_e32 v16, v16, v84
	s_delay_alu instid0(VALU_DEP_4)
	v_fma_f32 v18, v39, v43, -v18
	v_fma_f32 v17, v41, v45, -v17
	v_add_f32_e32 v15, v15, v19
	v_mul_f32_e32 v19, v52, v48
	v_add_f32_e32 v16, v16, v85
	s_wait_dscnt 0x2
	v_dual_fmac_f32 v89, v56, v59 :: v_dual_mul_f32 v20, v69, v66
	v_add_f32_e32 v15, v15, v18
	v_mul_f32_e32 v18, v54, v50
	v_add_f32_e32 v16, v16, v86
	v_fma_f32 v19, v51, v47, -v19
	v_fmac_f32_e32 v79, v58, v61
	v_add_f32_e32 v15, v15, v17
	v_dual_mul_f32 v17, v56, v60 :: v_dual_fmac_f32 v20, v70, v65
	v_add_f32_e32 v16, v16, v87
	v_fma_f32 v18, v53, v49, -v18
	s_delay_alu instid0(VALU_DEP_4) | instskip(SKIP_3) | instid1(VALU_DEP_3)
	v_add_f32_e32 v15, v15, v19
	v_mul_f32_e32 v19, v67, v64
	v_fma_f32 v17, v55, v59, -v17
	v_add_f32_e32 v16, v16, v88
	v_fmac_f32_e32 v19, v68, v63
	s_delay_alu instid0(VALU_DEP_2) | instskip(NEXT) | instid1(VALU_DEP_1)
	v_dual_add_f32 v16, v16, v89 :: v_dual_add_f32 v15, v15, v18
	v_dual_mul_f32 v18, v58, v62 :: v_dual_add_f32 v15, v15, v17
	s_delay_alu instid0(VALU_DEP_1) | instskip(SKIP_1) | instid1(VALU_DEP_2)
	v_fma_f32 v17, v57, v61, -v18
	v_mul_f32_e32 v18, v68, v64
	v_dual_add_f32 v16, v16, v79 :: v_dual_add_f32 v15, v15, v17
	s_delay_alu instid0(VALU_DEP_2) | instskip(SKIP_2) | instid1(VALU_DEP_3)
	v_fma_f32 v17, v67, v63, -v18
	v_mul_f32_e32 v18, v70, v66
	s_wait_dscnt 0x0
	v_dual_add_f32 v16, v16, v19 :: v_dual_mul_f32 v19, v71, v76
	s_delay_alu instid0(VALU_DEP_1) | instskip(NEXT) | instid1(VALU_DEP_3)
	v_dual_add_f32 v16, v16, v20 :: v_dual_add_f32 v15, v15, v17
	v_fma_f32 v17, v69, v65, -v18
	v_mul_f32_e32 v18, v72, v76
	s_delay_alu instid0(VALU_DEP_4) | instskip(NEXT) | instid1(VALU_DEP_1)
	v_dual_mul_f32 v20, v73, v78 :: v_dual_fmac_f32 v19, v72, v75
	v_fmac_f32_e32 v20, v74, v77
	s_delay_alu instid0(VALU_DEP_4) | instskip(NEXT) | instid1(VALU_DEP_4)
	v_add_f32_e32 v15, v15, v17
	v_fma_f32 v17, v71, v75, -v18
	v_mul_f32_e32 v18, v74, v78
	s_delay_alu instid0(VALU_DEP_2) | instskip(NEXT) | instid1(VALU_DEP_2)
	v_dual_add_f32 v16, v16, v19 :: v_dual_add_f32 v15, v15, v17
	v_fma_f32 v17, v73, v77, -v18
	s_delay_alu instid0(VALU_DEP_1) | instskip(NEXT) | instid1(VALU_DEP_1)
	v_dual_add_f32 v18, v16, v20 :: v_dual_add_f32 v15, v15, v17
	v_mul_f32_e32 v16, v2, v18
	v_mul_f32_e32 v17, v3, v18
	s_delay_alu instid0(VALU_DEP_2) | instskip(NEXT) | instid1(VALU_DEP_2)
	v_fmac_f32_e32 v16, v3, v15
	v_fma_f32 v15, v2, v15, -v17
	s_wait_alu 0xfffe
	v_add_co_u32 v2, vcc_lo, v12, s14
	s_wait_alu 0xfffd
	v_add_co_ci_u32_e64 v3, null, s15, v13, vcc_lo
	global_store_b64 v[2:3], v[15:16], off
	s_branch .LBB100_2
.LBB100_19:
	s_endpgm
	.section	.rodata,"a",@progbits
	.p2align	6, 0x0
	.amdhsa_kernel _ZL23rocblas_trmm_lTx_kernelILi16ELb1E19rocblas_complex_numIfEPKS1_S2_S1_Ev13rocblas_fill_17rocblas_diagonal_iiT2_lPT3_llS8_llPT4_lli
		.amdhsa_group_segment_fixed_size 4096
		.amdhsa_private_segment_fixed_size 0
		.amdhsa_kernarg_size 108
		.amdhsa_user_sgpr_count 2
		.amdhsa_user_sgpr_dispatch_ptr 0
		.amdhsa_user_sgpr_queue_ptr 0
		.amdhsa_user_sgpr_kernarg_segment_ptr 1
		.amdhsa_user_sgpr_dispatch_id 0
		.amdhsa_user_sgpr_private_segment_size 0
		.amdhsa_wavefront_size32 1
		.amdhsa_uses_dynamic_stack 0
		.amdhsa_enable_private_segment 0
		.amdhsa_system_sgpr_workgroup_id_x 1
		.amdhsa_system_sgpr_workgroup_id_y 0
		.amdhsa_system_sgpr_workgroup_id_z 1
		.amdhsa_system_sgpr_workgroup_info 0
		.amdhsa_system_vgpr_workitem_id 1
		.amdhsa_next_free_vgpr 90
		.amdhsa_next_free_sgpr 32
		.amdhsa_reserve_vcc 1
		.amdhsa_float_round_mode_32 0
		.amdhsa_float_round_mode_16_64 0
		.amdhsa_float_denorm_mode_32 3
		.amdhsa_float_denorm_mode_16_64 3
		.amdhsa_fp16_overflow 0
		.amdhsa_workgroup_processor_mode 1
		.amdhsa_memory_ordered 1
		.amdhsa_forward_progress 1
		.amdhsa_inst_pref_size 14
		.amdhsa_round_robin_scheduling 0
		.amdhsa_exception_fp_ieee_invalid_op 0
		.amdhsa_exception_fp_denorm_src 0
		.amdhsa_exception_fp_ieee_div_zero 0
		.amdhsa_exception_fp_ieee_overflow 0
		.amdhsa_exception_fp_ieee_underflow 0
		.amdhsa_exception_fp_ieee_inexact 0
		.amdhsa_exception_int_div_zero 0
	.end_amdhsa_kernel
	.section	.text._ZL23rocblas_trmm_lTx_kernelILi16ELb1E19rocblas_complex_numIfEPKS1_S2_S1_Ev13rocblas_fill_17rocblas_diagonal_iiT2_lPT3_llS8_llPT4_lli,"axG",@progbits,_ZL23rocblas_trmm_lTx_kernelILi16ELb1E19rocblas_complex_numIfEPKS1_S2_S1_Ev13rocblas_fill_17rocblas_diagonal_iiT2_lPT3_llS8_llPT4_lli,comdat
.Lfunc_end100:
	.size	_ZL23rocblas_trmm_lTx_kernelILi16ELb1E19rocblas_complex_numIfEPKS1_S2_S1_Ev13rocblas_fill_17rocblas_diagonal_iiT2_lPT3_llS8_llPT4_lli, .Lfunc_end100-_ZL23rocblas_trmm_lTx_kernelILi16ELb1E19rocblas_complex_numIfEPKS1_S2_S1_Ev13rocblas_fill_17rocblas_diagonal_iiT2_lPT3_llS8_llPT4_lli
                                        ; -- End function
	.set _ZL23rocblas_trmm_lTx_kernelILi16ELb1E19rocblas_complex_numIfEPKS1_S2_S1_Ev13rocblas_fill_17rocblas_diagonal_iiT2_lPT3_llS8_llPT4_lli.num_vgpr, 90
	.set _ZL23rocblas_trmm_lTx_kernelILi16ELb1E19rocblas_complex_numIfEPKS1_S2_S1_Ev13rocblas_fill_17rocblas_diagonal_iiT2_lPT3_llS8_llPT4_lli.num_agpr, 0
	.set _ZL23rocblas_trmm_lTx_kernelILi16ELb1E19rocblas_complex_numIfEPKS1_S2_S1_Ev13rocblas_fill_17rocblas_diagonal_iiT2_lPT3_llS8_llPT4_lli.numbered_sgpr, 32
	.set _ZL23rocblas_trmm_lTx_kernelILi16ELb1E19rocblas_complex_numIfEPKS1_S2_S1_Ev13rocblas_fill_17rocblas_diagonal_iiT2_lPT3_llS8_llPT4_lli.num_named_barrier, 0
	.set _ZL23rocblas_trmm_lTx_kernelILi16ELb1E19rocblas_complex_numIfEPKS1_S2_S1_Ev13rocblas_fill_17rocblas_diagonal_iiT2_lPT3_llS8_llPT4_lli.private_seg_size, 0
	.set _ZL23rocblas_trmm_lTx_kernelILi16ELb1E19rocblas_complex_numIfEPKS1_S2_S1_Ev13rocblas_fill_17rocblas_diagonal_iiT2_lPT3_llS8_llPT4_lli.uses_vcc, 1
	.set _ZL23rocblas_trmm_lTx_kernelILi16ELb1E19rocblas_complex_numIfEPKS1_S2_S1_Ev13rocblas_fill_17rocblas_diagonal_iiT2_lPT3_llS8_llPT4_lli.uses_flat_scratch, 0
	.set _ZL23rocblas_trmm_lTx_kernelILi16ELb1E19rocblas_complex_numIfEPKS1_S2_S1_Ev13rocblas_fill_17rocblas_diagonal_iiT2_lPT3_llS8_llPT4_lli.has_dyn_sized_stack, 0
	.set _ZL23rocblas_trmm_lTx_kernelILi16ELb1E19rocblas_complex_numIfEPKS1_S2_S1_Ev13rocblas_fill_17rocblas_diagonal_iiT2_lPT3_llS8_llPT4_lli.has_recursion, 0
	.set _ZL23rocblas_trmm_lTx_kernelILi16ELb1E19rocblas_complex_numIfEPKS1_S2_S1_Ev13rocblas_fill_17rocblas_diagonal_iiT2_lPT3_llS8_llPT4_lli.has_indirect_call, 0
	.section	.AMDGPU.csdata,"",@progbits
; Kernel info:
; codeLenInByte = 1764
; TotalNumSgprs: 34
; NumVgprs: 90
; ScratchSize: 0
; MemoryBound: 0
; FloatMode: 240
; IeeeMode: 1
; LDSByteSize: 4096 bytes/workgroup (compile time only)
; SGPRBlocks: 0
; VGPRBlocks: 11
; NumSGPRsForWavesPerEU: 34
; NumVGPRsForWavesPerEU: 90
; Occupancy: 16
; WaveLimiterHint : 0
; COMPUTE_PGM_RSRC2:SCRATCH_EN: 0
; COMPUTE_PGM_RSRC2:USER_SGPR: 2
; COMPUTE_PGM_RSRC2:TRAP_HANDLER: 0
; COMPUTE_PGM_RSRC2:TGID_X_EN: 1
; COMPUTE_PGM_RSRC2:TGID_Y_EN: 0
; COMPUTE_PGM_RSRC2:TGID_Z_EN: 1
; COMPUTE_PGM_RSRC2:TIDIG_COMP_CNT: 1
	.section	.text._ZL23rocblas_trmm_lTx_kernelILi16ELb1E19rocblas_complex_numIfES1_KS1_S1_Ev13rocblas_fill_17rocblas_diagonal_iiT2_lPT3_llS7_llPT4_lli,"axG",@progbits,_ZL23rocblas_trmm_lTx_kernelILi16ELb1E19rocblas_complex_numIfES1_KS1_S1_Ev13rocblas_fill_17rocblas_diagonal_iiT2_lPT3_llS7_llPT4_lli,comdat
	.globl	_ZL23rocblas_trmm_lTx_kernelILi16ELb1E19rocblas_complex_numIfES1_KS1_S1_Ev13rocblas_fill_17rocblas_diagonal_iiT2_lPT3_llS7_llPT4_lli ; -- Begin function _ZL23rocblas_trmm_lTx_kernelILi16ELb1E19rocblas_complex_numIfES1_KS1_S1_Ev13rocblas_fill_17rocblas_diagonal_iiT2_lPT3_llS7_llPT4_lli
	.p2align	8
	.type	_ZL23rocblas_trmm_lTx_kernelILi16ELb1E19rocblas_complex_numIfES1_KS1_S1_Ev13rocblas_fill_17rocblas_diagonal_iiT2_lPT3_llS7_llPT4_lli,@function
_ZL23rocblas_trmm_lTx_kernelILi16ELb1E19rocblas_complex_numIfES1_KS1_S1_Ev13rocblas_fill_17rocblas_diagonal_iiT2_lPT3_llS7_llPT4_lli: ; @_ZL23rocblas_trmm_lTx_kernelILi16ELb1E19rocblas_complex_numIfES1_KS1_S1_Ev13rocblas_fill_17rocblas_diagonal_iiT2_lPT3_llS7_llPT4_lli
; %bb.0:
	s_load_b32 s28, s[0:1], 0x68
	s_lshr_b32 s2, ttmp7, 16
	s_wait_kmcnt 0x0
	s_cmp_ge_u32 s2, s28
	s_cbranch_scc1 .LBB101_19
; %bb.1:
	s_clause 0x2
	s_load_b64 s[24:25], s[0:1], 0x10
	s_load_b128 s[20:23], s[0:1], 0x0
	s_load_b512 s[4:19], s[0:1], 0x20
	v_bfe_u32 v13, v0, 10, 10
	v_and_b32_e32 v14, 0x3ff, v0
	s_load_b64 s[26:27], s[0:1], 0x60
	s_delay_alu instid0(VALU_DEP_2) | instskip(NEXT) | instid1(VALU_DEP_1)
	v_lshlrev_b32_e32 v0, 4, v13
	v_add_lshl_u32 v2, v0, v14, 3
	s_wait_kmcnt 0x0
	s_cmp_neq_f32 s24, 0
	v_cmp_gt_i32_e32 vcc_lo, s22, v13
	v_mad_co_u64_u32 v[0:1], null, s6, v13, 0
	s_cselect_b32 s1, -1, 0
	s_cmp_neq_f32 s25, 0
	v_mad_co_u64_u32 v[7:8], null, s12, v13, 0
	v_mad_co_u64_u32 v[9:10], null, s18, v13, 0
	v_mad_co_u64_u32 v[5:6], null, s7, v13, v[1:2]
	s_cselect_b32 s3, -1, 0
	v_dual_mov_b32 v4, v8 :: v_dual_lshlrev_b32 v15, 3, v13
	v_add_nc_u32_e32 v3, 0x800, v2
	v_mov_b32_e32 v1, v5
	v_cmp_gt_i32_e64 s0, s22, v14
	s_add_co_i32 s22, s23, -1
	v_mad_co_u64_u32 v[11:12], null, s13, v13, v[4:5]
	s_wait_alu 0xfffe
	s_ashr_i32 s6, s22, 31
	v_lshlrev_b64_e32 v[0:1], 3, v[0:1]
	s_wait_alu 0xfffe
	s_lshr_b32 s29, s6, 28
	s_or_b32 s6, s1, s3
	s_add_co_i32 s22, s22, s29
	v_lshlrev_b32_e32 v4, 3, v14
	s_wait_alu 0xfffe
	s_and_b32 s1, s22, -16
	s_ashr_i32 s3, s22, 4
	s_sub_co_i32 s1, s23, s1
	s_cmp_ge_i32 ttmp9, s3
	v_mov_b32_e32 v8, v11
	s_cselect_b32 s1, s1, 16
	s_and_b32 s7, vcc_lo, s0
	v_add_co_u32 v5, vcc_lo, s4, v0
	v_mov_b32_e32 v0, v10
	v_add_co_ci_u32_e64 v6, null, s5, v1, vcc_lo
	s_lshl_b32 s22, ttmp9, 4
	v_lshlrev_b64_e32 v[7:8], 3, v[7:8]
	v_mad_co_u64_u32 v[0:1], null, s19, v13, v[0:1]
	s_wait_alu 0xfffe
	s_ashr_i32 s23, s22, 31
	v_cmp_gt_i32_e32 vcc_lo, s1, v13
	s_wait_alu 0xfffe
	s_mul_u64 s[12:13], s[12:13], s[22:23]
	s_mul_u64 s[22:23], s[18:19], s[22:23]
	s_wait_alu 0xfffe
	s_lshl_b64 s[12:13], s[12:13], 3
	s_lshl_b64 s[22:23], s[22:23], 3
	v_mov_b32_e32 v10, v0
	s_wait_alu 0xfffe
	s_add_nc_u64 s[10:11], s[10:11], s[12:13]
	s_and_b32 s4, s0, vcc_lo
	v_add_co_u32 v7, vcc_lo, s10, v7
	v_lshlrev_b64_e32 v[0:1], 3, v[9:10]
	s_wait_alu 0xfffd
	v_add_co_ci_u32_e64 v8, null, s11, v8, vcc_lo
	v_cmp_eq_u32_e32 vcc_lo, v13, v14
	v_add_co_u32 v5, s1, v5, v4
	s_cmp_eq_u32 s21, 0x84
	s_add_nc_u64 s[12:13], s[16:17], s[22:23]
	v_add_co_ci_u32_e64 v6, null, 0, v6, s1
	s_cselect_b32 s1, -1, 0
	v_lshlrev_b32_e32 v12, 7, v14
	s_wait_alu 0xfffe
	s_and_b32 s5, vcc_lo, s1
	v_add_co_u32 v0, vcc_lo, s12, v0
	s_wait_alu 0xfffd
	v_add_co_ci_u32_e64 v1, null, s13, v1, vcc_lo
	v_add_co_u32 v7, s0, v7, v4
	s_delay_alu instid0(VALU_DEP_3)
	v_add_co_u32 v10, vcc_lo, v0, v4
	s_wait_alu 0xf1ff
	v_add_co_ci_u32_e64 v8, null, 0, v8, s0
	v_cmp_lt_u32_e64 s0, v14, v13
	v_cmp_gt_u32_e64 s1, v14, v13
	v_lshl_add_u32 v9, v13, 7, 0x800
	s_wait_alu 0xfffd
	v_add_co_ci_u32_e64 v11, null, 0, v1, vcc_lo
	v_add_nc_u32_e32 v12, v15, v12
	v_dual_mov_b32 v0, 1.0 :: v_dual_mov_b32 v1, 0
	s_cmp_lg_u32 s20, 0x7a
	s_mov_b32 s3, 0
	s_cselect_b32 s10, -1, 0
	s_branch .LBB101_4
.LBB101_2:                              ;   in Loop: Header=BB101_4 Depth=1
	s_wait_alu 0xfffe
	s_or_b32 exec_lo, exec_lo, s11
.LBB101_3:                              ;   in Loop: Header=BB101_4 Depth=1
	s_add_co_i32 s2, s2, 0x10000
	s_delay_alu instid0(SALU_CYCLE_1)
	s_cmp_lt_u32 s2, s28
	s_cbranch_scc0 .LBB101_19
.LBB101_4:                              ; =>This Inner Loop Header: Depth=1
	s_and_not1_b32 vcc_lo, exec_lo, s6
	s_wait_alu 0xfffe
	s_cbranch_vccnz .LBB101_3
; %bb.5:                                ;   in Loop: Header=BB101_4 Depth=1
	s_mov_b32 s12, s3
	s_mov_b32 s13, s3
	s_wait_alu 0xfffe
	v_dual_mov_b32 v14, s13 :: v_dual_mov_b32 v13, s12
	ds_store_b64 v2, v[13:14]
	ds_store_b64 v3, v[13:14]
	s_wait_dscnt 0x0
	s_barrier_signal -1
	s_barrier_wait -1
	global_inv scope:SCOPE_SE
	s_and_saveexec_b32 s11, s7
	s_cbranch_execnz .LBB101_11
; %bb.6:                                ;   in Loop: Header=BB101_4 Depth=1
	s_wait_alu 0xfffe
	s_or_b32 exec_lo, exec_lo, s11
	s_and_saveexec_b32 s11, s4
	s_cbranch_execnz .LBB101_12
.LBB101_7:                              ;   in Loop: Header=BB101_4 Depth=1
	s_wait_alu 0xfffe
	s_or_b32 exec_lo, exec_lo, s11
	s_and_saveexec_b32 s11, s5
.LBB101_8:                              ;   in Loop: Header=BB101_4 Depth=1
	ds_store_b64 v2, v[0:1]
.LBB101_9:                              ;   in Loop: Header=BB101_4 Depth=1
	s_wait_alu 0xfffe
	s_or_b32 exec_lo, exec_lo, s11
	s_delay_alu instid0(SALU_CYCLE_1)
	s_and_b32 vcc_lo, exec_lo, s10
	s_wait_loadcnt_dscnt 0x0
	s_barrier_signal -1
	s_barrier_wait -1
	global_inv scope:SCOPE_SE
	s_wait_alu 0xfffe
	s_cbranch_vccz .LBB101_13
; %bb.10:                               ;   in Loop: Header=BB101_4 Depth=1
	s_and_b32 s11, s0, exec_lo
	s_cbranch_execz .LBB101_14
	s_branch .LBB101_15
.LBB101_11:                             ;   in Loop: Header=BB101_4 Depth=1
	s_mul_u64 s[12:13], s[8:9], s[2:3]
	s_wait_alu 0xfffe
	s_lshl_b64 s[12:13], s[12:13], 3
	s_wait_alu 0xfffe
	v_add_co_u32 v13, vcc_lo, v5, s12
	s_wait_alu 0xfffd
	v_add_co_ci_u32_e64 v14, null, s13, v6, vcc_lo
	global_load_b64 v[13:14], v[13:14], off
	s_wait_loadcnt 0x0
	v_xor_b32_e32 v14, 0x80000000, v14
	ds_store_b64 v12, v[13:14]
	s_or_b32 exec_lo, exec_lo, s11
	s_and_saveexec_b32 s11, s4
	s_cbranch_execz .LBB101_7
.LBB101_12:                             ;   in Loop: Header=BB101_4 Depth=1
	s_mul_u64 s[12:13], s[14:15], s[2:3]
	s_wait_alu 0xfffe
	s_lshl_b64 s[12:13], s[12:13], 3
	s_wait_alu 0xfffe
	v_add_co_u32 v13, vcc_lo, v7, s12
	s_wait_alu 0xfffd
	v_add_co_ci_u32_e64 v14, null, s13, v8, vcc_lo
	global_load_b64 v[13:14], v[13:14], off
	s_wait_loadcnt 0x0
	ds_store_b64 v3, v[13:14]
	s_or_b32 exec_lo, exec_lo, s11
	s_and_saveexec_b32 s11, s5
	s_cbranch_execnz .LBB101_8
	s_branch .LBB101_9
.LBB101_13:                             ;   in Loop: Header=BB101_4 Depth=1
	s_mov_b32 s11, 0
.LBB101_14:                             ;   in Loop: Header=BB101_4 Depth=1
	s_wait_alu 0xfffe
	s_and_not1_b32 s11, s11, exec_lo
	s_and_b32 s12, s1, exec_lo
	s_wait_alu 0xfffe
	s_or_b32 s11, s11, s12
.LBB101_15:                             ;   in Loop: Header=BB101_4 Depth=1
	s_wait_alu 0xfffe
	s_and_saveexec_b32 s12, s11
; %bb.16:                               ;   in Loop: Header=BB101_4 Depth=1
	v_dual_mov_b32 v13, v1 :: v_dual_mov_b32 v14, v1
	ds_store_b64 v2, v[13:14]
; %bb.17:                               ;   in Loop: Header=BB101_4 Depth=1
	s_wait_alu 0xfffe
	s_or_b32 exec_lo, exec_lo, s12
	s_wait_loadcnt_dscnt 0x0
	s_barrier_signal -1
	s_barrier_wait -1
	global_inv scope:SCOPE_SE
	s_and_saveexec_b32 s11, s4
	s_cbranch_execz .LBB101_2
; %bb.18:                               ;   in Loop: Header=BB101_4 Depth=1
	ds_load_2addr_b64 v[13:16], v4 offset1:16
	ds_load_b128 v[17:20], v9
	ds_load_b128 v[21:24], v9 offset:16
	ds_load_2addr_b64 v[25:28], v4 offset0:32 offset1:48
	ds_load_2addr_b64 v[29:32], v4 offset0:64 offset1:80
	ds_load_b128 v[33:36], v9 offset:32
	ds_load_b128 v[37:40], v9 offset:48
	ds_load_2addr_b64 v[41:44], v4 offset0:96 offset1:112
	ds_load_2addr_b64 v[45:48], v4 offset0:128 offset1:144
	ds_load_b128 v[49:52], v9 offset:64
	;; [unrolled: 4-line block ×3, first 2 shown]
	ds_load_b128 v[69:72], v9 offset:112
	ds_load_2addr_b64 v[73:76], v4 offset0:224 offset1:240
	s_mul_u64 s[12:13], s[26:27], s[2:3]
	s_wait_alu 0xfffe
	s_lshl_b64 s[12:13], s[12:13], 3
	s_wait_dscnt 0xe
	v_dual_mul_f32 v77, v17, v14 :: v_dual_mul_f32 v78, v19, v16
	v_mul_f32_e32 v14, v18, v14
	s_wait_dscnt 0xc
	v_dual_mul_f32 v79, v21, v26 :: v_dual_mul_f32 v80, v23, v28
	s_delay_alu instid0(VALU_DEP_3) | instskip(NEXT) | instid1(VALU_DEP_2)
	v_dual_fmac_f32 v77, v18, v13 :: v_dual_fmac_f32 v78, v20, v15
	v_dual_mul_f32 v16, v20, v16 :: v_dual_fmac_f32 v79, v22, v25
	s_wait_dscnt 0xa
	v_dual_mul_f32 v81, v33, v30 :: v_dual_mul_f32 v82, v35, v32
	s_wait_dscnt 0x4
	v_dual_mul_f32 v87, v53, v58 :: v_dual_add_f32 v18, 0, v77
	v_mul_f32_e32 v77, v55, v60
	v_fma_f32 v13, v17, v13, -v14
	v_dual_mul_f32 v17, v22, v26 :: v_dual_fmac_f32 v80, v24, v27
	s_delay_alu instid0(VALU_DEP_4) | instskip(SKIP_1) | instid1(VALU_DEP_4)
	v_add_f32_e32 v14, v18, v78
	v_fma_f32 v15, v19, v15, -v16
	v_dual_add_f32 v13, 0, v13 :: v_dual_mul_f32 v16, v24, v28
	s_delay_alu instid0(VALU_DEP_4) | instskip(SKIP_1) | instid1(VALU_DEP_3)
	v_fma_f32 v17, v21, v25, -v17
	v_dual_mul_f32 v83, v37, v42 :: v_dual_mul_f32 v84, v39, v44
	v_add_f32_e32 v13, v13, v15
	v_add_f32_e32 v14, v14, v79
	v_mul_f32_e32 v15, v34, v30
	v_fma_f32 v16, v23, v27, -v16
	v_dual_fmac_f32 v81, v34, v29 :: v_dual_fmac_f32 v82, v36, v31
	v_dual_add_f32 v13, v13, v17 :: v_dual_fmac_f32 v84, v40, v43
	s_delay_alu instid0(VALU_DEP_4) | instskip(SKIP_1) | instid1(VALU_DEP_3)
	v_fma_f32 v15, v33, v29, -v15
	v_dual_mul_f32 v85, v49, v46 :: v_dual_mul_f32 v86, v51, v48
	v_add_f32_e32 v13, v13, v16
	v_add_f32_e32 v14, v14, v80
	v_mul_f32_e32 v17, v36, v32
	s_delay_alu instid0(VALU_DEP_4) | instskip(NEXT) | instid1(VALU_DEP_3)
	v_dual_fmac_f32 v83, v38, v41 :: v_dual_fmac_f32 v86, v52, v47
	v_dual_add_f32 v13, v13, v15 :: v_dual_add_f32 v14, v14, v81
	v_dual_mul_f32 v16, v38, v42 :: v_dual_mul_f32 v15, v40, v44
	s_delay_alu instid0(VALU_DEP_4) | instskip(SKIP_1) | instid1(VALU_DEP_4)
	v_fma_f32 v17, v35, v31, -v17
	v_fmac_f32_e32 v85, v50, v45
	v_add_f32_e32 v14, v14, v82
	s_delay_alu instid0(VALU_DEP_4)
	v_fma_f32 v16, v37, v41, -v16
	v_fma_f32 v15, v39, v43, -v15
	v_add_f32_e32 v13, v13, v17
	v_mul_f32_e32 v17, v50, v46
	v_add_f32_e32 v14, v14, v83
	s_wait_dscnt 0x2
	v_dual_fmac_f32 v87, v54, v57 :: v_dual_mul_f32 v18, v67, v64
	v_add_f32_e32 v13, v13, v16
	v_mul_f32_e32 v16, v52, v48
	v_add_f32_e32 v14, v14, v84
	v_fma_f32 v17, v49, v45, -v17
	v_fmac_f32_e32 v77, v56, v59
	v_add_f32_e32 v13, v13, v15
	v_dual_mul_f32 v15, v54, v58 :: v_dual_fmac_f32 v18, v68, v63
	v_add_f32_e32 v14, v14, v85
	v_fma_f32 v16, v51, v47, -v16
	s_delay_alu instid0(VALU_DEP_4) | instskip(SKIP_3) | instid1(VALU_DEP_3)
	v_add_f32_e32 v13, v13, v17
	v_mul_f32_e32 v17, v65, v62
	v_fma_f32 v15, v53, v57, -v15
	v_add_f32_e32 v14, v14, v86
	v_fmac_f32_e32 v17, v66, v61
	s_delay_alu instid0(VALU_DEP_2) | instskip(NEXT) | instid1(VALU_DEP_1)
	v_dual_add_f32 v14, v14, v87 :: v_dual_add_f32 v13, v13, v16
	v_dual_mul_f32 v16, v56, v60 :: v_dual_add_f32 v13, v13, v15
	s_delay_alu instid0(VALU_DEP_1) | instskip(SKIP_1) | instid1(VALU_DEP_2)
	v_fma_f32 v15, v55, v59, -v16
	v_mul_f32_e32 v16, v66, v62
	v_dual_add_f32 v14, v14, v77 :: v_dual_add_f32 v13, v13, v15
	s_delay_alu instid0(VALU_DEP_2) | instskip(SKIP_2) | instid1(VALU_DEP_3)
	v_fma_f32 v15, v65, v61, -v16
	v_mul_f32_e32 v16, v68, v64
	s_wait_dscnt 0x0
	v_dual_add_f32 v14, v14, v17 :: v_dual_mul_f32 v17, v69, v74
	s_delay_alu instid0(VALU_DEP_1) | instskip(NEXT) | instid1(VALU_DEP_3)
	v_dual_add_f32 v14, v14, v18 :: v_dual_add_f32 v13, v13, v15
	v_fma_f32 v15, v67, v63, -v16
	v_mul_f32_e32 v16, v70, v74
	s_delay_alu instid0(VALU_DEP_4) | instskip(NEXT) | instid1(VALU_DEP_1)
	v_dual_mul_f32 v18, v71, v76 :: v_dual_fmac_f32 v17, v70, v73
	v_fmac_f32_e32 v18, v72, v75
	s_delay_alu instid0(VALU_DEP_4) | instskip(NEXT) | instid1(VALU_DEP_4)
	v_add_f32_e32 v13, v13, v15
	v_fma_f32 v15, v69, v73, -v16
	v_mul_f32_e32 v16, v72, v76
	s_delay_alu instid0(VALU_DEP_2) | instskip(NEXT) | instid1(VALU_DEP_2)
	v_dual_add_f32 v14, v14, v17 :: v_dual_add_f32 v13, v13, v15
	v_fma_f32 v15, v71, v75, -v16
	s_delay_alu instid0(VALU_DEP_1) | instskip(NEXT) | instid1(VALU_DEP_1)
	v_dual_add_f32 v16, v14, v18 :: v_dual_add_f32 v13, v13, v15
	v_mul_f32_e32 v14, s24, v16
	s_delay_alu instid0(VALU_DEP_1) | instskip(NEXT) | instid1(VALU_DEP_1)
	v_dual_mul_f32 v15, s25, v16 :: v_dual_fmac_f32 v14, s25, v13
	v_fma_f32 v13, s24, v13, -v15
	s_wait_alu 0xfffe
	v_add_co_u32 v15, vcc_lo, v10, s12
	s_wait_alu 0xfffd
	v_add_co_ci_u32_e64 v16, null, s13, v11, vcc_lo
	global_store_b64 v[15:16], v[13:14], off
	s_branch .LBB101_2
.LBB101_19:
	s_endpgm
	.section	.rodata,"a",@progbits
	.p2align	6, 0x0
	.amdhsa_kernel _ZL23rocblas_trmm_lTx_kernelILi16ELb1E19rocblas_complex_numIfES1_KS1_S1_Ev13rocblas_fill_17rocblas_diagonal_iiT2_lPT3_llS7_llPT4_lli
		.amdhsa_group_segment_fixed_size 4096
		.amdhsa_private_segment_fixed_size 0
		.amdhsa_kernarg_size 108
		.amdhsa_user_sgpr_count 2
		.amdhsa_user_sgpr_dispatch_ptr 0
		.amdhsa_user_sgpr_queue_ptr 0
		.amdhsa_user_sgpr_kernarg_segment_ptr 1
		.amdhsa_user_sgpr_dispatch_id 0
		.amdhsa_user_sgpr_private_segment_size 0
		.amdhsa_wavefront_size32 1
		.amdhsa_uses_dynamic_stack 0
		.amdhsa_enable_private_segment 0
		.amdhsa_system_sgpr_workgroup_id_x 1
		.amdhsa_system_sgpr_workgroup_id_y 0
		.amdhsa_system_sgpr_workgroup_id_z 1
		.amdhsa_system_sgpr_workgroup_info 0
		.amdhsa_system_vgpr_workitem_id 1
		.amdhsa_next_free_vgpr 88
		.amdhsa_next_free_sgpr 30
		.amdhsa_reserve_vcc 1
		.amdhsa_float_round_mode_32 0
		.amdhsa_float_round_mode_16_64 0
		.amdhsa_float_denorm_mode_32 3
		.amdhsa_float_denorm_mode_16_64 3
		.amdhsa_fp16_overflow 0
		.amdhsa_workgroup_processor_mode 1
		.amdhsa_memory_ordered 1
		.amdhsa_forward_progress 1
		.amdhsa_inst_pref_size 14
		.amdhsa_round_robin_scheduling 0
		.amdhsa_exception_fp_ieee_invalid_op 0
		.amdhsa_exception_fp_denorm_src 0
		.amdhsa_exception_fp_ieee_div_zero 0
		.amdhsa_exception_fp_ieee_overflow 0
		.amdhsa_exception_fp_ieee_underflow 0
		.amdhsa_exception_fp_ieee_inexact 0
		.amdhsa_exception_int_div_zero 0
	.end_amdhsa_kernel
	.section	.text._ZL23rocblas_trmm_lTx_kernelILi16ELb1E19rocblas_complex_numIfES1_KS1_S1_Ev13rocblas_fill_17rocblas_diagonal_iiT2_lPT3_llS7_llPT4_lli,"axG",@progbits,_ZL23rocblas_trmm_lTx_kernelILi16ELb1E19rocblas_complex_numIfES1_KS1_S1_Ev13rocblas_fill_17rocblas_diagonal_iiT2_lPT3_llS7_llPT4_lli,comdat
.Lfunc_end101:
	.size	_ZL23rocblas_trmm_lTx_kernelILi16ELb1E19rocblas_complex_numIfES1_KS1_S1_Ev13rocblas_fill_17rocblas_diagonal_iiT2_lPT3_llS7_llPT4_lli, .Lfunc_end101-_ZL23rocblas_trmm_lTx_kernelILi16ELb1E19rocblas_complex_numIfES1_KS1_S1_Ev13rocblas_fill_17rocblas_diagonal_iiT2_lPT3_llS7_llPT4_lli
                                        ; -- End function
	.set _ZL23rocblas_trmm_lTx_kernelILi16ELb1E19rocblas_complex_numIfES1_KS1_S1_Ev13rocblas_fill_17rocblas_diagonal_iiT2_lPT3_llS7_llPT4_lli.num_vgpr, 88
	.set _ZL23rocblas_trmm_lTx_kernelILi16ELb1E19rocblas_complex_numIfES1_KS1_S1_Ev13rocblas_fill_17rocblas_diagonal_iiT2_lPT3_llS7_llPT4_lli.num_agpr, 0
	.set _ZL23rocblas_trmm_lTx_kernelILi16ELb1E19rocblas_complex_numIfES1_KS1_S1_Ev13rocblas_fill_17rocblas_diagonal_iiT2_lPT3_llS7_llPT4_lli.numbered_sgpr, 30
	.set _ZL23rocblas_trmm_lTx_kernelILi16ELb1E19rocblas_complex_numIfES1_KS1_S1_Ev13rocblas_fill_17rocblas_diagonal_iiT2_lPT3_llS7_llPT4_lli.num_named_barrier, 0
	.set _ZL23rocblas_trmm_lTx_kernelILi16ELb1E19rocblas_complex_numIfES1_KS1_S1_Ev13rocblas_fill_17rocblas_diagonal_iiT2_lPT3_llS7_llPT4_lli.private_seg_size, 0
	.set _ZL23rocblas_trmm_lTx_kernelILi16ELb1E19rocblas_complex_numIfES1_KS1_S1_Ev13rocblas_fill_17rocblas_diagonal_iiT2_lPT3_llS7_llPT4_lli.uses_vcc, 1
	.set _ZL23rocblas_trmm_lTx_kernelILi16ELb1E19rocblas_complex_numIfES1_KS1_S1_Ev13rocblas_fill_17rocblas_diagonal_iiT2_lPT3_llS7_llPT4_lli.uses_flat_scratch, 0
	.set _ZL23rocblas_trmm_lTx_kernelILi16ELb1E19rocblas_complex_numIfES1_KS1_S1_Ev13rocblas_fill_17rocblas_diagonal_iiT2_lPT3_llS7_llPT4_lli.has_dyn_sized_stack, 0
	.set _ZL23rocblas_trmm_lTx_kernelILi16ELb1E19rocblas_complex_numIfES1_KS1_S1_Ev13rocblas_fill_17rocblas_diagonal_iiT2_lPT3_llS7_llPT4_lli.has_recursion, 0
	.set _ZL23rocblas_trmm_lTx_kernelILi16ELb1E19rocblas_complex_numIfES1_KS1_S1_Ev13rocblas_fill_17rocblas_diagonal_iiT2_lPT3_llS7_llPT4_lli.has_indirect_call, 0
	.section	.AMDGPU.csdata,"",@progbits
; Kernel info:
; codeLenInByte = 1728
; TotalNumSgprs: 32
; NumVgprs: 88
; ScratchSize: 0
; MemoryBound: 0
; FloatMode: 240
; IeeeMode: 1
; LDSByteSize: 4096 bytes/workgroup (compile time only)
; SGPRBlocks: 0
; VGPRBlocks: 10
; NumSGPRsForWavesPerEU: 32
; NumVGPRsForWavesPerEU: 88
; Occupancy: 16
; WaveLimiterHint : 0
; COMPUTE_PGM_RSRC2:SCRATCH_EN: 0
; COMPUTE_PGM_RSRC2:USER_SGPR: 2
; COMPUTE_PGM_RSRC2:TRAP_HANDLER: 0
; COMPUTE_PGM_RSRC2:TGID_X_EN: 1
; COMPUTE_PGM_RSRC2:TGID_Y_EN: 0
; COMPUTE_PGM_RSRC2:TGID_Z_EN: 1
; COMPUTE_PGM_RSRC2:TIDIG_COMP_CNT: 1
	.section	.text._ZL23rocblas_trmm_rNx_kernelILi16E19rocblas_complex_numIfEPKS1_S2_S1_Ev13rocblas_fill_17rocblas_diagonal_iiT1_lPT2_llS8_llPT3_lli,"axG",@progbits,_ZL23rocblas_trmm_rNx_kernelILi16E19rocblas_complex_numIfEPKS1_S2_S1_Ev13rocblas_fill_17rocblas_diagonal_iiT1_lPT2_llS8_llPT3_lli,comdat
	.globl	_ZL23rocblas_trmm_rNx_kernelILi16E19rocblas_complex_numIfEPKS1_S2_S1_Ev13rocblas_fill_17rocblas_diagonal_iiT1_lPT2_llS8_llPT3_lli ; -- Begin function _ZL23rocblas_trmm_rNx_kernelILi16E19rocblas_complex_numIfEPKS1_S2_S1_Ev13rocblas_fill_17rocblas_diagonal_iiT1_lPT2_llS8_llPT3_lli
	.p2align	8
	.type	_ZL23rocblas_trmm_rNx_kernelILi16E19rocblas_complex_numIfEPKS1_S2_S1_Ev13rocblas_fill_17rocblas_diagonal_iiT1_lPT2_llS8_llPT3_lli,@function
_ZL23rocblas_trmm_rNx_kernelILi16E19rocblas_complex_numIfEPKS1_S2_S1_Ev13rocblas_fill_17rocblas_diagonal_iiT1_lPT2_llS8_llPT3_lli: ; @_ZL23rocblas_trmm_rNx_kernelILi16E19rocblas_complex_numIfEPKS1_S2_S1_Ev13rocblas_fill_17rocblas_diagonal_iiT1_lPT2_llS8_llPT3_lli
; %bb.0:
	s_load_b32 s3, s[0:1], 0x68
	s_lshr_b32 s28, ttmp7, 16
	s_wait_kmcnt 0x0
	s_cmp_ge_u32 s28, s3
	s_cbranch_scc1 .LBB102_19
; %bb.1:
	s_clause 0x3
	s_load_b128 s[20:23], s[0:1], 0x0
	s_load_b512 s[4:19], s[0:1], 0x10
	s_load_b128 s[24:27], s[0:1], 0x50
	s_load_b64 s[30:31], s[0:1], 0x60
	v_bfe_u32 v15, v0, 10, 10
	v_dual_mov_b32 v1, 0 :: v_dual_and_b32 v0, 0x3ff, v0
	s_mov_b32 s29, 0
	s_wait_kmcnt 0x0
	s_add_co_i32 s0, s22, -1
	v_mad_co_u64_u32 v[6:7], null, s10, v15, 0
	v_mad_co_u64_u32 v[8:9], null, s16, v15, 0
	;; [unrolled: 1-line block ×3, first 2 shown]
	s_ashr_i32 s1, s0, 31
	v_cmp_gt_i32_e32 vcc_lo, s23, v15
	s_lshr_b32 s1, s1, 28
	v_mad_co_u64_u32 v[12:13], null, s11, v15, v[7:8]
	s_add_co_i32 s1, s0, s1
	v_mad_co_u64_u32 v[13:14], null, s17, v15, v[9:10]
	s_ashr_i32 s2, s1, 4
	s_and_b32 s1, s1, -16
	v_dual_mov_b32 v7, v12 :: v_dual_lshlrev_b32 v2, 4, v15
	v_cmp_gt_i32_e64 s0, s23, v0
	s_sub_co_i32 s1, s22, s1
	s_cmp_ge_i32 ttmp9, s2
	v_mov_b32_e32 v9, v13
	s_cselect_b32 s1, s1, 16
	v_lshlrev_b64_e32 v[6:7], 3, v[6:7]
	s_and_b32 s10, vcc_lo, s0
	v_cmp_gt_i32_e64 s0, s1, v0
	v_add_lshl_u32 v4, v2, v0, 3
	v_lshlrev_b64_e32 v[2:3], 3, v[0:1]
	s_lshl_b32 s16, ttmp9, 4
	v_mad_co_u64_u32 v[11:12], null, s27, v15, v[11:12]
	s_and_b32 s11, vcc_lo, s0
	v_add_co_u32 v6, vcc_lo, s8, v6
	s_wait_alu 0xfffe
	s_ashr_i32 s17, s16, 31
	v_lshlrev_b64_e32 v[8:9], 3, v[8:9]
	v_add_co_ci_u32_e64 v7, null, s9, v7, vcc_lo
	s_wait_alu 0xfffe
	s_lshl_b64 s[16:17], s[16:17], 3
	v_add_co_u32 v6, vcc_lo, v6, v2
	s_wait_alu 0xfffe
	s_add_nc_u64 s[14:15], s[14:15], s[16:17]
	s_wait_alu 0xfffd
	v_add_co_ci_u32_e64 v7, null, v7, v3, vcc_lo
	v_add_co_u32 v8, vcc_lo, s14, v8
	v_lshlrev_b64_e32 v[11:12], 3, v[10:11]
	s_wait_alu 0xfffd
	v_add_co_ci_u32_e64 v9, null, s15, v9, vcc_lo
	v_cmp_eq_u32_e32 vcc_lo, v15, v0
	s_cmp_eq_u32 s21, 0x84
	s_add_nc_u64 s[16:17], s[24:25], s[16:17]
	s_cselect_b32 s1, -1, 0
	v_add_co_u32 v8, s0, v8, v2
	s_wait_alu 0xf1ff
	v_add_co_ci_u32_e64 v9, null, v9, v3, s0
	s_wait_alu 0xfffe
	s_and_b32 s8, vcc_lo, s1
	v_cmp_lt_u32_e64 s0, v0, v15
	v_cmp_gt_u32_e64 s1, v0, v15
	v_lshl_add_u32 v10, v0, 3, 0x800
	v_add_co_u32 v0, vcc_lo, s16, v11
	s_wait_alu 0xfffd
	v_add_co_ci_u32_e64 v13, null, s17, v12, vcc_lo
	v_add_nc_u32_e32 v5, 0x800, v4
	s_delay_alu instid0(VALU_DEP_3)
	v_add_co_u32 v12, vcc_lo, v0, v2
	v_lshlrev_b32_e32 v11, 7, v15
	s_wait_alu 0xfffd
	v_add_co_ci_u32_e64 v13, null, v13, v3, vcc_lo
	v_mov_b32_e32 v0, 1.0
	s_cmp_lg_u32 s20, 0x79
	s_cselect_b32 s9, -1, 0
	s_branch .LBB102_4
.LBB102_2:                              ;   in Loop: Header=BB102_4 Depth=1
	s_or_b32 exec_lo, exec_lo, s2
.LBB102_3:                              ;   in Loop: Header=BB102_4 Depth=1
	s_add_co_i32 s28, s28, 0x10000
	s_delay_alu instid0(SALU_CYCLE_1)
	s_cmp_lt_u32 s28, s3
	s_cbranch_scc0 .LBB102_19
.LBB102_4:                              ; =>This Inner Loop Header: Depth=1
	s_mul_u64 s[14:15], s[6:7], s[28:29]
	s_wait_alu 0xfffe
	s_lshl_b64 s[14:15], s[14:15], 3
	s_wait_alu 0xfffe
	s_add_nc_u64 s[14:15], s[4:5], s[14:15]
	global_load_b64 v[2:3], v1, s[14:15]
	s_wait_loadcnt 0x0
	v_cmp_neq_f32_e32 vcc_lo, 0, v2
	v_cmp_neq_f32_e64 s2, 0, v3
	s_or_b32 s2, vcc_lo, s2
	s_delay_alu instid0(SALU_CYCLE_1)
	s_and_not1_b32 vcc_lo, exec_lo, s2
	s_wait_alu 0xfffe
	s_cbranch_vccnz .LBB102_3
; %bb.5:                                ;   in Loop: Header=BB102_4 Depth=1
	s_mov_b32 s14, s29
	s_mov_b32 s15, s29
	s_wait_alu 0xfffe
	v_dual_mov_b32 v14, s14 :: v_dual_mov_b32 v15, s15
	ds_store_b64 v4, v[14:15]
	ds_store_b64 v5, v[14:15]
	s_and_saveexec_b32 s2, s10
	s_cbranch_execnz .LBB102_10
; %bb.6:                                ;   in Loop: Header=BB102_4 Depth=1
	s_or_b32 exec_lo, exec_lo, s2
	s_and_saveexec_b32 s2, s11
	s_cbranch_execnz .LBB102_11
.LBB102_7:                              ;   in Loop: Header=BB102_4 Depth=1
	s_or_b32 exec_lo, exec_lo, s2
	s_and_saveexec_b32 s2, s8
	s_cbranch_execnz .LBB102_12
.LBB102_8:                              ;   in Loop: Header=BB102_4 Depth=1
	s_or_b32 exec_lo, exec_lo, s2
	s_delay_alu instid0(SALU_CYCLE_1)
	s_and_b32 vcc_lo, exec_lo, s9
	s_wait_alu 0xfffe
	s_cbranch_vccz .LBB102_13
.LBB102_9:                              ;   in Loop: Header=BB102_4 Depth=1
	s_and_b32 s2, s0, exec_lo
	s_cbranch_execz .LBB102_14
	s_branch .LBB102_15
.LBB102_10:                             ;   in Loop: Header=BB102_4 Depth=1
	s_mul_u64 s[14:15], s[12:13], s[28:29]
	s_wait_alu 0xfffe
	s_lshl_b64 s[14:15], s[14:15], 3
	s_wait_alu 0xfffe
	v_add_co_u32 v14, vcc_lo, v6, s14
	s_wait_alu 0xfffd
	v_add_co_ci_u32_e64 v15, null, s15, v7, vcc_lo
	global_load_b64 v[14:15], v[14:15], off
	s_wait_loadcnt 0x0
	ds_store_b64 v4, v[14:15]
	s_or_b32 exec_lo, exec_lo, s2
	s_and_saveexec_b32 s2, s11
	s_cbranch_execz .LBB102_7
.LBB102_11:                             ;   in Loop: Header=BB102_4 Depth=1
	s_mul_u64 s[14:15], s[18:19], s[28:29]
	s_wait_alu 0xfffe
	s_lshl_b64 s[14:15], s[14:15], 3
	s_wait_alu 0xfffe
	v_add_co_u32 v14, vcc_lo, v8, s14
	s_wait_alu 0xfffd
	v_add_co_ci_u32_e64 v15, null, s15, v9, vcc_lo
	global_load_b64 v[14:15], v[14:15], off
	s_wait_loadcnt 0x0
	ds_store_b64 v5, v[14:15]
	s_or_b32 exec_lo, exec_lo, s2
	s_and_saveexec_b32 s2, s8
	s_cbranch_execz .LBB102_8
.LBB102_12:                             ;   in Loop: Header=BB102_4 Depth=1
	ds_store_b64 v4, v[0:1]
	s_or_b32 exec_lo, exec_lo, s2
	s_delay_alu instid0(SALU_CYCLE_1)
	s_and_b32 vcc_lo, exec_lo, s9
	s_wait_alu 0xfffe
	s_cbranch_vccnz .LBB102_9
.LBB102_13:                             ;   in Loop: Header=BB102_4 Depth=1
	s_mov_b32 s2, 0
.LBB102_14:                             ;   in Loop: Header=BB102_4 Depth=1
	s_delay_alu instid0(SALU_CYCLE_1)
	s_and_not1_b32 s2, s2, exec_lo
	s_and_b32 s14, s1, exec_lo
	s_wait_alu 0xfffe
	s_or_b32 s2, s2, s14
.LBB102_15:                             ;   in Loop: Header=BB102_4 Depth=1
	s_delay_alu instid0(SALU_CYCLE_1)
	s_and_saveexec_b32 s14, s2
; %bb.16:                               ;   in Loop: Header=BB102_4 Depth=1
	v_dual_mov_b32 v14, v1 :: v_dual_mov_b32 v15, v1
	ds_store_b64 v4, v[14:15]
; %bb.17:                               ;   in Loop: Header=BB102_4 Depth=1
	s_wait_alu 0xfffe
	s_or_b32 exec_lo, exec_lo, s14
	s_wait_dscnt 0x0
	s_barrier_signal -1
	s_barrier_wait -1
	global_inv scope:SCOPE_SE
	s_and_saveexec_b32 s2, s11
	s_cbranch_execz .LBB102_2
; %bb.18:                               ;   in Loop: Header=BB102_4 Depth=1
	ds_load_2addr_b64 v[14:17], v10 offset1:16
	ds_load_b128 v[18:21], v11
	ds_load_b128 v[22:25], v11 offset:16
	ds_load_2addr_b64 v[26:29], v10 offset0:32 offset1:48
	ds_load_2addr_b64 v[30:33], v10 offset0:64 offset1:80
	ds_load_b128 v[34:37], v11 offset:32
	ds_load_b128 v[38:41], v11 offset:48
	ds_load_2addr_b64 v[42:45], v10 offset0:96 offset1:112
	ds_load_2addr_b64 v[46:49], v10 offset0:128 offset1:144
	ds_load_b128 v[50:53], v11 offset:64
	;; [unrolled: 4-line block ×3, first 2 shown]
	ds_load_b128 v[70:73], v11 offset:112
	ds_load_2addr_b64 v[74:77], v10 offset0:224 offset1:240
	s_mul_u64 s[14:15], s[30:31], s[28:29]
	s_wait_alu 0xfffe
	s_lshl_b64 s[14:15], s[14:15], 3
	s_wait_dscnt 0xe
	v_dual_mul_f32 v78, v18, v15 :: v_dual_mul_f32 v79, v20, v17
	v_mul_f32_e32 v15, v19, v15
	s_wait_dscnt 0xc
	v_dual_mul_f32 v80, v22, v27 :: v_dual_mul_f32 v81, v24, v29
	s_delay_alu instid0(VALU_DEP_3) | instskip(NEXT) | instid1(VALU_DEP_2)
	v_dual_fmac_f32 v78, v19, v14 :: v_dual_fmac_f32 v79, v21, v16
	v_dual_mul_f32 v17, v21, v17 :: v_dual_fmac_f32 v80, v23, v26
	s_wait_dscnt 0xa
	v_dual_mul_f32 v82, v34, v31 :: v_dual_mul_f32 v83, v36, v33
	s_wait_dscnt 0x4
	v_dual_mul_f32 v88, v54, v59 :: v_dual_add_f32 v19, 0, v78
	v_mul_f32_e32 v78, v56, v61
	v_fma_f32 v14, v18, v14, -v15
	v_dual_mul_f32 v18, v23, v27 :: v_dual_fmac_f32 v81, v25, v28
	s_delay_alu instid0(VALU_DEP_4) | instskip(SKIP_1) | instid1(VALU_DEP_4)
	v_add_f32_e32 v15, v19, v79
	v_fma_f32 v16, v20, v16, -v17
	v_dual_add_f32 v14, 0, v14 :: v_dual_mul_f32 v17, v25, v29
	s_delay_alu instid0(VALU_DEP_4) | instskip(SKIP_1) | instid1(VALU_DEP_3)
	v_fma_f32 v18, v22, v26, -v18
	v_dual_mul_f32 v84, v38, v43 :: v_dual_mul_f32 v85, v40, v45
	v_add_f32_e32 v14, v14, v16
	v_add_f32_e32 v15, v15, v80
	v_mul_f32_e32 v16, v35, v31
	v_fma_f32 v17, v24, v28, -v17
	v_dual_fmac_f32 v82, v35, v30 :: v_dual_fmac_f32 v83, v37, v32
	v_dual_add_f32 v14, v14, v18 :: v_dual_fmac_f32 v85, v41, v44
	s_delay_alu instid0(VALU_DEP_4) | instskip(SKIP_1) | instid1(VALU_DEP_3)
	v_fma_f32 v16, v34, v30, -v16
	v_dual_mul_f32 v86, v50, v47 :: v_dual_mul_f32 v87, v52, v49
	v_add_f32_e32 v14, v14, v17
	v_add_f32_e32 v15, v15, v81
	v_mul_f32_e32 v18, v37, v33
	s_delay_alu instid0(VALU_DEP_4) | instskip(NEXT) | instid1(VALU_DEP_3)
	v_dual_fmac_f32 v84, v39, v42 :: v_dual_fmac_f32 v87, v53, v48
	v_dual_add_f32 v14, v14, v16 :: v_dual_add_f32 v15, v15, v82
	v_dual_mul_f32 v17, v39, v43 :: v_dual_mul_f32 v16, v41, v45
	s_delay_alu instid0(VALU_DEP_4) | instskip(SKIP_1) | instid1(VALU_DEP_4)
	v_fma_f32 v18, v36, v32, -v18
	v_fmac_f32_e32 v86, v51, v46
	v_add_f32_e32 v15, v15, v83
	s_delay_alu instid0(VALU_DEP_4)
	v_fma_f32 v17, v38, v42, -v17
	v_fma_f32 v16, v40, v44, -v16
	v_add_f32_e32 v14, v14, v18
	v_mul_f32_e32 v18, v51, v47
	v_add_f32_e32 v15, v15, v84
	s_wait_dscnt 0x2
	v_dual_fmac_f32 v88, v55, v58 :: v_dual_mul_f32 v19, v68, v65
	v_add_f32_e32 v14, v14, v17
	v_mul_f32_e32 v17, v53, v49
	v_add_f32_e32 v15, v15, v85
	v_fma_f32 v18, v50, v46, -v18
	v_fmac_f32_e32 v78, v57, v60
	v_add_f32_e32 v14, v14, v16
	v_dual_mul_f32 v16, v55, v59 :: v_dual_fmac_f32 v19, v69, v64
	v_add_f32_e32 v15, v15, v86
	v_fma_f32 v17, v52, v48, -v17
	s_delay_alu instid0(VALU_DEP_4) | instskip(SKIP_3) | instid1(VALU_DEP_3)
	v_add_f32_e32 v14, v14, v18
	v_mul_f32_e32 v18, v66, v63
	v_fma_f32 v16, v54, v58, -v16
	v_add_f32_e32 v15, v15, v87
	v_fmac_f32_e32 v18, v67, v62
	s_delay_alu instid0(VALU_DEP_2) | instskip(NEXT) | instid1(VALU_DEP_1)
	v_dual_add_f32 v15, v15, v88 :: v_dual_add_f32 v14, v14, v17
	v_dual_mul_f32 v17, v57, v61 :: v_dual_add_f32 v14, v14, v16
	s_delay_alu instid0(VALU_DEP_1) | instskip(SKIP_1) | instid1(VALU_DEP_2)
	v_fma_f32 v16, v56, v60, -v17
	v_mul_f32_e32 v17, v67, v63
	v_dual_add_f32 v15, v15, v78 :: v_dual_add_f32 v14, v14, v16
	s_delay_alu instid0(VALU_DEP_2) | instskip(SKIP_2) | instid1(VALU_DEP_3)
	v_fma_f32 v16, v66, v62, -v17
	v_mul_f32_e32 v17, v69, v65
	s_wait_dscnt 0x0
	v_dual_add_f32 v15, v15, v18 :: v_dual_mul_f32 v18, v70, v75
	s_delay_alu instid0(VALU_DEP_1) | instskip(NEXT) | instid1(VALU_DEP_3)
	v_dual_add_f32 v15, v15, v19 :: v_dual_add_f32 v14, v14, v16
	v_fma_f32 v16, v68, v64, -v17
	v_mul_f32_e32 v17, v71, v75
	s_delay_alu instid0(VALU_DEP_4) | instskip(NEXT) | instid1(VALU_DEP_1)
	v_dual_mul_f32 v19, v72, v77 :: v_dual_fmac_f32 v18, v71, v74
	v_fmac_f32_e32 v19, v73, v76
	s_delay_alu instid0(VALU_DEP_4) | instskip(NEXT) | instid1(VALU_DEP_4)
	v_add_f32_e32 v14, v14, v16
	v_fma_f32 v16, v70, v74, -v17
	v_mul_f32_e32 v17, v73, v77
	s_delay_alu instid0(VALU_DEP_2) | instskip(NEXT) | instid1(VALU_DEP_2)
	v_dual_add_f32 v15, v15, v18 :: v_dual_add_f32 v14, v14, v16
	v_fma_f32 v16, v72, v76, -v17
	s_delay_alu instid0(VALU_DEP_1) | instskip(NEXT) | instid1(VALU_DEP_1)
	v_dual_add_f32 v17, v15, v19 :: v_dual_add_f32 v14, v14, v16
	v_mul_f32_e32 v15, v2, v17
	v_mul_f32_e32 v16, v3, v17
	s_delay_alu instid0(VALU_DEP_2) | instskip(NEXT) | instid1(VALU_DEP_2)
	v_fmac_f32_e32 v15, v3, v14
	v_fma_f32 v14, v2, v14, -v16
	s_wait_alu 0xfffe
	v_add_co_u32 v2, vcc_lo, v12, s14
	s_wait_alu 0xfffd
	v_add_co_ci_u32_e64 v3, null, s15, v13, vcc_lo
	global_store_b64 v[2:3], v[14:15], off
	s_branch .LBB102_2
.LBB102_19:
	s_endpgm
	.section	.rodata,"a",@progbits
	.p2align	6, 0x0
	.amdhsa_kernel _ZL23rocblas_trmm_rNx_kernelILi16E19rocblas_complex_numIfEPKS1_S2_S1_Ev13rocblas_fill_17rocblas_diagonal_iiT1_lPT2_llS8_llPT3_lli
		.amdhsa_group_segment_fixed_size 4096
		.amdhsa_private_segment_fixed_size 0
		.amdhsa_kernarg_size 108
		.amdhsa_user_sgpr_count 2
		.amdhsa_user_sgpr_dispatch_ptr 0
		.amdhsa_user_sgpr_queue_ptr 0
		.amdhsa_user_sgpr_kernarg_segment_ptr 1
		.amdhsa_user_sgpr_dispatch_id 0
		.amdhsa_user_sgpr_private_segment_size 0
		.amdhsa_wavefront_size32 1
		.amdhsa_uses_dynamic_stack 0
		.amdhsa_enable_private_segment 0
		.amdhsa_system_sgpr_workgroup_id_x 1
		.amdhsa_system_sgpr_workgroup_id_y 0
		.amdhsa_system_sgpr_workgroup_id_z 1
		.amdhsa_system_sgpr_workgroup_info 0
		.amdhsa_system_vgpr_workitem_id 1
		.amdhsa_next_free_vgpr 89
		.amdhsa_next_free_sgpr 32
		.amdhsa_reserve_vcc 1
		.amdhsa_float_round_mode_32 0
		.amdhsa_float_round_mode_16_64 0
		.amdhsa_float_denorm_mode_32 3
		.amdhsa_float_denorm_mode_16_64 3
		.amdhsa_fp16_overflow 0
		.amdhsa_workgroup_processor_mode 1
		.amdhsa_memory_ordered 1
		.amdhsa_forward_progress 1
		.amdhsa_inst_pref_size 14
		.amdhsa_round_robin_scheduling 0
		.amdhsa_exception_fp_ieee_invalid_op 0
		.amdhsa_exception_fp_denorm_src 0
		.amdhsa_exception_fp_ieee_div_zero 0
		.amdhsa_exception_fp_ieee_overflow 0
		.amdhsa_exception_fp_ieee_underflow 0
		.amdhsa_exception_fp_ieee_inexact 0
		.amdhsa_exception_int_div_zero 0
	.end_amdhsa_kernel
	.section	.text._ZL23rocblas_trmm_rNx_kernelILi16E19rocblas_complex_numIfEPKS1_S2_S1_Ev13rocblas_fill_17rocblas_diagonal_iiT1_lPT2_llS8_llPT3_lli,"axG",@progbits,_ZL23rocblas_trmm_rNx_kernelILi16E19rocblas_complex_numIfEPKS1_S2_S1_Ev13rocblas_fill_17rocblas_diagonal_iiT1_lPT2_llS8_llPT3_lli,comdat
.Lfunc_end102:
	.size	_ZL23rocblas_trmm_rNx_kernelILi16E19rocblas_complex_numIfEPKS1_S2_S1_Ev13rocblas_fill_17rocblas_diagonal_iiT1_lPT2_llS8_llPT3_lli, .Lfunc_end102-_ZL23rocblas_trmm_rNx_kernelILi16E19rocblas_complex_numIfEPKS1_S2_S1_Ev13rocblas_fill_17rocblas_diagonal_iiT1_lPT2_llS8_llPT3_lli
                                        ; -- End function
	.set _ZL23rocblas_trmm_rNx_kernelILi16E19rocblas_complex_numIfEPKS1_S2_S1_Ev13rocblas_fill_17rocblas_diagonal_iiT1_lPT2_llS8_llPT3_lli.num_vgpr, 89
	.set _ZL23rocblas_trmm_rNx_kernelILi16E19rocblas_complex_numIfEPKS1_S2_S1_Ev13rocblas_fill_17rocblas_diagonal_iiT1_lPT2_llS8_llPT3_lli.num_agpr, 0
	.set _ZL23rocblas_trmm_rNx_kernelILi16E19rocblas_complex_numIfEPKS1_S2_S1_Ev13rocblas_fill_17rocblas_diagonal_iiT1_lPT2_llS8_llPT3_lli.numbered_sgpr, 32
	.set _ZL23rocblas_trmm_rNx_kernelILi16E19rocblas_complex_numIfEPKS1_S2_S1_Ev13rocblas_fill_17rocblas_diagonal_iiT1_lPT2_llS8_llPT3_lli.num_named_barrier, 0
	.set _ZL23rocblas_trmm_rNx_kernelILi16E19rocblas_complex_numIfEPKS1_S2_S1_Ev13rocblas_fill_17rocblas_diagonal_iiT1_lPT2_llS8_llPT3_lli.private_seg_size, 0
	.set _ZL23rocblas_trmm_rNx_kernelILi16E19rocblas_complex_numIfEPKS1_S2_S1_Ev13rocblas_fill_17rocblas_diagonal_iiT1_lPT2_llS8_llPT3_lli.uses_vcc, 1
	.set _ZL23rocblas_trmm_rNx_kernelILi16E19rocblas_complex_numIfEPKS1_S2_S1_Ev13rocblas_fill_17rocblas_diagonal_iiT1_lPT2_llS8_llPT3_lli.uses_flat_scratch, 0
	.set _ZL23rocblas_trmm_rNx_kernelILi16E19rocblas_complex_numIfEPKS1_S2_S1_Ev13rocblas_fill_17rocblas_diagonal_iiT1_lPT2_llS8_llPT3_lli.has_dyn_sized_stack, 0
	.set _ZL23rocblas_trmm_rNx_kernelILi16E19rocblas_complex_numIfEPKS1_S2_S1_Ev13rocblas_fill_17rocblas_diagonal_iiT1_lPT2_llS8_llPT3_lli.has_recursion, 0
	.set _ZL23rocblas_trmm_rNx_kernelILi16E19rocblas_complex_numIfEPKS1_S2_S1_Ev13rocblas_fill_17rocblas_diagonal_iiT1_lPT2_llS8_llPT3_lli.has_indirect_call, 0
	.section	.AMDGPU.csdata,"",@progbits
; Kernel info:
; codeLenInByte = 1668
; TotalNumSgprs: 34
; NumVgprs: 89
; ScratchSize: 0
; MemoryBound: 0
; FloatMode: 240
; IeeeMode: 1
; LDSByteSize: 4096 bytes/workgroup (compile time only)
; SGPRBlocks: 0
; VGPRBlocks: 11
; NumSGPRsForWavesPerEU: 34
; NumVGPRsForWavesPerEU: 89
; Occupancy: 16
; WaveLimiterHint : 0
; COMPUTE_PGM_RSRC2:SCRATCH_EN: 0
; COMPUTE_PGM_RSRC2:USER_SGPR: 2
; COMPUTE_PGM_RSRC2:TRAP_HANDLER: 0
; COMPUTE_PGM_RSRC2:TGID_X_EN: 1
; COMPUTE_PGM_RSRC2:TGID_Y_EN: 0
; COMPUTE_PGM_RSRC2:TGID_Z_EN: 1
; COMPUTE_PGM_RSRC2:TIDIG_COMP_CNT: 1
	.section	.text._ZL23rocblas_trmm_rNx_kernelILi16E19rocblas_complex_numIfES1_KS1_S1_Ev13rocblas_fill_17rocblas_diagonal_iiT1_lPT2_llS7_llPT3_lli,"axG",@progbits,_ZL23rocblas_trmm_rNx_kernelILi16E19rocblas_complex_numIfES1_KS1_S1_Ev13rocblas_fill_17rocblas_diagonal_iiT1_lPT2_llS7_llPT3_lli,comdat
	.globl	_ZL23rocblas_trmm_rNx_kernelILi16E19rocblas_complex_numIfES1_KS1_S1_Ev13rocblas_fill_17rocblas_diagonal_iiT1_lPT2_llS7_llPT3_lli ; -- Begin function _ZL23rocblas_trmm_rNx_kernelILi16E19rocblas_complex_numIfES1_KS1_S1_Ev13rocblas_fill_17rocblas_diagonal_iiT1_lPT2_llS7_llPT3_lli
	.p2align	8
	.type	_ZL23rocblas_trmm_rNx_kernelILi16E19rocblas_complex_numIfES1_KS1_S1_Ev13rocblas_fill_17rocblas_diagonal_iiT1_lPT2_llS7_llPT3_lli,@function
_ZL23rocblas_trmm_rNx_kernelILi16E19rocblas_complex_numIfES1_KS1_S1_Ev13rocblas_fill_17rocblas_diagonal_iiT1_lPT2_llS7_llPT3_lli: ; @_ZL23rocblas_trmm_rNx_kernelILi16E19rocblas_complex_numIfES1_KS1_S1_Ev13rocblas_fill_17rocblas_diagonal_iiT1_lPT2_llS7_llPT3_lli
; %bb.0:
	s_load_b32 s28, s[0:1], 0x68
	s_lshr_b32 s2, ttmp7, 16
	s_wait_kmcnt 0x0
	s_cmp_ge_u32 s2, s28
	s_cbranch_scc1 .LBB103_19
; %bb.1:
	s_clause 0x2
	s_load_b64 s[24:25], s[0:1], 0x10
	s_load_b128 s[20:23], s[0:1], 0x0
	s_load_b512 s[4:19], s[0:1], 0x20
	v_bfe_u32 v15, v0, 10, 10
	s_load_b64 s[26:27], s[0:1], 0x60
	v_dual_mov_b32 v1, 0 :: v_dual_and_b32 v0, 0x3ff, v0
	s_delay_alu instid0(VALU_DEP_1)
	v_lshlrev_b64_e32 v[10:11], 3, v[0:1]
	s_wait_kmcnt 0x0
	s_cmp_neq_f32 s24, 0
	v_cmp_gt_i32_e32 vcc_lo, s23, v15
	v_mad_co_u64_u32 v[4:5], null, s6, v15, 0
	v_mad_co_u64_u32 v[6:7], null, s12, v15, 0
	;; [unrolled: 1-line block ×3, first 2 shown]
	s_cselect_b32 s1, -1, 0
	s_cmp_neq_f32 s25, 0
	v_cmp_gt_i32_e64 s0, s23, v0
	v_mad_co_u64_u32 v[12:13], null, s7, v15, v[5:6]
	s_cselect_b32 s3, -1, 0
	s_add_co_i32 s12, s22, -1
	v_mad_co_u64_u32 v[13:14], null, s13, v15, v[7:8]
	s_wait_alu 0xfffe
	s_ashr_i32 s18, s12, 31
	s_or_b32 s6, s1, s3
	s_wait_alu 0xfffe
	s_lshr_b32 s1, s18, 28
	v_dual_mov_b32 v5, v12 :: v_dual_lshlrev_b32 v2, 4, v15
	s_add_co_i32 s12, s12, s1
	v_mov_b32_e32 v7, v13
	s_wait_alu 0xfffe
	s_and_b32 s1, s12, -16
	s_ashr_i32 s3, s12, 4
	s_sub_co_i32 s1, s22, s1
	s_cmp_ge_i32 ttmp9, s3
	v_mad_co_u64_u32 v[12:13], null, s19, v15, v[9:10]
	s_cselect_b32 s1, s1, 16
	s_lshl_b32 s12, ttmp9, 4
	v_lshlrev_b64_e32 v[4:5], 3, v[4:5]
	s_wait_alu 0xfffe
	s_ashr_i32 s13, s12, 31
	v_lshlrev_b64_e32 v[6:7], 3, v[6:7]
	s_and_b32 s7, vcc_lo, s0
	v_cmp_gt_i32_e64 s0, s1, v0
	s_wait_alu 0xfffe
	s_lshl_b64 s[12:13], s[12:13], 3
	v_mov_b32_e32 v9, v12
	s_wait_alu 0xfffe
	s_add_nc_u64 s[10:11], s[10:11], s[12:13]
	v_add_co_u32 v4, s1, s4, v4
	s_and_b32 s4, vcc_lo, s0
	v_add_co_u32 v6, vcc_lo, s10, v6
	s_delay_alu instid0(VALU_DEP_1)
	v_add_co_ci_u32_e64 v7, null, s11, v7, vcc_lo
	v_lshlrev_b64_e32 v[12:13], 3, v[8:9]
	v_add_co_ci_u32_e64 v5, null, s5, v5, s1
	v_cmp_eq_u32_e32 vcc_lo, v15, v0
	s_cmp_eq_u32 s21, 0x84
	v_add_co_u32 v6, s0, v6, v10
	s_add_nc_u64 s[12:13], s[16:17], s[12:13]
	v_add_co_u32 v4, s1, v4, v10
	v_add_co_ci_u32_e64 v7, null, v7, v11, s0
	s_cselect_b32 s0, -1, 0
	v_add_lshl_u32 v2, v2, v0, 3
	s_wait_alu 0xf1ff
	v_add_co_ci_u32_e64 v5, null, v5, v11, s1
	s_wait_alu 0xfffe
	s_and_b32 s5, vcc_lo, s0
	v_cmp_lt_u32_e64 s0, v0, v15
	v_cmp_gt_u32_e64 s1, v0, v15
	v_lshl_add_u32 v8, v0, 3, 0x800
	v_add_co_u32 v0, vcc_lo, s12, v12
	s_wait_alu 0xfffd
	v_add_co_ci_u32_e64 v12, null, s13, v13, vcc_lo
	v_add_nc_u32_e32 v3, 0x800, v2
	s_delay_alu instid0(VALU_DEP_3)
	v_add_co_u32 v10, vcc_lo, v0, v10
	v_lshlrev_b32_e32 v9, 7, v15
	s_wait_alu 0xfffd
	v_add_co_ci_u32_e64 v11, null, v12, v11, vcc_lo
	v_mov_b32_e32 v0, 1.0
	s_cmp_lg_u32 s20, 0x79
	s_mov_b32 s3, 0
	s_cselect_b32 s10, -1, 0
	s_branch .LBB103_4
.LBB103_2:                              ;   in Loop: Header=BB103_4 Depth=1
	s_wait_alu 0xfffe
	s_or_b32 exec_lo, exec_lo, s11
.LBB103_3:                              ;   in Loop: Header=BB103_4 Depth=1
	s_add_co_i32 s2, s2, 0x10000
	s_delay_alu instid0(SALU_CYCLE_1)
	s_cmp_lt_u32 s2, s28
	s_cbranch_scc0 .LBB103_19
.LBB103_4:                              ; =>This Inner Loop Header: Depth=1
	s_and_not1_b32 vcc_lo, exec_lo, s6
	s_wait_alu 0xfffe
	s_cbranch_vccnz .LBB103_3
; %bb.5:                                ;   in Loop: Header=BB103_4 Depth=1
	s_mov_b32 s12, s3
	s_mov_b32 s13, s3
	s_wait_alu 0xfffe
	v_dual_mov_b32 v12, s12 :: v_dual_mov_b32 v13, s13
	ds_store_b64 v2, v[12:13]
	ds_store_b64 v3, v[12:13]
	s_and_saveexec_b32 s11, s7
	s_cbranch_execnz .LBB103_10
; %bb.6:                                ;   in Loop: Header=BB103_4 Depth=1
	s_wait_alu 0xfffe
	s_or_b32 exec_lo, exec_lo, s11
	s_and_saveexec_b32 s11, s4
	s_cbranch_execnz .LBB103_11
.LBB103_7:                              ;   in Loop: Header=BB103_4 Depth=1
	s_wait_alu 0xfffe
	s_or_b32 exec_lo, exec_lo, s11
	s_and_saveexec_b32 s11, s5
	s_cbranch_execnz .LBB103_12
.LBB103_8:                              ;   in Loop: Header=BB103_4 Depth=1
	s_wait_alu 0xfffe
	s_or_b32 exec_lo, exec_lo, s11
	s_delay_alu instid0(SALU_CYCLE_1)
	s_and_b32 vcc_lo, exec_lo, s10
	s_wait_alu 0xfffe
	s_cbranch_vccz .LBB103_13
.LBB103_9:                              ;   in Loop: Header=BB103_4 Depth=1
	s_and_b32 s11, s0, exec_lo
	s_cbranch_execz .LBB103_14
	s_branch .LBB103_15
.LBB103_10:                             ;   in Loop: Header=BB103_4 Depth=1
	s_mul_u64 s[12:13], s[8:9], s[2:3]
	s_wait_alu 0xfffe
	s_lshl_b64 s[12:13], s[12:13], 3
	s_wait_alu 0xfffe
	v_add_co_u32 v12, vcc_lo, v4, s12
	s_wait_alu 0xfffd
	v_add_co_ci_u32_e64 v13, null, s13, v5, vcc_lo
	global_load_b64 v[12:13], v[12:13], off
	s_wait_loadcnt 0x0
	ds_store_b64 v2, v[12:13]
	s_or_b32 exec_lo, exec_lo, s11
	s_and_saveexec_b32 s11, s4
	s_cbranch_execz .LBB103_7
.LBB103_11:                             ;   in Loop: Header=BB103_4 Depth=1
	s_mul_u64 s[12:13], s[14:15], s[2:3]
	s_wait_alu 0xfffe
	s_lshl_b64 s[12:13], s[12:13], 3
	s_wait_alu 0xfffe
	v_add_co_u32 v12, vcc_lo, v6, s12
	s_wait_alu 0xfffd
	v_add_co_ci_u32_e64 v13, null, s13, v7, vcc_lo
	global_load_b64 v[12:13], v[12:13], off
	s_wait_loadcnt 0x0
	ds_store_b64 v3, v[12:13]
	s_or_b32 exec_lo, exec_lo, s11
	s_and_saveexec_b32 s11, s5
	s_cbranch_execz .LBB103_8
.LBB103_12:                             ;   in Loop: Header=BB103_4 Depth=1
	ds_store_b64 v2, v[0:1]
	s_wait_alu 0xfffe
	s_or_b32 exec_lo, exec_lo, s11
	s_delay_alu instid0(SALU_CYCLE_1)
	s_and_b32 vcc_lo, exec_lo, s10
	s_wait_alu 0xfffe
	s_cbranch_vccnz .LBB103_9
.LBB103_13:                             ;   in Loop: Header=BB103_4 Depth=1
	s_mov_b32 s11, 0
.LBB103_14:                             ;   in Loop: Header=BB103_4 Depth=1
	s_wait_alu 0xfffe
	s_and_not1_b32 s11, s11, exec_lo
	s_and_b32 s12, s1, exec_lo
	s_wait_alu 0xfffe
	s_or_b32 s11, s11, s12
.LBB103_15:                             ;   in Loop: Header=BB103_4 Depth=1
	s_wait_alu 0xfffe
	s_and_saveexec_b32 s12, s11
; %bb.16:                               ;   in Loop: Header=BB103_4 Depth=1
	v_dual_mov_b32 v12, v1 :: v_dual_mov_b32 v13, v1
	ds_store_b64 v2, v[12:13]
; %bb.17:                               ;   in Loop: Header=BB103_4 Depth=1
	s_wait_alu 0xfffe
	s_or_b32 exec_lo, exec_lo, s12
	s_wait_dscnt 0x0
	s_barrier_signal -1
	s_barrier_wait -1
	global_inv scope:SCOPE_SE
	s_and_saveexec_b32 s11, s4
	s_cbranch_execz .LBB103_2
; %bb.18:                               ;   in Loop: Header=BB103_4 Depth=1
	ds_load_2addr_b64 v[12:15], v8 offset1:16
	ds_load_b128 v[16:19], v9
	ds_load_b128 v[20:23], v9 offset:16
	ds_load_2addr_b64 v[24:27], v8 offset0:32 offset1:48
	ds_load_2addr_b64 v[28:31], v8 offset0:64 offset1:80
	ds_load_b128 v[32:35], v9 offset:32
	ds_load_b128 v[36:39], v9 offset:48
	ds_load_2addr_b64 v[40:43], v8 offset0:96 offset1:112
	ds_load_2addr_b64 v[44:47], v8 offset0:128 offset1:144
	ds_load_b128 v[48:51], v9 offset:64
	;; [unrolled: 4-line block ×3, first 2 shown]
	ds_load_b128 v[68:71], v9 offset:112
	ds_load_2addr_b64 v[72:75], v8 offset0:224 offset1:240
	s_mul_u64 s[12:13], s[26:27], s[2:3]
	s_wait_alu 0xfffe
	s_lshl_b64 s[12:13], s[12:13], 3
	s_wait_dscnt 0xe
	v_dual_mul_f32 v76, v16, v13 :: v_dual_mul_f32 v77, v18, v15
	v_mul_f32_e32 v13, v17, v13
	s_wait_dscnt 0xc
	v_dual_mul_f32 v78, v20, v25 :: v_dual_mul_f32 v79, v22, v27
	s_delay_alu instid0(VALU_DEP_3) | instskip(NEXT) | instid1(VALU_DEP_2)
	v_dual_fmac_f32 v76, v17, v12 :: v_dual_fmac_f32 v77, v19, v14
	v_dual_mul_f32 v15, v19, v15 :: v_dual_fmac_f32 v78, v21, v24
	s_wait_dscnt 0xa
	v_dual_mul_f32 v80, v32, v29 :: v_dual_mul_f32 v81, v34, v31
	s_wait_dscnt 0x4
	v_dual_mul_f32 v86, v52, v57 :: v_dual_add_f32 v17, 0, v76
	v_mul_f32_e32 v76, v54, v59
	v_fma_f32 v12, v16, v12, -v13
	v_dual_mul_f32 v16, v21, v25 :: v_dual_fmac_f32 v79, v23, v26
	s_delay_alu instid0(VALU_DEP_4) | instskip(SKIP_1) | instid1(VALU_DEP_4)
	v_add_f32_e32 v13, v17, v77
	v_fma_f32 v14, v18, v14, -v15
	v_dual_add_f32 v12, 0, v12 :: v_dual_mul_f32 v15, v23, v27
	s_delay_alu instid0(VALU_DEP_4) | instskip(SKIP_1) | instid1(VALU_DEP_3)
	v_fma_f32 v16, v20, v24, -v16
	v_dual_mul_f32 v82, v36, v41 :: v_dual_mul_f32 v83, v38, v43
	v_add_f32_e32 v12, v12, v14
	v_add_f32_e32 v13, v13, v78
	v_mul_f32_e32 v14, v33, v29
	v_fma_f32 v15, v22, v26, -v15
	v_dual_fmac_f32 v80, v33, v28 :: v_dual_fmac_f32 v81, v35, v30
	v_dual_add_f32 v12, v12, v16 :: v_dual_fmac_f32 v83, v39, v42
	s_delay_alu instid0(VALU_DEP_4) | instskip(SKIP_1) | instid1(VALU_DEP_3)
	v_fma_f32 v14, v32, v28, -v14
	v_dual_mul_f32 v84, v48, v45 :: v_dual_mul_f32 v85, v50, v47
	v_add_f32_e32 v12, v12, v15
	v_add_f32_e32 v13, v13, v79
	v_mul_f32_e32 v16, v35, v31
	s_delay_alu instid0(VALU_DEP_4) | instskip(NEXT) | instid1(VALU_DEP_3)
	v_dual_fmac_f32 v82, v37, v40 :: v_dual_fmac_f32 v85, v51, v46
	v_dual_add_f32 v12, v12, v14 :: v_dual_add_f32 v13, v13, v80
	v_dual_mul_f32 v15, v37, v41 :: v_dual_mul_f32 v14, v39, v43
	s_delay_alu instid0(VALU_DEP_4) | instskip(SKIP_1) | instid1(VALU_DEP_4)
	v_fma_f32 v16, v34, v30, -v16
	v_fmac_f32_e32 v84, v49, v44
	v_add_f32_e32 v13, v13, v81
	s_delay_alu instid0(VALU_DEP_4)
	v_fma_f32 v15, v36, v40, -v15
	v_fma_f32 v14, v38, v42, -v14
	v_add_f32_e32 v12, v12, v16
	v_mul_f32_e32 v16, v49, v45
	v_add_f32_e32 v13, v13, v82
	s_wait_dscnt 0x2
	v_dual_fmac_f32 v86, v53, v56 :: v_dual_mul_f32 v17, v66, v63
	v_add_f32_e32 v12, v12, v15
	v_mul_f32_e32 v15, v51, v47
	v_add_f32_e32 v13, v13, v83
	v_fma_f32 v16, v48, v44, -v16
	v_fmac_f32_e32 v76, v55, v58
	v_add_f32_e32 v12, v12, v14
	v_dual_mul_f32 v14, v53, v57 :: v_dual_fmac_f32 v17, v67, v62
	v_add_f32_e32 v13, v13, v84
	v_fma_f32 v15, v50, v46, -v15
	s_delay_alu instid0(VALU_DEP_4) | instskip(SKIP_3) | instid1(VALU_DEP_3)
	v_add_f32_e32 v12, v12, v16
	v_mul_f32_e32 v16, v64, v61
	v_fma_f32 v14, v52, v56, -v14
	v_add_f32_e32 v13, v13, v85
	v_fmac_f32_e32 v16, v65, v60
	s_delay_alu instid0(VALU_DEP_2) | instskip(NEXT) | instid1(VALU_DEP_1)
	v_dual_add_f32 v13, v13, v86 :: v_dual_add_f32 v12, v12, v15
	v_dual_mul_f32 v15, v55, v59 :: v_dual_add_f32 v12, v12, v14
	s_delay_alu instid0(VALU_DEP_1) | instskip(SKIP_1) | instid1(VALU_DEP_2)
	v_fma_f32 v14, v54, v58, -v15
	v_mul_f32_e32 v15, v65, v61
	v_dual_add_f32 v13, v13, v76 :: v_dual_add_f32 v12, v12, v14
	s_delay_alu instid0(VALU_DEP_2) | instskip(SKIP_2) | instid1(VALU_DEP_3)
	v_fma_f32 v14, v64, v60, -v15
	v_mul_f32_e32 v15, v67, v63
	s_wait_dscnt 0x0
	v_dual_add_f32 v13, v13, v16 :: v_dual_mul_f32 v16, v68, v73
	s_delay_alu instid0(VALU_DEP_1) | instskip(NEXT) | instid1(VALU_DEP_3)
	v_dual_add_f32 v13, v13, v17 :: v_dual_add_f32 v12, v12, v14
	v_fma_f32 v14, v66, v62, -v15
	v_mul_f32_e32 v15, v69, v73
	s_delay_alu instid0(VALU_DEP_4) | instskip(NEXT) | instid1(VALU_DEP_1)
	v_dual_mul_f32 v17, v70, v75 :: v_dual_fmac_f32 v16, v69, v72
	v_fmac_f32_e32 v17, v71, v74
	s_delay_alu instid0(VALU_DEP_4) | instskip(NEXT) | instid1(VALU_DEP_4)
	v_add_f32_e32 v12, v12, v14
	v_fma_f32 v14, v68, v72, -v15
	v_mul_f32_e32 v15, v71, v75
	s_delay_alu instid0(VALU_DEP_2) | instskip(NEXT) | instid1(VALU_DEP_2)
	v_dual_add_f32 v13, v13, v16 :: v_dual_add_f32 v12, v12, v14
	v_fma_f32 v14, v70, v74, -v15
	s_delay_alu instid0(VALU_DEP_1) | instskip(NEXT) | instid1(VALU_DEP_1)
	v_dual_add_f32 v15, v13, v17 :: v_dual_add_f32 v12, v12, v14
	v_mul_f32_e32 v13, s24, v15
	s_delay_alu instid0(VALU_DEP_1) | instskip(NEXT) | instid1(VALU_DEP_1)
	v_dual_mul_f32 v14, s25, v15 :: v_dual_fmac_f32 v13, s25, v12
	v_fma_f32 v12, s24, v12, -v14
	s_wait_alu 0xfffe
	v_add_co_u32 v14, vcc_lo, v10, s12
	s_wait_alu 0xfffd
	v_add_co_ci_u32_e64 v15, null, s13, v11, vcc_lo
	global_store_b64 v[14:15], v[12:13], off
	s_branch .LBB103_2
.LBB103_19:
	s_endpgm
	.section	.rodata,"a",@progbits
	.p2align	6, 0x0
	.amdhsa_kernel _ZL23rocblas_trmm_rNx_kernelILi16E19rocblas_complex_numIfES1_KS1_S1_Ev13rocblas_fill_17rocblas_diagonal_iiT1_lPT2_llS7_llPT3_lli
		.amdhsa_group_segment_fixed_size 4096
		.amdhsa_private_segment_fixed_size 0
		.amdhsa_kernarg_size 108
		.amdhsa_user_sgpr_count 2
		.amdhsa_user_sgpr_dispatch_ptr 0
		.amdhsa_user_sgpr_queue_ptr 0
		.amdhsa_user_sgpr_kernarg_segment_ptr 1
		.amdhsa_user_sgpr_dispatch_id 0
		.amdhsa_user_sgpr_private_segment_size 0
		.amdhsa_wavefront_size32 1
		.amdhsa_uses_dynamic_stack 0
		.amdhsa_enable_private_segment 0
		.amdhsa_system_sgpr_workgroup_id_x 1
		.amdhsa_system_sgpr_workgroup_id_y 0
		.amdhsa_system_sgpr_workgroup_id_z 1
		.amdhsa_system_sgpr_workgroup_info 0
		.amdhsa_system_vgpr_workitem_id 1
		.amdhsa_next_free_vgpr 87
		.amdhsa_next_free_sgpr 29
		.amdhsa_reserve_vcc 1
		.amdhsa_float_round_mode_32 0
		.amdhsa_float_round_mode_16_64 0
		.amdhsa_float_denorm_mode_32 3
		.amdhsa_float_denorm_mode_16_64 3
		.amdhsa_fp16_overflow 0
		.amdhsa_workgroup_processor_mode 1
		.amdhsa_memory_ordered 1
		.amdhsa_forward_progress 1
		.amdhsa_inst_pref_size 14
		.amdhsa_round_robin_scheduling 0
		.amdhsa_exception_fp_ieee_invalid_op 0
		.amdhsa_exception_fp_denorm_src 0
		.amdhsa_exception_fp_ieee_div_zero 0
		.amdhsa_exception_fp_ieee_overflow 0
		.amdhsa_exception_fp_ieee_underflow 0
		.amdhsa_exception_fp_ieee_inexact 0
		.amdhsa_exception_int_div_zero 0
	.end_amdhsa_kernel
	.section	.text._ZL23rocblas_trmm_rNx_kernelILi16E19rocblas_complex_numIfES1_KS1_S1_Ev13rocblas_fill_17rocblas_diagonal_iiT1_lPT2_llS7_llPT3_lli,"axG",@progbits,_ZL23rocblas_trmm_rNx_kernelILi16E19rocblas_complex_numIfES1_KS1_S1_Ev13rocblas_fill_17rocblas_diagonal_iiT1_lPT2_llS7_llPT3_lli,comdat
.Lfunc_end103:
	.size	_ZL23rocblas_trmm_rNx_kernelILi16E19rocblas_complex_numIfES1_KS1_S1_Ev13rocblas_fill_17rocblas_diagonal_iiT1_lPT2_llS7_llPT3_lli, .Lfunc_end103-_ZL23rocblas_trmm_rNx_kernelILi16E19rocblas_complex_numIfES1_KS1_S1_Ev13rocblas_fill_17rocblas_diagonal_iiT1_lPT2_llS7_llPT3_lli
                                        ; -- End function
	.set _ZL23rocblas_trmm_rNx_kernelILi16E19rocblas_complex_numIfES1_KS1_S1_Ev13rocblas_fill_17rocblas_diagonal_iiT1_lPT2_llS7_llPT3_lli.num_vgpr, 87
	.set _ZL23rocblas_trmm_rNx_kernelILi16E19rocblas_complex_numIfES1_KS1_S1_Ev13rocblas_fill_17rocblas_diagonal_iiT1_lPT2_llS7_llPT3_lli.num_agpr, 0
	.set _ZL23rocblas_trmm_rNx_kernelILi16E19rocblas_complex_numIfES1_KS1_S1_Ev13rocblas_fill_17rocblas_diagonal_iiT1_lPT2_llS7_llPT3_lli.numbered_sgpr, 29
	.set _ZL23rocblas_trmm_rNx_kernelILi16E19rocblas_complex_numIfES1_KS1_S1_Ev13rocblas_fill_17rocblas_diagonal_iiT1_lPT2_llS7_llPT3_lli.num_named_barrier, 0
	.set _ZL23rocblas_trmm_rNx_kernelILi16E19rocblas_complex_numIfES1_KS1_S1_Ev13rocblas_fill_17rocblas_diagonal_iiT1_lPT2_llS7_llPT3_lli.private_seg_size, 0
	.set _ZL23rocblas_trmm_rNx_kernelILi16E19rocblas_complex_numIfES1_KS1_S1_Ev13rocblas_fill_17rocblas_diagonal_iiT1_lPT2_llS7_llPT3_lli.uses_vcc, 1
	.set _ZL23rocblas_trmm_rNx_kernelILi16E19rocblas_complex_numIfES1_KS1_S1_Ev13rocblas_fill_17rocblas_diagonal_iiT1_lPT2_llS7_llPT3_lli.uses_flat_scratch, 0
	.set _ZL23rocblas_trmm_rNx_kernelILi16E19rocblas_complex_numIfES1_KS1_S1_Ev13rocblas_fill_17rocblas_diagonal_iiT1_lPT2_llS7_llPT3_lli.has_dyn_sized_stack, 0
	.set _ZL23rocblas_trmm_rNx_kernelILi16E19rocblas_complex_numIfES1_KS1_S1_Ev13rocblas_fill_17rocblas_diagonal_iiT1_lPT2_llS7_llPT3_lli.has_recursion, 0
	.set _ZL23rocblas_trmm_rNx_kernelILi16E19rocblas_complex_numIfES1_KS1_S1_Ev13rocblas_fill_17rocblas_diagonal_iiT1_lPT2_llS7_llPT3_lli.has_indirect_call, 0
	.section	.AMDGPU.csdata,"",@progbits
; Kernel info:
; codeLenInByte = 1668
; TotalNumSgprs: 31
; NumVgprs: 87
; ScratchSize: 0
; MemoryBound: 0
; FloatMode: 240
; IeeeMode: 1
; LDSByteSize: 4096 bytes/workgroup (compile time only)
; SGPRBlocks: 0
; VGPRBlocks: 10
; NumSGPRsForWavesPerEU: 31
; NumVGPRsForWavesPerEU: 87
; Occupancy: 16
; WaveLimiterHint : 0
; COMPUTE_PGM_RSRC2:SCRATCH_EN: 0
; COMPUTE_PGM_RSRC2:USER_SGPR: 2
; COMPUTE_PGM_RSRC2:TRAP_HANDLER: 0
; COMPUTE_PGM_RSRC2:TGID_X_EN: 1
; COMPUTE_PGM_RSRC2:TGID_Y_EN: 0
; COMPUTE_PGM_RSRC2:TGID_Z_EN: 1
; COMPUTE_PGM_RSRC2:TIDIG_COMP_CNT: 1
	.section	.text._ZL23rocblas_trmm_rTx_kernelILi16ELb0E19rocblas_complex_numIfEPKS1_S2_S1_Ev13rocblas_fill_17rocblas_diagonal_iiT2_lPT3_llS8_llPT4_lli,"axG",@progbits,_ZL23rocblas_trmm_rTx_kernelILi16ELb0E19rocblas_complex_numIfEPKS1_S2_S1_Ev13rocblas_fill_17rocblas_diagonal_iiT2_lPT3_llS8_llPT4_lli,comdat
	.globl	_ZL23rocblas_trmm_rTx_kernelILi16ELb0E19rocblas_complex_numIfEPKS1_S2_S1_Ev13rocblas_fill_17rocblas_diagonal_iiT2_lPT3_llS8_llPT4_lli ; -- Begin function _ZL23rocblas_trmm_rTx_kernelILi16ELb0E19rocblas_complex_numIfEPKS1_S2_S1_Ev13rocblas_fill_17rocblas_diagonal_iiT2_lPT3_llS8_llPT4_lli
	.p2align	8
	.type	_ZL23rocblas_trmm_rTx_kernelILi16ELb0E19rocblas_complex_numIfEPKS1_S2_S1_Ev13rocblas_fill_17rocblas_diagonal_iiT2_lPT3_llS8_llPT4_lli,@function
_ZL23rocblas_trmm_rTx_kernelILi16ELb0E19rocblas_complex_numIfEPKS1_S2_S1_Ev13rocblas_fill_17rocblas_diagonal_iiT2_lPT3_llS8_llPT4_lli: ; @_ZL23rocblas_trmm_rTx_kernelILi16ELb0E19rocblas_complex_numIfEPKS1_S2_S1_Ev13rocblas_fill_17rocblas_diagonal_iiT2_lPT3_llS8_llPT4_lli
; %bb.0:
	s_load_b32 s3, s[0:1], 0x68
	s_lshr_b32 s28, ttmp7, 16
	s_wait_kmcnt 0x0
	s_cmp_ge_u32 s28, s3
	s_cbranch_scc1 .LBB104_19
; %bb.1:
	s_clause 0x3
	s_load_b128 s[20:23], s[0:1], 0x0
	s_load_b512 s[4:19], s[0:1], 0x10
	s_load_b128 s[24:27], s[0:1], 0x50
	s_load_b64 s[30:31], s[0:1], 0x60
	v_bfe_u32 v15, v0, 10, 10
	v_dual_mov_b32 v1, 0 :: v_dual_and_b32 v0, 0x3ff, v0
	s_mov_b32 s29, 0
	s_wait_kmcnt 0x0
	s_add_co_i32 s0, s22, -1
	v_mad_co_u64_u32 v[6:7], null, s10, v15, 0
	v_mad_co_u64_u32 v[8:9], null, s16, v15, 0
	;; [unrolled: 1-line block ×3, first 2 shown]
	s_ashr_i32 s1, s0, 31
	v_cmp_gt_i32_e32 vcc_lo, s23, v15
	s_lshr_b32 s1, s1, 28
	v_mad_co_u64_u32 v[12:13], null, s11, v15, v[7:8]
	s_add_co_i32 s1, s0, s1
	v_mad_co_u64_u32 v[13:14], null, s17, v15, v[9:10]
	s_ashr_i32 s2, s1, 4
	s_and_b32 s1, s1, -16
	v_dual_mov_b32 v7, v12 :: v_dual_lshlrev_b32 v2, 4, v15
	v_cmp_gt_i32_e64 s0, s23, v0
	s_sub_co_i32 s1, s22, s1
	s_cmp_ge_i32 ttmp9, s2
	v_mov_b32_e32 v9, v13
	s_cselect_b32 s1, s1, 16
	v_lshlrev_b64_e32 v[6:7], 3, v[6:7]
	s_and_b32 s10, vcc_lo, s0
	v_cmp_gt_i32_e64 s0, s1, v0
	v_add_lshl_u32 v4, v2, v0, 3
	v_lshlrev_b64_e32 v[2:3], 3, v[0:1]
	s_lshl_b32 s16, ttmp9, 4
	v_mad_co_u64_u32 v[11:12], null, s27, v15, v[11:12]
	s_and_b32 s11, vcc_lo, s0
	v_add_co_u32 v6, vcc_lo, s8, v6
	s_wait_alu 0xfffe
	s_ashr_i32 s17, s16, 31
	v_lshlrev_b64_e32 v[8:9], 3, v[8:9]
	v_add_co_ci_u32_e64 v7, null, s9, v7, vcc_lo
	s_wait_alu 0xfffe
	s_lshl_b64 s[16:17], s[16:17], 3
	v_add_co_u32 v6, vcc_lo, v6, v2
	s_wait_alu 0xfffe
	s_add_nc_u64 s[14:15], s[14:15], s[16:17]
	s_wait_alu 0xfffd
	v_add_co_ci_u32_e64 v7, null, v7, v3, vcc_lo
	v_add_co_u32 v8, vcc_lo, s14, v8
	v_lshlrev_b64_e32 v[11:12], 3, v[10:11]
	s_wait_alu 0xfffd
	v_add_co_ci_u32_e64 v9, null, s15, v9, vcc_lo
	v_cmp_eq_u32_e32 vcc_lo, v15, v0
	s_cmp_eq_u32 s21, 0x84
	s_add_nc_u64 s[16:17], s[24:25], s[16:17]
	s_cselect_b32 s1, -1, 0
	v_add_co_u32 v8, s0, v8, v2
	s_wait_alu 0xf1ff
	v_add_co_ci_u32_e64 v9, null, v9, v3, s0
	s_wait_alu 0xfffe
	s_and_b32 s8, vcc_lo, s1
	v_cmp_lt_u32_e64 s0, v0, v15
	v_cmp_gt_u32_e64 s1, v0, v15
	v_lshl_add_u32 v10, v0, 3, 0x800
	v_add_co_u32 v0, vcc_lo, s16, v11
	s_wait_alu 0xfffd
	v_add_co_ci_u32_e64 v13, null, s17, v12, vcc_lo
	v_add_nc_u32_e32 v5, 0x800, v4
	s_delay_alu instid0(VALU_DEP_3)
	v_add_co_u32 v12, vcc_lo, v0, v2
	v_lshlrev_b32_e32 v11, 3, v15
	s_wait_alu 0xfffd
	v_add_co_ci_u32_e64 v13, null, v13, v3, vcc_lo
	v_mov_b32_e32 v0, 1.0
	s_cmp_lg_u32 s20, 0x79
	s_cselect_b32 s9, -1, 0
	s_branch .LBB104_4
.LBB104_2:                              ;   in Loop: Header=BB104_4 Depth=1
	s_or_b32 exec_lo, exec_lo, s2
.LBB104_3:                              ;   in Loop: Header=BB104_4 Depth=1
	s_add_co_i32 s28, s28, 0x10000
	s_delay_alu instid0(SALU_CYCLE_1)
	s_cmp_lt_u32 s28, s3
	s_cbranch_scc0 .LBB104_19
.LBB104_4:                              ; =>This Inner Loop Header: Depth=1
	s_mul_u64 s[14:15], s[6:7], s[28:29]
	s_wait_alu 0xfffe
	s_lshl_b64 s[14:15], s[14:15], 3
	s_wait_alu 0xfffe
	s_add_nc_u64 s[14:15], s[4:5], s[14:15]
	global_load_b64 v[2:3], v1, s[14:15]
	s_wait_loadcnt 0x0
	v_cmp_neq_f32_e32 vcc_lo, 0, v2
	v_cmp_neq_f32_e64 s2, 0, v3
	s_or_b32 s2, vcc_lo, s2
	s_delay_alu instid0(SALU_CYCLE_1)
	s_and_not1_b32 vcc_lo, exec_lo, s2
	s_wait_alu 0xfffe
	s_cbranch_vccnz .LBB104_3
; %bb.5:                                ;   in Loop: Header=BB104_4 Depth=1
	s_mov_b32 s14, s29
	s_mov_b32 s15, s29
	s_wait_alu 0xfffe
	v_dual_mov_b32 v14, s14 :: v_dual_mov_b32 v15, s15
	ds_store_b64 v4, v[14:15]
	ds_store_b64 v5, v[14:15]
	s_and_saveexec_b32 s2, s10
	s_cbranch_execnz .LBB104_10
; %bb.6:                                ;   in Loop: Header=BB104_4 Depth=1
	s_or_b32 exec_lo, exec_lo, s2
	s_and_saveexec_b32 s2, s11
	s_cbranch_execnz .LBB104_11
.LBB104_7:                              ;   in Loop: Header=BB104_4 Depth=1
	s_or_b32 exec_lo, exec_lo, s2
	s_and_saveexec_b32 s2, s8
	s_cbranch_execnz .LBB104_12
.LBB104_8:                              ;   in Loop: Header=BB104_4 Depth=1
	s_or_b32 exec_lo, exec_lo, s2
	s_delay_alu instid0(SALU_CYCLE_1)
	s_and_b32 vcc_lo, exec_lo, s9
	s_wait_alu 0xfffe
	s_cbranch_vccz .LBB104_13
.LBB104_9:                              ;   in Loop: Header=BB104_4 Depth=1
	s_and_b32 s2, s0, exec_lo
	s_cbranch_execz .LBB104_14
	s_branch .LBB104_15
.LBB104_10:                             ;   in Loop: Header=BB104_4 Depth=1
	s_mul_u64 s[14:15], s[12:13], s[28:29]
	s_wait_alu 0xfffe
	s_lshl_b64 s[14:15], s[14:15], 3
	s_wait_alu 0xfffe
	v_add_co_u32 v14, vcc_lo, v6, s14
	s_wait_alu 0xfffd
	v_add_co_ci_u32_e64 v15, null, s15, v7, vcc_lo
	global_load_b64 v[14:15], v[14:15], off
	s_wait_loadcnt 0x0
	ds_store_b64 v4, v[14:15]
	s_or_b32 exec_lo, exec_lo, s2
	s_and_saveexec_b32 s2, s11
	s_cbranch_execz .LBB104_7
.LBB104_11:                             ;   in Loop: Header=BB104_4 Depth=1
	s_mul_u64 s[14:15], s[18:19], s[28:29]
	s_wait_alu 0xfffe
	s_lshl_b64 s[14:15], s[14:15], 3
	s_wait_alu 0xfffe
	v_add_co_u32 v14, vcc_lo, v8, s14
	s_wait_alu 0xfffd
	v_add_co_ci_u32_e64 v15, null, s15, v9, vcc_lo
	global_load_b64 v[14:15], v[14:15], off
	s_wait_loadcnt 0x0
	ds_store_b64 v5, v[14:15]
	s_or_b32 exec_lo, exec_lo, s2
	s_and_saveexec_b32 s2, s8
	s_cbranch_execz .LBB104_8
.LBB104_12:                             ;   in Loop: Header=BB104_4 Depth=1
	ds_store_b64 v4, v[0:1]
	s_or_b32 exec_lo, exec_lo, s2
	s_delay_alu instid0(SALU_CYCLE_1)
	s_and_b32 vcc_lo, exec_lo, s9
	s_wait_alu 0xfffe
	s_cbranch_vccnz .LBB104_9
.LBB104_13:                             ;   in Loop: Header=BB104_4 Depth=1
	s_mov_b32 s2, 0
.LBB104_14:                             ;   in Loop: Header=BB104_4 Depth=1
	s_delay_alu instid0(SALU_CYCLE_1)
	s_and_not1_b32 s2, s2, exec_lo
	s_and_b32 s14, s1, exec_lo
	s_wait_alu 0xfffe
	s_or_b32 s2, s2, s14
.LBB104_15:                             ;   in Loop: Header=BB104_4 Depth=1
	s_delay_alu instid0(SALU_CYCLE_1)
	s_and_saveexec_b32 s14, s2
; %bb.16:                               ;   in Loop: Header=BB104_4 Depth=1
	v_dual_mov_b32 v14, v1 :: v_dual_mov_b32 v15, v1
	ds_store_b64 v4, v[14:15]
; %bb.17:                               ;   in Loop: Header=BB104_4 Depth=1
	s_wait_alu 0xfffe
	s_or_b32 exec_lo, exec_lo, s14
	s_wait_dscnt 0x0
	s_barrier_signal -1
	s_barrier_wait -1
	global_inv scope:SCOPE_SE
	s_and_saveexec_b32 s2, s11
	s_cbranch_execz .LBB104_2
; %bb.18:                               ;   in Loop: Header=BB104_4 Depth=1
	ds_load_2addr_b64 v[14:17], v11 offset1:16
	ds_load_2addr_b64 v[18:21], v10 offset1:16
	ds_load_2addr_b64 v[22:25], v11 offset0:32 offset1:48
	ds_load_2addr_b64 v[26:29], v10 offset0:32 offset1:48
	ds_load_2addr_b64 v[30:33], v11 offset0:64 offset1:80
	ds_load_2addr_b64 v[34:37], v10 offset0:64 offset1:80
	ds_load_2addr_b64 v[38:41], v11 offset0:96 offset1:112
	ds_load_2addr_b64 v[42:45], v10 offset0:96 offset1:112
	ds_load_2addr_b64 v[46:49], v11 offset0:128 offset1:144
	ds_load_2addr_b64 v[50:53], v10 offset0:128 offset1:144
	ds_load_2addr_b64 v[54:57], v11 offset0:160 offset1:176
	ds_load_2addr_b64 v[58:61], v10 offset0:160 offset1:176
	ds_load_2addr_b64 v[62:65], v11 offset0:192 offset1:208
	ds_load_2addr_b64 v[66:69], v10 offset0:192 offset1:208
	ds_load_2addr_b64 v[70:73], v11 offset0:224 offset1:240
	ds_load_2addr_b64 v[74:77], v10 offset0:224 offset1:240
	s_mul_u64 s[14:15], s[30:31], s[28:29]
	s_wait_alu 0xfffe
	s_lshl_b64 s[14:15], s[14:15], 3
	s_wait_dscnt 0xe
	v_dual_mul_f32 v78, v14, v19 :: v_dual_mul_f32 v79, v16, v21
	s_wait_dscnt 0xc
	v_dual_mul_f32 v80, v22, v27 :: v_dual_mul_f32 v81, v24, v29
	;; [unrolled: 2-line block ×3, first 2 shown]
	v_dual_fmac_f32 v78, v15, v18 :: v_dual_fmac_f32 v79, v17, v20
	v_mul_f32_e32 v15, v15, v19
	v_dual_mul_f32 v17, v17, v21 :: v_dual_fmac_f32 v80, v23, v26
	s_wait_dscnt 0x4
	s_delay_alu instid0(VALU_DEP_3) | instskip(SKIP_3) | instid1(VALU_DEP_4)
	v_dual_mul_f32 v88, v54, v59 :: v_dual_add_f32 v19, 0, v78
	v_mul_f32_e32 v78, v56, v61
	v_fma_f32 v14, v14, v18, -v15
	v_dual_mul_f32 v18, v23, v27 :: v_dual_fmac_f32 v81, v25, v28
	v_add_f32_e32 v15, v19, v79
	v_fma_f32 v16, v16, v20, -v17
	s_delay_alu instid0(VALU_DEP_4) | instskip(NEXT) | instid1(VALU_DEP_4)
	v_dual_add_f32 v14, 0, v14 :: v_dual_mul_f32 v17, v25, v29
	v_fma_f32 v18, v22, v26, -v18
	v_dual_mul_f32 v84, v38, v43 :: v_dual_mul_f32 v85, v40, v45
	s_delay_alu instid0(VALU_DEP_3)
	v_add_f32_e32 v14, v14, v16
	v_add_f32_e32 v15, v15, v80
	v_mul_f32_e32 v16, v31, v35
	v_fma_f32 v17, v24, v28, -v17
	v_dual_fmac_f32 v82, v31, v34 :: v_dual_fmac_f32 v83, v33, v36
	v_dual_add_f32 v14, v14, v18 :: v_dual_fmac_f32 v85, v41, v44
	s_delay_alu instid0(VALU_DEP_4) | instskip(SKIP_1) | instid1(VALU_DEP_3)
	v_fma_f32 v16, v30, v34, -v16
	v_dual_mul_f32 v86, v46, v51 :: v_dual_mul_f32 v87, v48, v53
	v_add_f32_e32 v14, v14, v17
	v_add_f32_e32 v15, v15, v81
	v_mul_f32_e32 v18, v33, v37
	s_delay_alu instid0(VALU_DEP_4) | instskip(NEXT) | instid1(VALU_DEP_3)
	v_dual_fmac_f32 v84, v39, v42 :: v_dual_fmac_f32 v87, v49, v52
	v_dual_add_f32 v14, v14, v16 :: v_dual_add_f32 v15, v15, v82
	v_dual_mul_f32 v17, v39, v43 :: v_dual_mul_f32 v16, v41, v45
	s_delay_alu instid0(VALU_DEP_4) | instskip(SKIP_1) | instid1(VALU_DEP_4)
	v_fma_f32 v18, v32, v36, -v18
	v_fmac_f32_e32 v86, v47, v50
	v_add_f32_e32 v15, v15, v83
	s_delay_alu instid0(VALU_DEP_4)
	v_fma_f32 v17, v38, v42, -v17
	v_fma_f32 v16, v40, v44, -v16
	v_add_f32_e32 v14, v14, v18
	v_mul_f32_e32 v18, v47, v51
	v_add_f32_e32 v15, v15, v84
	s_wait_dscnt 0x2
	v_dual_fmac_f32 v88, v55, v58 :: v_dual_mul_f32 v19, v64, v69
	v_add_f32_e32 v14, v14, v17
	v_mul_f32_e32 v17, v49, v53
	v_add_f32_e32 v15, v15, v85
	v_fma_f32 v18, v46, v50, -v18
	v_fmac_f32_e32 v78, v57, v60
	v_add_f32_e32 v14, v14, v16
	v_dual_mul_f32 v16, v55, v59 :: v_dual_fmac_f32 v19, v65, v68
	v_add_f32_e32 v15, v15, v86
	v_fma_f32 v17, v48, v52, -v17
	s_delay_alu instid0(VALU_DEP_4) | instskip(SKIP_3) | instid1(VALU_DEP_3)
	v_add_f32_e32 v14, v14, v18
	v_mul_f32_e32 v18, v62, v67
	v_fma_f32 v16, v54, v58, -v16
	v_add_f32_e32 v15, v15, v87
	v_fmac_f32_e32 v18, v63, v66
	s_delay_alu instid0(VALU_DEP_2) | instskip(NEXT) | instid1(VALU_DEP_1)
	v_dual_add_f32 v15, v15, v88 :: v_dual_add_f32 v14, v14, v17
	v_dual_mul_f32 v17, v57, v61 :: v_dual_add_f32 v14, v14, v16
	s_delay_alu instid0(VALU_DEP_1) | instskip(SKIP_1) | instid1(VALU_DEP_2)
	v_fma_f32 v16, v56, v60, -v17
	v_mul_f32_e32 v17, v63, v67
	v_dual_add_f32 v15, v15, v78 :: v_dual_add_f32 v14, v14, v16
	s_delay_alu instid0(VALU_DEP_2) | instskip(SKIP_2) | instid1(VALU_DEP_3)
	v_fma_f32 v16, v62, v66, -v17
	v_mul_f32_e32 v17, v65, v69
	s_wait_dscnt 0x0
	v_dual_add_f32 v15, v15, v18 :: v_dual_mul_f32 v18, v70, v75
	s_delay_alu instid0(VALU_DEP_1) | instskip(NEXT) | instid1(VALU_DEP_3)
	v_dual_add_f32 v15, v15, v19 :: v_dual_add_f32 v14, v14, v16
	v_fma_f32 v16, v64, v68, -v17
	v_mul_f32_e32 v17, v71, v75
	s_delay_alu instid0(VALU_DEP_4) | instskip(NEXT) | instid1(VALU_DEP_1)
	v_dual_mul_f32 v19, v72, v77 :: v_dual_fmac_f32 v18, v71, v74
	v_fmac_f32_e32 v19, v73, v76
	s_delay_alu instid0(VALU_DEP_4) | instskip(NEXT) | instid1(VALU_DEP_4)
	v_add_f32_e32 v14, v14, v16
	v_fma_f32 v16, v70, v74, -v17
	v_mul_f32_e32 v17, v73, v77
	s_delay_alu instid0(VALU_DEP_2) | instskip(NEXT) | instid1(VALU_DEP_2)
	v_dual_add_f32 v15, v15, v18 :: v_dual_add_f32 v14, v14, v16
	v_fma_f32 v16, v72, v76, -v17
	s_delay_alu instid0(VALU_DEP_1) | instskip(NEXT) | instid1(VALU_DEP_1)
	v_dual_add_f32 v17, v15, v19 :: v_dual_add_f32 v14, v14, v16
	v_mul_f32_e32 v15, v2, v17
	v_mul_f32_e32 v16, v3, v17
	s_delay_alu instid0(VALU_DEP_2) | instskip(NEXT) | instid1(VALU_DEP_2)
	v_fmac_f32_e32 v15, v3, v14
	v_fma_f32 v14, v2, v14, -v16
	s_wait_alu 0xfffe
	v_add_co_u32 v2, vcc_lo, v12, s14
	s_wait_alu 0xfffd
	v_add_co_ci_u32_e64 v3, null, s15, v13, vcc_lo
	global_store_b64 v[2:3], v[14:15], off
	s_branch .LBB104_2
.LBB104_19:
	s_endpgm
	.section	.rodata,"a",@progbits
	.p2align	6, 0x0
	.amdhsa_kernel _ZL23rocblas_trmm_rTx_kernelILi16ELb0E19rocblas_complex_numIfEPKS1_S2_S1_Ev13rocblas_fill_17rocblas_diagonal_iiT2_lPT3_llS8_llPT4_lli
		.amdhsa_group_segment_fixed_size 4096
		.amdhsa_private_segment_fixed_size 0
		.amdhsa_kernarg_size 108
		.amdhsa_user_sgpr_count 2
		.amdhsa_user_sgpr_dispatch_ptr 0
		.amdhsa_user_sgpr_queue_ptr 0
		.amdhsa_user_sgpr_kernarg_segment_ptr 1
		.amdhsa_user_sgpr_dispatch_id 0
		.amdhsa_user_sgpr_private_segment_size 0
		.amdhsa_wavefront_size32 1
		.amdhsa_uses_dynamic_stack 0
		.amdhsa_enable_private_segment 0
		.amdhsa_system_sgpr_workgroup_id_x 1
		.amdhsa_system_sgpr_workgroup_id_y 0
		.amdhsa_system_sgpr_workgroup_id_z 1
		.amdhsa_system_sgpr_workgroup_info 0
		.amdhsa_system_vgpr_workitem_id 1
		.amdhsa_next_free_vgpr 89
		.amdhsa_next_free_sgpr 32
		.amdhsa_reserve_vcc 1
		.amdhsa_float_round_mode_32 0
		.amdhsa_float_round_mode_16_64 0
		.amdhsa_float_denorm_mode_32 3
		.amdhsa_float_denorm_mode_16_64 3
		.amdhsa_fp16_overflow 0
		.amdhsa_workgroup_processor_mode 1
		.amdhsa_memory_ordered 1
		.amdhsa_forward_progress 1
		.amdhsa_inst_pref_size 14
		.amdhsa_round_robin_scheduling 0
		.amdhsa_exception_fp_ieee_invalid_op 0
		.amdhsa_exception_fp_denorm_src 0
		.amdhsa_exception_fp_ieee_div_zero 0
		.amdhsa_exception_fp_ieee_overflow 0
		.amdhsa_exception_fp_ieee_underflow 0
		.amdhsa_exception_fp_ieee_inexact 0
		.amdhsa_exception_int_div_zero 0
	.end_amdhsa_kernel
	.section	.text._ZL23rocblas_trmm_rTx_kernelILi16ELb0E19rocblas_complex_numIfEPKS1_S2_S1_Ev13rocblas_fill_17rocblas_diagonal_iiT2_lPT3_llS8_llPT4_lli,"axG",@progbits,_ZL23rocblas_trmm_rTx_kernelILi16ELb0E19rocblas_complex_numIfEPKS1_S2_S1_Ev13rocblas_fill_17rocblas_diagonal_iiT2_lPT3_llS8_llPT4_lli,comdat
.Lfunc_end104:
	.size	_ZL23rocblas_trmm_rTx_kernelILi16ELb0E19rocblas_complex_numIfEPKS1_S2_S1_Ev13rocblas_fill_17rocblas_diagonal_iiT2_lPT3_llS8_llPT4_lli, .Lfunc_end104-_ZL23rocblas_trmm_rTx_kernelILi16ELb0E19rocblas_complex_numIfEPKS1_S2_S1_Ev13rocblas_fill_17rocblas_diagonal_iiT2_lPT3_llS8_llPT4_lli
                                        ; -- End function
	.set _ZL23rocblas_trmm_rTx_kernelILi16ELb0E19rocblas_complex_numIfEPKS1_S2_S1_Ev13rocblas_fill_17rocblas_diagonal_iiT2_lPT3_llS8_llPT4_lli.num_vgpr, 89
	.set _ZL23rocblas_trmm_rTx_kernelILi16ELb0E19rocblas_complex_numIfEPKS1_S2_S1_Ev13rocblas_fill_17rocblas_diagonal_iiT2_lPT3_llS8_llPT4_lli.num_agpr, 0
	.set _ZL23rocblas_trmm_rTx_kernelILi16ELb0E19rocblas_complex_numIfEPKS1_S2_S1_Ev13rocblas_fill_17rocblas_diagonal_iiT2_lPT3_llS8_llPT4_lli.numbered_sgpr, 32
	.set _ZL23rocblas_trmm_rTx_kernelILi16ELb0E19rocblas_complex_numIfEPKS1_S2_S1_Ev13rocblas_fill_17rocblas_diagonal_iiT2_lPT3_llS8_llPT4_lli.num_named_barrier, 0
	.set _ZL23rocblas_trmm_rTx_kernelILi16ELb0E19rocblas_complex_numIfEPKS1_S2_S1_Ev13rocblas_fill_17rocblas_diagonal_iiT2_lPT3_llS8_llPT4_lli.private_seg_size, 0
	.set _ZL23rocblas_trmm_rTx_kernelILi16ELb0E19rocblas_complex_numIfEPKS1_S2_S1_Ev13rocblas_fill_17rocblas_diagonal_iiT2_lPT3_llS8_llPT4_lli.uses_vcc, 1
	.set _ZL23rocblas_trmm_rTx_kernelILi16ELb0E19rocblas_complex_numIfEPKS1_S2_S1_Ev13rocblas_fill_17rocblas_diagonal_iiT2_lPT3_llS8_llPT4_lli.uses_flat_scratch, 0
	.set _ZL23rocblas_trmm_rTx_kernelILi16ELb0E19rocblas_complex_numIfEPKS1_S2_S1_Ev13rocblas_fill_17rocblas_diagonal_iiT2_lPT3_llS8_llPT4_lli.has_dyn_sized_stack, 0
	.set _ZL23rocblas_trmm_rTx_kernelILi16ELb0E19rocblas_complex_numIfEPKS1_S2_S1_Ev13rocblas_fill_17rocblas_diagonal_iiT2_lPT3_llS8_llPT4_lli.has_recursion, 0
	.set _ZL23rocblas_trmm_rTx_kernelILi16ELb0E19rocblas_complex_numIfEPKS1_S2_S1_Ev13rocblas_fill_17rocblas_diagonal_iiT2_lPT3_llS8_llPT4_lli.has_indirect_call, 0
	.section	.AMDGPU.csdata,"",@progbits
; Kernel info:
; codeLenInByte = 1668
; TotalNumSgprs: 34
; NumVgprs: 89
; ScratchSize: 0
; MemoryBound: 0
; FloatMode: 240
; IeeeMode: 1
; LDSByteSize: 4096 bytes/workgroup (compile time only)
; SGPRBlocks: 0
; VGPRBlocks: 11
; NumSGPRsForWavesPerEU: 34
; NumVGPRsForWavesPerEU: 89
; Occupancy: 16
; WaveLimiterHint : 0
; COMPUTE_PGM_RSRC2:SCRATCH_EN: 0
; COMPUTE_PGM_RSRC2:USER_SGPR: 2
; COMPUTE_PGM_RSRC2:TRAP_HANDLER: 0
; COMPUTE_PGM_RSRC2:TGID_X_EN: 1
; COMPUTE_PGM_RSRC2:TGID_Y_EN: 0
; COMPUTE_PGM_RSRC2:TGID_Z_EN: 1
; COMPUTE_PGM_RSRC2:TIDIG_COMP_CNT: 1
	.section	.text._ZL23rocblas_trmm_rTx_kernelILi16ELb0E19rocblas_complex_numIfES1_KS1_S1_Ev13rocblas_fill_17rocblas_diagonal_iiT2_lPT3_llS7_llPT4_lli,"axG",@progbits,_ZL23rocblas_trmm_rTx_kernelILi16ELb0E19rocblas_complex_numIfES1_KS1_S1_Ev13rocblas_fill_17rocblas_diagonal_iiT2_lPT3_llS7_llPT4_lli,comdat
	.globl	_ZL23rocblas_trmm_rTx_kernelILi16ELb0E19rocblas_complex_numIfES1_KS1_S1_Ev13rocblas_fill_17rocblas_diagonal_iiT2_lPT3_llS7_llPT4_lli ; -- Begin function _ZL23rocblas_trmm_rTx_kernelILi16ELb0E19rocblas_complex_numIfES1_KS1_S1_Ev13rocblas_fill_17rocblas_diagonal_iiT2_lPT3_llS7_llPT4_lli
	.p2align	8
	.type	_ZL23rocblas_trmm_rTx_kernelILi16ELb0E19rocblas_complex_numIfES1_KS1_S1_Ev13rocblas_fill_17rocblas_diagonal_iiT2_lPT3_llS7_llPT4_lli,@function
_ZL23rocblas_trmm_rTx_kernelILi16ELb0E19rocblas_complex_numIfES1_KS1_S1_Ev13rocblas_fill_17rocblas_diagonal_iiT2_lPT3_llS7_llPT4_lli: ; @_ZL23rocblas_trmm_rTx_kernelILi16ELb0E19rocblas_complex_numIfES1_KS1_S1_Ev13rocblas_fill_17rocblas_diagonal_iiT2_lPT3_llS7_llPT4_lli
; %bb.0:
	s_load_b32 s28, s[0:1], 0x68
	s_lshr_b32 s2, ttmp7, 16
	s_wait_kmcnt 0x0
	s_cmp_ge_u32 s2, s28
	s_cbranch_scc1 .LBB105_19
; %bb.1:
	s_clause 0x2
	s_load_b64 s[24:25], s[0:1], 0x10
	s_load_b128 s[20:23], s[0:1], 0x0
	s_load_b512 s[4:19], s[0:1], 0x20
	v_bfe_u32 v15, v0, 10, 10
	s_load_b64 s[26:27], s[0:1], 0x60
	v_dual_mov_b32 v1, 0 :: v_dual_and_b32 v0, 0x3ff, v0
	s_delay_alu instid0(VALU_DEP_1)
	v_lshlrev_b64_e32 v[10:11], 3, v[0:1]
	s_wait_kmcnt 0x0
	s_cmp_neq_f32 s24, 0
	v_cmp_gt_i32_e32 vcc_lo, s23, v15
	v_mad_co_u64_u32 v[4:5], null, s6, v15, 0
	v_mad_co_u64_u32 v[6:7], null, s12, v15, 0
	;; [unrolled: 1-line block ×3, first 2 shown]
	s_cselect_b32 s1, -1, 0
	s_cmp_neq_f32 s25, 0
	v_cmp_gt_i32_e64 s0, s23, v0
	v_mad_co_u64_u32 v[12:13], null, s7, v15, v[5:6]
	s_cselect_b32 s3, -1, 0
	s_add_co_i32 s12, s22, -1
	v_mad_co_u64_u32 v[13:14], null, s13, v15, v[7:8]
	s_wait_alu 0xfffe
	s_ashr_i32 s18, s12, 31
	s_or_b32 s6, s1, s3
	s_wait_alu 0xfffe
	s_lshr_b32 s1, s18, 28
	v_dual_mov_b32 v5, v12 :: v_dual_lshlrev_b32 v2, 4, v15
	s_add_co_i32 s12, s12, s1
	v_mov_b32_e32 v7, v13
	s_wait_alu 0xfffe
	s_and_b32 s1, s12, -16
	s_ashr_i32 s3, s12, 4
	s_sub_co_i32 s1, s22, s1
	s_cmp_ge_i32 ttmp9, s3
	v_mad_co_u64_u32 v[12:13], null, s19, v15, v[9:10]
	s_cselect_b32 s1, s1, 16
	s_lshl_b32 s12, ttmp9, 4
	v_lshlrev_b64_e32 v[4:5], 3, v[4:5]
	s_wait_alu 0xfffe
	s_ashr_i32 s13, s12, 31
	v_lshlrev_b64_e32 v[6:7], 3, v[6:7]
	s_and_b32 s7, vcc_lo, s0
	v_cmp_gt_i32_e64 s0, s1, v0
	s_wait_alu 0xfffe
	s_lshl_b64 s[12:13], s[12:13], 3
	v_mov_b32_e32 v9, v12
	s_wait_alu 0xfffe
	s_add_nc_u64 s[10:11], s[10:11], s[12:13]
	v_add_co_u32 v4, s1, s4, v4
	s_and_b32 s4, vcc_lo, s0
	v_add_co_u32 v6, vcc_lo, s10, v6
	s_delay_alu instid0(VALU_DEP_1)
	v_add_co_ci_u32_e64 v7, null, s11, v7, vcc_lo
	v_lshlrev_b64_e32 v[12:13], 3, v[8:9]
	v_add_co_ci_u32_e64 v5, null, s5, v5, s1
	v_cmp_eq_u32_e32 vcc_lo, v15, v0
	s_cmp_eq_u32 s21, 0x84
	v_add_co_u32 v6, s0, v6, v10
	s_add_nc_u64 s[12:13], s[16:17], s[12:13]
	v_add_co_u32 v4, s1, v4, v10
	v_add_co_ci_u32_e64 v7, null, v7, v11, s0
	s_cselect_b32 s0, -1, 0
	v_add_lshl_u32 v2, v2, v0, 3
	s_wait_alu 0xf1ff
	v_add_co_ci_u32_e64 v5, null, v5, v11, s1
	s_wait_alu 0xfffe
	s_and_b32 s5, vcc_lo, s0
	v_cmp_lt_u32_e64 s0, v0, v15
	v_cmp_gt_u32_e64 s1, v0, v15
	v_lshl_add_u32 v8, v0, 3, 0x800
	v_add_co_u32 v0, vcc_lo, s12, v12
	s_wait_alu 0xfffd
	v_add_co_ci_u32_e64 v12, null, s13, v13, vcc_lo
	v_add_nc_u32_e32 v3, 0x800, v2
	s_delay_alu instid0(VALU_DEP_3)
	v_add_co_u32 v10, vcc_lo, v0, v10
	v_lshlrev_b32_e32 v9, 3, v15
	s_wait_alu 0xfffd
	v_add_co_ci_u32_e64 v11, null, v12, v11, vcc_lo
	v_mov_b32_e32 v0, 1.0
	s_cmp_lg_u32 s20, 0x79
	s_mov_b32 s3, 0
	s_cselect_b32 s10, -1, 0
	s_branch .LBB105_4
.LBB105_2:                              ;   in Loop: Header=BB105_4 Depth=1
	s_wait_alu 0xfffe
	s_or_b32 exec_lo, exec_lo, s11
.LBB105_3:                              ;   in Loop: Header=BB105_4 Depth=1
	s_add_co_i32 s2, s2, 0x10000
	s_delay_alu instid0(SALU_CYCLE_1)
	s_cmp_lt_u32 s2, s28
	s_cbranch_scc0 .LBB105_19
.LBB105_4:                              ; =>This Inner Loop Header: Depth=1
	s_and_not1_b32 vcc_lo, exec_lo, s6
	s_wait_alu 0xfffe
	s_cbranch_vccnz .LBB105_3
; %bb.5:                                ;   in Loop: Header=BB105_4 Depth=1
	s_mov_b32 s12, s3
	s_mov_b32 s13, s3
	s_wait_alu 0xfffe
	v_dual_mov_b32 v12, s12 :: v_dual_mov_b32 v13, s13
	ds_store_b64 v2, v[12:13]
	ds_store_b64 v3, v[12:13]
	s_and_saveexec_b32 s11, s7
	s_cbranch_execnz .LBB105_10
; %bb.6:                                ;   in Loop: Header=BB105_4 Depth=1
	s_wait_alu 0xfffe
	s_or_b32 exec_lo, exec_lo, s11
	s_and_saveexec_b32 s11, s4
	s_cbranch_execnz .LBB105_11
.LBB105_7:                              ;   in Loop: Header=BB105_4 Depth=1
	s_wait_alu 0xfffe
	s_or_b32 exec_lo, exec_lo, s11
	s_and_saveexec_b32 s11, s5
	s_cbranch_execnz .LBB105_12
.LBB105_8:                              ;   in Loop: Header=BB105_4 Depth=1
	s_wait_alu 0xfffe
	s_or_b32 exec_lo, exec_lo, s11
	s_delay_alu instid0(SALU_CYCLE_1)
	s_and_b32 vcc_lo, exec_lo, s10
	s_wait_alu 0xfffe
	s_cbranch_vccz .LBB105_13
.LBB105_9:                              ;   in Loop: Header=BB105_4 Depth=1
	s_and_b32 s11, s0, exec_lo
	s_cbranch_execz .LBB105_14
	s_branch .LBB105_15
.LBB105_10:                             ;   in Loop: Header=BB105_4 Depth=1
	s_mul_u64 s[12:13], s[8:9], s[2:3]
	s_wait_alu 0xfffe
	s_lshl_b64 s[12:13], s[12:13], 3
	s_wait_alu 0xfffe
	v_add_co_u32 v12, vcc_lo, v4, s12
	s_wait_alu 0xfffd
	v_add_co_ci_u32_e64 v13, null, s13, v5, vcc_lo
	global_load_b64 v[12:13], v[12:13], off
	s_wait_loadcnt 0x0
	ds_store_b64 v2, v[12:13]
	s_or_b32 exec_lo, exec_lo, s11
	s_and_saveexec_b32 s11, s4
	s_cbranch_execz .LBB105_7
.LBB105_11:                             ;   in Loop: Header=BB105_4 Depth=1
	s_mul_u64 s[12:13], s[14:15], s[2:3]
	s_wait_alu 0xfffe
	s_lshl_b64 s[12:13], s[12:13], 3
	s_wait_alu 0xfffe
	v_add_co_u32 v12, vcc_lo, v6, s12
	s_wait_alu 0xfffd
	v_add_co_ci_u32_e64 v13, null, s13, v7, vcc_lo
	global_load_b64 v[12:13], v[12:13], off
	s_wait_loadcnt 0x0
	ds_store_b64 v3, v[12:13]
	s_or_b32 exec_lo, exec_lo, s11
	s_and_saveexec_b32 s11, s5
	s_cbranch_execz .LBB105_8
.LBB105_12:                             ;   in Loop: Header=BB105_4 Depth=1
	ds_store_b64 v2, v[0:1]
	s_wait_alu 0xfffe
	s_or_b32 exec_lo, exec_lo, s11
	s_delay_alu instid0(SALU_CYCLE_1)
	s_and_b32 vcc_lo, exec_lo, s10
	s_wait_alu 0xfffe
	s_cbranch_vccnz .LBB105_9
.LBB105_13:                             ;   in Loop: Header=BB105_4 Depth=1
	s_mov_b32 s11, 0
.LBB105_14:                             ;   in Loop: Header=BB105_4 Depth=1
	s_wait_alu 0xfffe
	s_and_not1_b32 s11, s11, exec_lo
	s_and_b32 s12, s1, exec_lo
	s_wait_alu 0xfffe
	s_or_b32 s11, s11, s12
.LBB105_15:                             ;   in Loop: Header=BB105_4 Depth=1
	s_wait_alu 0xfffe
	s_and_saveexec_b32 s12, s11
; %bb.16:                               ;   in Loop: Header=BB105_4 Depth=1
	v_dual_mov_b32 v12, v1 :: v_dual_mov_b32 v13, v1
	ds_store_b64 v2, v[12:13]
; %bb.17:                               ;   in Loop: Header=BB105_4 Depth=1
	s_wait_alu 0xfffe
	s_or_b32 exec_lo, exec_lo, s12
	s_wait_dscnt 0x0
	s_barrier_signal -1
	s_barrier_wait -1
	global_inv scope:SCOPE_SE
	s_and_saveexec_b32 s11, s4
	s_cbranch_execz .LBB105_2
; %bb.18:                               ;   in Loop: Header=BB105_4 Depth=1
	ds_load_2addr_b64 v[12:15], v9 offset1:16
	ds_load_2addr_b64 v[16:19], v8 offset1:16
	ds_load_2addr_b64 v[20:23], v9 offset0:32 offset1:48
	ds_load_2addr_b64 v[24:27], v8 offset0:32 offset1:48
	;; [unrolled: 1-line block ×14, first 2 shown]
	s_mul_u64 s[12:13], s[26:27], s[2:3]
	s_wait_alu 0xfffe
	s_lshl_b64 s[12:13], s[12:13], 3
	s_wait_dscnt 0xe
	v_dual_mul_f32 v76, v12, v17 :: v_dual_mul_f32 v77, v14, v19
	s_wait_dscnt 0xc
	v_dual_mul_f32 v78, v20, v25 :: v_dual_mul_f32 v79, v22, v27
	;; [unrolled: 2-line block ×3, first 2 shown]
	v_dual_fmac_f32 v76, v13, v16 :: v_dual_fmac_f32 v77, v15, v18
	v_mul_f32_e32 v13, v13, v17
	v_dual_mul_f32 v15, v15, v19 :: v_dual_fmac_f32 v78, v21, v24
	s_wait_dscnt 0x4
	s_delay_alu instid0(VALU_DEP_3) | instskip(SKIP_3) | instid1(VALU_DEP_4)
	v_dual_mul_f32 v86, v52, v57 :: v_dual_add_f32 v17, 0, v76
	v_mul_f32_e32 v76, v54, v59
	v_fma_f32 v12, v12, v16, -v13
	v_dual_mul_f32 v16, v21, v25 :: v_dual_fmac_f32 v79, v23, v26
	v_add_f32_e32 v13, v17, v77
	v_fma_f32 v14, v14, v18, -v15
	s_delay_alu instid0(VALU_DEP_4) | instskip(NEXT) | instid1(VALU_DEP_4)
	v_dual_add_f32 v12, 0, v12 :: v_dual_mul_f32 v15, v23, v27
	v_fma_f32 v16, v20, v24, -v16
	v_dual_mul_f32 v82, v36, v41 :: v_dual_mul_f32 v83, v38, v43
	s_delay_alu instid0(VALU_DEP_3)
	v_add_f32_e32 v12, v12, v14
	v_add_f32_e32 v13, v13, v78
	v_mul_f32_e32 v14, v29, v33
	v_fma_f32 v15, v22, v26, -v15
	v_dual_fmac_f32 v80, v29, v32 :: v_dual_fmac_f32 v81, v31, v34
	v_dual_add_f32 v12, v12, v16 :: v_dual_fmac_f32 v83, v39, v42
	s_delay_alu instid0(VALU_DEP_4) | instskip(SKIP_1) | instid1(VALU_DEP_3)
	v_fma_f32 v14, v28, v32, -v14
	v_dual_mul_f32 v84, v44, v49 :: v_dual_mul_f32 v85, v46, v51
	v_add_f32_e32 v12, v12, v15
	v_add_f32_e32 v13, v13, v79
	v_mul_f32_e32 v16, v31, v35
	s_delay_alu instid0(VALU_DEP_4) | instskip(NEXT) | instid1(VALU_DEP_3)
	v_dual_fmac_f32 v82, v37, v40 :: v_dual_fmac_f32 v85, v47, v50
	v_dual_add_f32 v12, v12, v14 :: v_dual_add_f32 v13, v13, v80
	v_dual_mul_f32 v15, v37, v41 :: v_dual_mul_f32 v14, v39, v43
	s_delay_alu instid0(VALU_DEP_4) | instskip(SKIP_1) | instid1(VALU_DEP_4)
	v_fma_f32 v16, v30, v34, -v16
	v_fmac_f32_e32 v84, v45, v48
	v_add_f32_e32 v13, v13, v81
	s_delay_alu instid0(VALU_DEP_4)
	v_fma_f32 v15, v36, v40, -v15
	v_fma_f32 v14, v38, v42, -v14
	v_add_f32_e32 v12, v12, v16
	v_mul_f32_e32 v16, v45, v49
	v_add_f32_e32 v13, v13, v82
	s_wait_dscnt 0x2
	v_dual_fmac_f32 v86, v53, v56 :: v_dual_mul_f32 v17, v62, v67
	v_add_f32_e32 v12, v12, v15
	v_mul_f32_e32 v15, v47, v51
	v_add_f32_e32 v13, v13, v83
	v_fma_f32 v16, v44, v48, -v16
	v_fmac_f32_e32 v76, v55, v58
	v_add_f32_e32 v12, v12, v14
	v_dual_mul_f32 v14, v53, v57 :: v_dual_fmac_f32 v17, v63, v66
	v_add_f32_e32 v13, v13, v84
	v_fma_f32 v15, v46, v50, -v15
	s_delay_alu instid0(VALU_DEP_4) | instskip(SKIP_3) | instid1(VALU_DEP_3)
	v_add_f32_e32 v12, v12, v16
	v_mul_f32_e32 v16, v60, v65
	v_fma_f32 v14, v52, v56, -v14
	v_add_f32_e32 v13, v13, v85
	v_fmac_f32_e32 v16, v61, v64
	s_delay_alu instid0(VALU_DEP_2) | instskip(NEXT) | instid1(VALU_DEP_1)
	v_dual_add_f32 v13, v13, v86 :: v_dual_add_f32 v12, v12, v15
	v_dual_mul_f32 v15, v55, v59 :: v_dual_add_f32 v12, v12, v14
	s_delay_alu instid0(VALU_DEP_1) | instskip(SKIP_1) | instid1(VALU_DEP_2)
	v_fma_f32 v14, v54, v58, -v15
	v_mul_f32_e32 v15, v61, v65
	v_dual_add_f32 v13, v13, v76 :: v_dual_add_f32 v12, v12, v14
	s_delay_alu instid0(VALU_DEP_2) | instskip(SKIP_2) | instid1(VALU_DEP_3)
	v_fma_f32 v14, v60, v64, -v15
	v_mul_f32_e32 v15, v63, v67
	s_wait_dscnt 0x0
	v_dual_add_f32 v13, v13, v16 :: v_dual_mul_f32 v16, v68, v73
	s_delay_alu instid0(VALU_DEP_1) | instskip(NEXT) | instid1(VALU_DEP_3)
	v_dual_add_f32 v13, v13, v17 :: v_dual_add_f32 v12, v12, v14
	v_fma_f32 v14, v62, v66, -v15
	v_mul_f32_e32 v15, v69, v73
	s_delay_alu instid0(VALU_DEP_4) | instskip(NEXT) | instid1(VALU_DEP_1)
	v_dual_mul_f32 v17, v70, v75 :: v_dual_fmac_f32 v16, v69, v72
	v_fmac_f32_e32 v17, v71, v74
	s_delay_alu instid0(VALU_DEP_4) | instskip(NEXT) | instid1(VALU_DEP_4)
	v_add_f32_e32 v12, v12, v14
	v_fma_f32 v14, v68, v72, -v15
	v_mul_f32_e32 v15, v71, v75
	s_delay_alu instid0(VALU_DEP_2) | instskip(NEXT) | instid1(VALU_DEP_2)
	v_dual_add_f32 v13, v13, v16 :: v_dual_add_f32 v12, v12, v14
	v_fma_f32 v14, v70, v74, -v15
	s_delay_alu instid0(VALU_DEP_1) | instskip(NEXT) | instid1(VALU_DEP_1)
	v_dual_add_f32 v15, v13, v17 :: v_dual_add_f32 v12, v12, v14
	v_mul_f32_e32 v13, s24, v15
	s_delay_alu instid0(VALU_DEP_1) | instskip(NEXT) | instid1(VALU_DEP_1)
	v_dual_mul_f32 v14, s25, v15 :: v_dual_fmac_f32 v13, s25, v12
	v_fma_f32 v12, s24, v12, -v14
	s_wait_alu 0xfffe
	v_add_co_u32 v14, vcc_lo, v10, s12
	s_wait_alu 0xfffd
	v_add_co_ci_u32_e64 v15, null, s13, v11, vcc_lo
	global_store_b64 v[14:15], v[12:13], off
	s_branch .LBB105_2
.LBB105_19:
	s_endpgm
	.section	.rodata,"a",@progbits
	.p2align	6, 0x0
	.amdhsa_kernel _ZL23rocblas_trmm_rTx_kernelILi16ELb0E19rocblas_complex_numIfES1_KS1_S1_Ev13rocblas_fill_17rocblas_diagonal_iiT2_lPT3_llS7_llPT4_lli
		.amdhsa_group_segment_fixed_size 4096
		.amdhsa_private_segment_fixed_size 0
		.amdhsa_kernarg_size 108
		.amdhsa_user_sgpr_count 2
		.amdhsa_user_sgpr_dispatch_ptr 0
		.amdhsa_user_sgpr_queue_ptr 0
		.amdhsa_user_sgpr_kernarg_segment_ptr 1
		.amdhsa_user_sgpr_dispatch_id 0
		.amdhsa_user_sgpr_private_segment_size 0
		.amdhsa_wavefront_size32 1
		.amdhsa_uses_dynamic_stack 0
		.amdhsa_enable_private_segment 0
		.amdhsa_system_sgpr_workgroup_id_x 1
		.amdhsa_system_sgpr_workgroup_id_y 0
		.amdhsa_system_sgpr_workgroup_id_z 1
		.amdhsa_system_sgpr_workgroup_info 0
		.amdhsa_system_vgpr_workitem_id 1
		.amdhsa_next_free_vgpr 87
		.amdhsa_next_free_sgpr 29
		.amdhsa_reserve_vcc 1
		.amdhsa_float_round_mode_32 0
		.amdhsa_float_round_mode_16_64 0
		.amdhsa_float_denorm_mode_32 3
		.amdhsa_float_denorm_mode_16_64 3
		.amdhsa_fp16_overflow 0
		.amdhsa_workgroup_processor_mode 1
		.amdhsa_memory_ordered 1
		.amdhsa_forward_progress 1
		.amdhsa_inst_pref_size 14
		.amdhsa_round_robin_scheduling 0
		.amdhsa_exception_fp_ieee_invalid_op 0
		.amdhsa_exception_fp_denorm_src 0
		.amdhsa_exception_fp_ieee_div_zero 0
		.amdhsa_exception_fp_ieee_overflow 0
		.amdhsa_exception_fp_ieee_underflow 0
		.amdhsa_exception_fp_ieee_inexact 0
		.amdhsa_exception_int_div_zero 0
	.end_amdhsa_kernel
	.section	.text._ZL23rocblas_trmm_rTx_kernelILi16ELb0E19rocblas_complex_numIfES1_KS1_S1_Ev13rocblas_fill_17rocblas_diagonal_iiT2_lPT3_llS7_llPT4_lli,"axG",@progbits,_ZL23rocblas_trmm_rTx_kernelILi16ELb0E19rocblas_complex_numIfES1_KS1_S1_Ev13rocblas_fill_17rocblas_diagonal_iiT2_lPT3_llS7_llPT4_lli,comdat
.Lfunc_end105:
	.size	_ZL23rocblas_trmm_rTx_kernelILi16ELb0E19rocblas_complex_numIfES1_KS1_S1_Ev13rocblas_fill_17rocblas_diagonal_iiT2_lPT3_llS7_llPT4_lli, .Lfunc_end105-_ZL23rocblas_trmm_rTx_kernelILi16ELb0E19rocblas_complex_numIfES1_KS1_S1_Ev13rocblas_fill_17rocblas_diagonal_iiT2_lPT3_llS7_llPT4_lli
                                        ; -- End function
	.set _ZL23rocblas_trmm_rTx_kernelILi16ELb0E19rocblas_complex_numIfES1_KS1_S1_Ev13rocblas_fill_17rocblas_diagonal_iiT2_lPT3_llS7_llPT4_lli.num_vgpr, 87
	.set _ZL23rocblas_trmm_rTx_kernelILi16ELb0E19rocblas_complex_numIfES1_KS1_S1_Ev13rocblas_fill_17rocblas_diagonal_iiT2_lPT3_llS7_llPT4_lli.num_agpr, 0
	.set _ZL23rocblas_trmm_rTx_kernelILi16ELb0E19rocblas_complex_numIfES1_KS1_S1_Ev13rocblas_fill_17rocblas_diagonal_iiT2_lPT3_llS7_llPT4_lli.numbered_sgpr, 29
	.set _ZL23rocblas_trmm_rTx_kernelILi16ELb0E19rocblas_complex_numIfES1_KS1_S1_Ev13rocblas_fill_17rocblas_diagonal_iiT2_lPT3_llS7_llPT4_lli.num_named_barrier, 0
	.set _ZL23rocblas_trmm_rTx_kernelILi16ELb0E19rocblas_complex_numIfES1_KS1_S1_Ev13rocblas_fill_17rocblas_diagonal_iiT2_lPT3_llS7_llPT4_lli.private_seg_size, 0
	.set _ZL23rocblas_trmm_rTx_kernelILi16ELb0E19rocblas_complex_numIfES1_KS1_S1_Ev13rocblas_fill_17rocblas_diagonal_iiT2_lPT3_llS7_llPT4_lli.uses_vcc, 1
	.set _ZL23rocblas_trmm_rTx_kernelILi16ELb0E19rocblas_complex_numIfES1_KS1_S1_Ev13rocblas_fill_17rocblas_diagonal_iiT2_lPT3_llS7_llPT4_lli.uses_flat_scratch, 0
	.set _ZL23rocblas_trmm_rTx_kernelILi16ELb0E19rocblas_complex_numIfES1_KS1_S1_Ev13rocblas_fill_17rocblas_diagonal_iiT2_lPT3_llS7_llPT4_lli.has_dyn_sized_stack, 0
	.set _ZL23rocblas_trmm_rTx_kernelILi16ELb0E19rocblas_complex_numIfES1_KS1_S1_Ev13rocblas_fill_17rocblas_diagonal_iiT2_lPT3_llS7_llPT4_lli.has_recursion, 0
	.set _ZL23rocblas_trmm_rTx_kernelILi16ELb0E19rocblas_complex_numIfES1_KS1_S1_Ev13rocblas_fill_17rocblas_diagonal_iiT2_lPT3_llS7_llPT4_lli.has_indirect_call, 0
	.section	.AMDGPU.csdata,"",@progbits
; Kernel info:
; codeLenInByte = 1668
; TotalNumSgprs: 31
; NumVgprs: 87
; ScratchSize: 0
; MemoryBound: 0
; FloatMode: 240
; IeeeMode: 1
; LDSByteSize: 4096 bytes/workgroup (compile time only)
; SGPRBlocks: 0
; VGPRBlocks: 10
; NumSGPRsForWavesPerEU: 31
; NumVGPRsForWavesPerEU: 87
; Occupancy: 16
; WaveLimiterHint : 0
; COMPUTE_PGM_RSRC2:SCRATCH_EN: 0
; COMPUTE_PGM_RSRC2:USER_SGPR: 2
; COMPUTE_PGM_RSRC2:TRAP_HANDLER: 0
; COMPUTE_PGM_RSRC2:TGID_X_EN: 1
; COMPUTE_PGM_RSRC2:TGID_Y_EN: 0
; COMPUTE_PGM_RSRC2:TGID_Z_EN: 1
; COMPUTE_PGM_RSRC2:TIDIG_COMP_CNT: 1
	.section	.text._ZL23rocblas_trmm_rTx_kernelILi16ELb1E19rocblas_complex_numIfEPKS1_S2_S1_Ev13rocblas_fill_17rocblas_diagonal_iiT2_lPT3_llS8_llPT4_lli,"axG",@progbits,_ZL23rocblas_trmm_rTx_kernelILi16ELb1E19rocblas_complex_numIfEPKS1_S2_S1_Ev13rocblas_fill_17rocblas_diagonal_iiT2_lPT3_llS8_llPT4_lli,comdat
	.globl	_ZL23rocblas_trmm_rTx_kernelILi16ELb1E19rocblas_complex_numIfEPKS1_S2_S1_Ev13rocblas_fill_17rocblas_diagonal_iiT2_lPT3_llS8_llPT4_lli ; -- Begin function _ZL23rocblas_trmm_rTx_kernelILi16ELb1E19rocblas_complex_numIfEPKS1_S2_S1_Ev13rocblas_fill_17rocblas_diagonal_iiT2_lPT3_llS8_llPT4_lli
	.p2align	8
	.type	_ZL23rocblas_trmm_rTx_kernelILi16ELb1E19rocblas_complex_numIfEPKS1_S2_S1_Ev13rocblas_fill_17rocblas_diagonal_iiT2_lPT3_llS8_llPT4_lli,@function
_ZL23rocblas_trmm_rTx_kernelILi16ELb1E19rocblas_complex_numIfEPKS1_S2_S1_Ev13rocblas_fill_17rocblas_diagonal_iiT2_lPT3_llS8_llPT4_lli: ; @_ZL23rocblas_trmm_rTx_kernelILi16ELb1E19rocblas_complex_numIfEPKS1_S2_S1_Ev13rocblas_fill_17rocblas_diagonal_iiT2_lPT3_llS8_llPT4_lli
; %bb.0:
	s_load_b32 s3, s[0:1], 0x68
	s_lshr_b32 s28, ttmp7, 16
	s_wait_kmcnt 0x0
	s_cmp_ge_u32 s28, s3
	s_cbranch_scc1 .LBB106_19
; %bb.1:
	s_clause 0x3
	s_load_b128 s[20:23], s[0:1], 0x0
	s_load_b512 s[4:19], s[0:1], 0x10
	s_load_b128 s[24:27], s[0:1], 0x50
	s_load_b64 s[30:31], s[0:1], 0x60
	v_bfe_u32 v15, v0, 10, 10
	v_dual_mov_b32 v1, 0 :: v_dual_and_b32 v0, 0x3ff, v0
	s_mov_b32 s29, 0
	s_wait_kmcnt 0x0
	s_add_co_i32 s0, s22, -1
	v_mad_co_u64_u32 v[6:7], null, s10, v15, 0
	v_mad_co_u64_u32 v[8:9], null, s16, v15, 0
	;; [unrolled: 1-line block ×3, first 2 shown]
	s_ashr_i32 s1, s0, 31
	v_cmp_gt_i32_e32 vcc_lo, s23, v15
	s_lshr_b32 s1, s1, 28
	v_mad_co_u64_u32 v[12:13], null, s11, v15, v[7:8]
	s_add_co_i32 s1, s0, s1
	v_mad_co_u64_u32 v[13:14], null, s17, v15, v[9:10]
	s_ashr_i32 s2, s1, 4
	s_and_b32 s1, s1, -16
	v_dual_mov_b32 v7, v12 :: v_dual_lshlrev_b32 v2, 4, v15
	v_cmp_gt_i32_e64 s0, s23, v0
	s_sub_co_i32 s1, s22, s1
	s_cmp_ge_i32 ttmp9, s2
	v_mov_b32_e32 v9, v13
	s_cselect_b32 s1, s1, 16
	v_lshlrev_b64_e32 v[6:7], 3, v[6:7]
	s_and_b32 s10, vcc_lo, s0
	v_cmp_gt_i32_e64 s0, s1, v0
	v_add_lshl_u32 v4, v2, v0, 3
	v_lshlrev_b64_e32 v[2:3], 3, v[0:1]
	s_lshl_b32 s16, ttmp9, 4
	v_mad_co_u64_u32 v[11:12], null, s27, v15, v[11:12]
	s_and_b32 s11, vcc_lo, s0
	v_add_co_u32 v6, vcc_lo, s8, v6
	s_wait_alu 0xfffe
	s_ashr_i32 s17, s16, 31
	v_lshlrev_b64_e32 v[8:9], 3, v[8:9]
	v_add_co_ci_u32_e64 v7, null, s9, v7, vcc_lo
	s_wait_alu 0xfffe
	s_lshl_b64 s[16:17], s[16:17], 3
	v_add_co_u32 v6, vcc_lo, v6, v2
	s_wait_alu 0xfffe
	s_add_nc_u64 s[14:15], s[14:15], s[16:17]
	s_wait_alu 0xfffd
	v_add_co_ci_u32_e64 v7, null, v7, v3, vcc_lo
	v_add_co_u32 v8, vcc_lo, s14, v8
	v_lshlrev_b64_e32 v[11:12], 3, v[10:11]
	s_wait_alu 0xfffd
	v_add_co_ci_u32_e64 v9, null, s15, v9, vcc_lo
	v_cmp_eq_u32_e32 vcc_lo, v15, v0
	s_cmp_eq_u32 s21, 0x84
	s_add_nc_u64 s[16:17], s[24:25], s[16:17]
	s_cselect_b32 s1, -1, 0
	v_add_co_u32 v8, s0, v8, v2
	s_wait_alu 0xf1ff
	v_add_co_ci_u32_e64 v9, null, v9, v3, s0
	s_wait_alu 0xfffe
	s_and_b32 s8, vcc_lo, s1
	v_cmp_lt_u32_e64 s0, v0, v15
	v_cmp_gt_u32_e64 s1, v0, v15
	v_lshl_add_u32 v10, v0, 3, 0x800
	v_add_co_u32 v0, vcc_lo, s16, v11
	s_wait_alu 0xfffd
	v_add_co_ci_u32_e64 v13, null, s17, v12, vcc_lo
	v_add_nc_u32_e32 v5, 0x800, v4
	s_delay_alu instid0(VALU_DEP_3)
	v_add_co_u32 v12, vcc_lo, v0, v2
	v_lshlrev_b32_e32 v11, 3, v15
	s_wait_alu 0xfffd
	v_add_co_ci_u32_e64 v13, null, v13, v3, vcc_lo
	v_mov_b32_e32 v0, 1.0
	s_cmp_lg_u32 s20, 0x79
	s_cselect_b32 s9, -1, 0
	s_branch .LBB106_4
.LBB106_2:                              ;   in Loop: Header=BB106_4 Depth=1
	s_or_b32 exec_lo, exec_lo, s2
.LBB106_3:                              ;   in Loop: Header=BB106_4 Depth=1
	s_add_co_i32 s28, s28, 0x10000
	s_delay_alu instid0(SALU_CYCLE_1)
	s_cmp_lt_u32 s28, s3
	s_cbranch_scc0 .LBB106_19
.LBB106_4:                              ; =>This Inner Loop Header: Depth=1
	s_mul_u64 s[14:15], s[6:7], s[28:29]
	s_wait_alu 0xfffe
	s_lshl_b64 s[14:15], s[14:15], 3
	s_wait_alu 0xfffe
	s_add_nc_u64 s[14:15], s[4:5], s[14:15]
	global_load_b64 v[2:3], v1, s[14:15]
	s_wait_loadcnt 0x0
	v_cmp_neq_f32_e32 vcc_lo, 0, v2
	v_cmp_neq_f32_e64 s2, 0, v3
	s_or_b32 s2, vcc_lo, s2
	s_delay_alu instid0(SALU_CYCLE_1)
	s_and_not1_b32 vcc_lo, exec_lo, s2
	s_wait_alu 0xfffe
	s_cbranch_vccnz .LBB106_3
; %bb.5:                                ;   in Loop: Header=BB106_4 Depth=1
	s_mov_b32 s14, s29
	s_mov_b32 s15, s29
	s_wait_alu 0xfffe
	v_dual_mov_b32 v14, s14 :: v_dual_mov_b32 v15, s15
	ds_store_b64 v4, v[14:15]
	ds_store_b64 v5, v[14:15]
	s_and_saveexec_b32 s2, s10
	s_cbranch_execnz .LBB106_10
; %bb.6:                                ;   in Loop: Header=BB106_4 Depth=1
	s_or_b32 exec_lo, exec_lo, s2
	s_and_saveexec_b32 s2, s11
	s_cbranch_execnz .LBB106_11
.LBB106_7:                              ;   in Loop: Header=BB106_4 Depth=1
	s_or_b32 exec_lo, exec_lo, s2
	s_and_saveexec_b32 s2, s8
	s_cbranch_execnz .LBB106_12
.LBB106_8:                              ;   in Loop: Header=BB106_4 Depth=1
	s_or_b32 exec_lo, exec_lo, s2
	s_delay_alu instid0(SALU_CYCLE_1)
	s_and_b32 vcc_lo, exec_lo, s9
	s_wait_alu 0xfffe
	s_cbranch_vccz .LBB106_13
.LBB106_9:                              ;   in Loop: Header=BB106_4 Depth=1
	s_and_b32 s2, s0, exec_lo
	s_cbranch_execz .LBB106_14
	s_branch .LBB106_15
.LBB106_10:                             ;   in Loop: Header=BB106_4 Depth=1
	s_mul_u64 s[14:15], s[12:13], s[28:29]
	s_wait_alu 0xfffe
	s_lshl_b64 s[14:15], s[14:15], 3
	s_wait_alu 0xfffe
	v_add_co_u32 v14, vcc_lo, v6, s14
	s_wait_alu 0xfffd
	v_add_co_ci_u32_e64 v15, null, s15, v7, vcc_lo
	global_load_b64 v[14:15], v[14:15], off
	s_wait_loadcnt 0x0
	v_xor_b32_e32 v15, 0x80000000, v15
	ds_store_b64 v4, v[14:15]
	s_or_b32 exec_lo, exec_lo, s2
	s_and_saveexec_b32 s2, s11
	s_cbranch_execz .LBB106_7
.LBB106_11:                             ;   in Loop: Header=BB106_4 Depth=1
	s_mul_u64 s[14:15], s[18:19], s[28:29]
	s_wait_alu 0xfffe
	s_lshl_b64 s[14:15], s[14:15], 3
	s_wait_alu 0xfffe
	v_add_co_u32 v14, vcc_lo, v8, s14
	s_wait_alu 0xfffd
	v_add_co_ci_u32_e64 v15, null, s15, v9, vcc_lo
	global_load_b64 v[14:15], v[14:15], off
	s_wait_loadcnt 0x0
	ds_store_b64 v5, v[14:15]
	s_or_b32 exec_lo, exec_lo, s2
	s_and_saveexec_b32 s2, s8
	s_cbranch_execz .LBB106_8
.LBB106_12:                             ;   in Loop: Header=BB106_4 Depth=1
	ds_store_b64 v4, v[0:1]
	s_or_b32 exec_lo, exec_lo, s2
	s_delay_alu instid0(SALU_CYCLE_1)
	s_and_b32 vcc_lo, exec_lo, s9
	s_wait_alu 0xfffe
	s_cbranch_vccnz .LBB106_9
.LBB106_13:                             ;   in Loop: Header=BB106_4 Depth=1
	s_mov_b32 s2, 0
.LBB106_14:                             ;   in Loop: Header=BB106_4 Depth=1
	s_delay_alu instid0(SALU_CYCLE_1)
	s_and_not1_b32 s2, s2, exec_lo
	s_and_b32 s14, s1, exec_lo
	s_wait_alu 0xfffe
	s_or_b32 s2, s2, s14
.LBB106_15:                             ;   in Loop: Header=BB106_4 Depth=1
	s_delay_alu instid0(SALU_CYCLE_1)
	s_and_saveexec_b32 s14, s2
; %bb.16:                               ;   in Loop: Header=BB106_4 Depth=1
	v_dual_mov_b32 v14, v1 :: v_dual_mov_b32 v15, v1
	ds_store_b64 v4, v[14:15]
; %bb.17:                               ;   in Loop: Header=BB106_4 Depth=1
	s_wait_alu 0xfffe
	s_or_b32 exec_lo, exec_lo, s14
	s_wait_dscnt 0x0
	s_barrier_signal -1
	s_barrier_wait -1
	global_inv scope:SCOPE_SE
	s_and_saveexec_b32 s2, s11
	s_cbranch_execz .LBB106_2
; %bb.18:                               ;   in Loop: Header=BB106_4 Depth=1
	ds_load_2addr_b64 v[14:17], v11 offset1:16
	ds_load_2addr_b64 v[18:21], v10 offset1:16
	ds_load_2addr_b64 v[22:25], v11 offset0:32 offset1:48
	ds_load_2addr_b64 v[26:29], v10 offset0:32 offset1:48
	;; [unrolled: 1-line block ×14, first 2 shown]
	s_mul_u64 s[14:15], s[30:31], s[28:29]
	s_wait_alu 0xfffe
	s_lshl_b64 s[14:15], s[14:15], 3
	s_wait_dscnt 0xe
	v_dual_mul_f32 v78, v14, v19 :: v_dual_mul_f32 v79, v16, v21
	s_wait_dscnt 0xc
	v_dual_mul_f32 v80, v22, v27 :: v_dual_mul_f32 v81, v24, v29
	;; [unrolled: 2-line block ×3, first 2 shown]
	v_dual_fmac_f32 v78, v15, v18 :: v_dual_fmac_f32 v79, v17, v20
	v_mul_f32_e32 v15, v15, v19
	v_dual_mul_f32 v17, v17, v21 :: v_dual_fmac_f32 v80, v23, v26
	s_wait_dscnt 0x4
	s_delay_alu instid0(VALU_DEP_3) | instskip(SKIP_3) | instid1(VALU_DEP_4)
	v_dual_mul_f32 v88, v54, v59 :: v_dual_add_f32 v19, 0, v78
	v_mul_f32_e32 v78, v56, v61
	v_fma_f32 v14, v14, v18, -v15
	v_dual_mul_f32 v18, v23, v27 :: v_dual_fmac_f32 v81, v25, v28
	v_add_f32_e32 v15, v19, v79
	v_fma_f32 v16, v16, v20, -v17
	s_delay_alu instid0(VALU_DEP_4) | instskip(NEXT) | instid1(VALU_DEP_4)
	v_dual_add_f32 v14, 0, v14 :: v_dual_mul_f32 v17, v25, v29
	v_fma_f32 v18, v22, v26, -v18
	v_dual_mul_f32 v84, v38, v43 :: v_dual_mul_f32 v85, v40, v45
	s_delay_alu instid0(VALU_DEP_3)
	v_add_f32_e32 v14, v14, v16
	v_add_f32_e32 v15, v15, v80
	v_mul_f32_e32 v16, v31, v35
	v_fma_f32 v17, v24, v28, -v17
	v_dual_fmac_f32 v82, v31, v34 :: v_dual_fmac_f32 v83, v33, v36
	v_dual_add_f32 v14, v14, v18 :: v_dual_fmac_f32 v85, v41, v44
	s_delay_alu instid0(VALU_DEP_4) | instskip(SKIP_1) | instid1(VALU_DEP_3)
	v_fma_f32 v16, v30, v34, -v16
	v_dual_mul_f32 v86, v46, v51 :: v_dual_mul_f32 v87, v48, v53
	v_add_f32_e32 v14, v14, v17
	v_add_f32_e32 v15, v15, v81
	v_mul_f32_e32 v18, v33, v37
	s_delay_alu instid0(VALU_DEP_4) | instskip(NEXT) | instid1(VALU_DEP_3)
	v_dual_fmac_f32 v84, v39, v42 :: v_dual_fmac_f32 v87, v49, v52
	v_dual_add_f32 v14, v14, v16 :: v_dual_add_f32 v15, v15, v82
	v_dual_mul_f32 v17, v39, v43 :: v_dual_mul_f32 v16, v41, v45
	s_delay_alu instid0(VALU_DEP_4) | instskip(SKIP_1) | instid1(VALU_DEP_4)
	v_fma_f32 v18, v32, v36, -v18
	v_fmac_f32_e32 v86, v47, v50
	v_add_f32_e32 v15, v15, v83
	s_delay_alu instid0(VALU_DEP_4)
	v_fma_f32 v17, v38, v42, -v17
	v_fma_f32 v16, v40, v44, -v16
	v_add_f32_e32 v14, v14, v18
	v_mul_f32_e32 v18, v47, v51
	v_add_f32_e32 v15, v15, v84
	s_wait_dscnt 0x2
	v_dual_fmac_f32 v88, v55, v58 :: v_dual_mul_f32 v19, v64, v69
	v_add_f32_e32 v14, v14, v17
	v_mul_f32_e32 v17, v49, v53
	v_add_f32_e32 v15, v15, v85
	v_fma_f32 v18, v46, v50, -v18
	v_fmac_f32_e32 v78, v57, v60
	v_add_f32_e32 v14, v14, v16
	v_dual_mul_f32 v16, v55, v59 :: v_dual_fmac_f32 v19, v65, v68
	v_add_f32_e32 v15, v15, v86
	v_fma_f32 v17, v48, v52, -v17
	s_delay_alu instid0(VALU_DEP_4) | instskip(SKIP_3) | instid1(VALU_DEP_3)
	v_add_f32_e32 v14, v14, v18
	v_mul_f32_e32 v18, v62, v67
	v_fma_f32 v16, v54, v58, -v16
	v_add_f32_e32 v15, v15, v87
	v_fmac_f32_e32 v18, v63, v66
	s_delay_alu instid0(VALU_DEP_2) | instskip(NEXT) | instid1(VALU_DEP_1)
	v_dual_add_f32 v15, v15, v88 :: v_dual_add_f32 v14, v14, v17
	v_dual_mul_f32 v17, v57, v61 :: v_dual_add_f32 v14, v14, v16
	s_delay_alu instid0(VALU_DEP_1) | instskip(SKIP_1) | instid1(VALU_DEP_2)
	v_fma_f32 v16, v56, v60, -v17
	v_mul_f32_e32 v17, v63, v67
	v_dual_add_f32 v15, v15, v78 :: v_dual_add_f32 v14, v14, v16
	s_delay_alu instid0(VALU_DEP_2) | instskip(SKIP_2) | instid1(VALU_DEP_3)
	v_fma_f32 v16, v62, v66, -v17
	v_mul_f32_e32 v17, v65, v69
	s_wait_dscnt 0x0
	v_dual_add_f32 v15, v15, v18 :: v_dual_mul_f32 v18, v70, v75
	s_delay_alu instid0(VALU_DEP_1) | instskip(NEXT) | instid1(VALU_DEP_3)
	v_dual_add_f32 v15, v15, v19 :: v_dual_add_f32 v14, v14, v16
	v_fma_f32 v16, v64, v68, -v17
	v_mul_f32_e32 v17, v71, v75
	s_delay_alu instid0(VALU_DEP_4) | instskip(NEXT) | instid1(VALU_DEP_1)
	v_dual_mul_f32 v19, v72, v77 :: v_dual_fmac_f32 v18, v71, v74
	v_fmac_f32_e32 v19, v73, v76
	s_delay_alu instid0(VALU_DEP_4) | instskip(NEXT) | instid1(VALU_DEP_4)
	v_add_f32_e32 v14, v14, v16
	v_fma_f32 v16, v70, v74, -v17
	v_mul_f32_e32 v17, v73, v77
	s_delay_alu instid0(VALU_DEP_2) | instskip(NEXT) | instid1(VALU_DEP_2)
	v_dual_add_f32 v15, v15, v18 :: v_dual_add_f32 v14, v14, v16
	v_fma_f32 v16, v72, v76, -v17
	s_delay_alu instid0(VALU_DEP_1) | instskip(NEXT) | instid1(VALU_DEP_1)
	v_dual_add_f32 v17, v15, v19 :: v_dual_add_f32 v14, v14, v16
	v_mul_f32_e32 v15, v2, v17
	v_mul_f32_e32 v16, v3, v17
	s_delay_alu instid0(VALU_DEP_2) | instskip(NEXT) | instid1(VALU_DEP_2)
	v_fmac_f32_e32 v15, v3, v14
	v_fma_f32 v14, v2, v14, -v16
	s_wait_alu 0xfffe
	v_add_co_u32 v2, vcc_lo, v12, s14
	s_wait_alu 0xfffd
	v_add_co_ci_u32_e64 v3, null, s15, v13, vcc_lo
	global_store_b64 v[2:3], v[14:15], off
	s_branch .LBB106_2
.LBB106_19:
	s_endpgm
	.section	.rodata,"a",@progbits
	.p2align	6, 0x0
	.amdhsa_kernel _ZL23rocblas_trmm_rTx_kernelILi16ELb1E19rocblas_complex_numIfEPKS1_S2_S1_Ev13rocblas_fill_17rocblas_diagonal_iiT2_lPT3_llS8_llPT4_lli
		.amdhsa_group_segment_fixed_size 4096
		.amdhsa_private_segment_fixed_size 0
		.amdhsa_kernarg_size 108
		.amdhsa_user_sgpr_count 2
		.amdhsa_user_sgpr_dispatch_ptr 0
		.amdhsa_user_sgpr_queue_ptr 0
		.amdhsa_user_sgpr_kernarg_segment_ptr 1
		.amdhsa_user_sgpr_dispatch_id 0
		.amdhsa_user_sgpr_private_segment_size 0
		.amdhsa_wavefront_size32 1
		.amdhsa_uses_dynamic_stack 0
		.amdhsa_enable_private_segment 0
		.amdhsa_system_sgpr_workgroup_id_x 1
		.amdhsa_system_sgpr_workgroup_id_y 0
		.amdhsa_system_sgpr_workgroup_id_z 1
		.amdhsa_system_sgpr_workgroup_info 0
		.amdhsa_system_vgpr_workitem_id 1
		.amdhsa_next_free_vgpr 89
		.amdhsa_next_free_sgpr 32
		.amdhsa_reserve_vcc 1
		.amdhsa_float_round_mode_32 0
		.amdhsa_float_round_mode_16_64 0
		.amdhsa_float_denorm_mode_32 3
		.amdhsa_float_denorm_mode_16_64 3
		.amdhsa_fp16_overflow 0
		.amdhsa_workgroup_processor_mode 1
		.amdhsa_memory_ordered 1
		.amdhsa_forward_progress 1
		.amdhsa_inst_pref_size 14
		.amdhsa_round_robin_scheduling 0
		.amdhsa_exception_fp_ieee_invalid_op 0
		.amdhsa_exception_fp_denorm_src 0
		.amdhsa_exception_fp_ieee_div_zero 0
		.amdhsa_exception_fp_ieee_overflow 0
		.amdhsa_exception_fp_ieee_underflow 0
		.amdhsa_exception_fp_ieee_inexact 0
		.amdhsa_exception_int_div_zero 0
	.end_amdhsa_kernel
	.section	.text._ZL23rocblas_trmm_rTx_kernelILi16ELb1E19rocblas_complex_numIfEPKS1_S2_S1_Ev13rocblas_fill_17rocblas_diagonal_iiT2_lPT3_llS8_llPT4_lli,"axG",@progbits,_ZL23rocblas_trmm_rTx_kernelILi16ELb1E19rocblas_complex_numIfEPKS1_S2_S1_Ev13rocblas_fill_17rocblas_diagonal_iiT2_lPT3_llS8_llPT4_lli,comdat
.Lfunc_end106:
	.size	_ZL23rocblas_trmm_rTx_kernelILi16ELb1E19rocblas_complex_numIfEPKS1_S2_S1_Ev13rocblas_fill_17rocblas_diagonal_iiT2_lPT3_llS8_llPT4_lli, .Lfunc_end106-_ZL23rocblas_trmm_rTx_kernelILi16ELb1E19rocblas_complex_numIfEPKS1_S2_S1_Ev13rocblas_fill_17rocblas_diagonal_iiT2_lPT3_llS8_llPT4_lli
                                        ; -- End function
	.set _ZL23rocblas_trmm_rTx_kernelILi16ELb1E19rocblas_complex_numIfEPKS1_S2_S1_Ev13rocblas_fill_17rocblas_diagonal_iiT2_lPT3_llS8_llPT4_lli.num_vgpr, 89
	.set _ZL23rocblas_trmm_rTx_kernelILi16ELb1E19rocblas_complex_numIfEPKS1_S2_S1_Ev13rocblas_fill_17rocblas_diagonal_iiT2_lPT3_llS8_llPT4_lli.num_agpr, 0
	.set _ZL23rocblas_trmm_rTx_kernelILi16ELb1E19rocblas_complex_numIfEPKS1_S2_S1_Ev13rocblas_fill_17rocblas_diagonal_iiT2_lPT3_llS8_llPT4_lli.numbered_sgpr, 32
	.set _ZL23rocblas_trmm_rTx_kernelILi16ELb1E19rocblas_complex_numIfEPKS1_S2_S1_Ev13rocblas_fill_17rocblas_diagonal_iiT2_lPT3_llS8_llPT4_lli.num_named_barrier, 0
	.set _ZL23rocblas_trmm_rTx_kernelILi16ELb1E19rocblas_complex_numIfEPKS1_S2_S1_Ev13rocblas_fill_17rocblas_diagonal_iiT2_lPT3_llS8_llPT4_lli.private_seg_size, 0
	.set _ZL23rocblas_trmm_rTx_kernelILi16ELb1E19rocblas_complex_numIfEPKS1_S2_S1_Ev13rocblas_fill_17rocblas_diagonal_iiT2_lPT3_llS8_llPT4_lli.uses_vcc, 1
	.set _ZL23rocblas_trmm_rTx_kernelILi16ELb1E19rocblas_complex_numIfEPKS1_S2_S1_Ev13rocblas_fill_17rocblas_diagonal_iiT2_lPT3_llS8_llPT4_lli.uses_flat_scratch, 0
	.set _ZL23rocblas_trmm_rTx_kernelILi16ELb1E19rocblas_complex_numIfEPKS1_S2_S1_Ev13rocblas_fill_17rocblas_diagonal_iiT2_lPT3_llS8_llPT4_lli.has_dyn_sized_stack, 0
	.set _ZL23rocblas_trmm_rTx_kernelILi16ELb1E19rocblas_complex_numIfEPKS1_S2_S1_Ev13rocblas_fill_17rocblas_diagonal_iiT2_lPT3_llS8_llPT4_lli.has_recursion, 0
	.set _ZL23rocblas_trmm_rTx_kernelILi16ELb1E19rocblas_complex_numIfEPKS1_S2_S1_Ev13rocblas_fill_17rocblas_diagonal_iiT2_lPT3_llS8_llPT4_lli.has_indirect_call, 0
	.section	.AMDGPU.csdata,"",@progbits
; Kernel info:
; codeLenInByte = 1676
; TotalNumSgprs: 34
; NumVgprs: 89
; ScratchSize: 0
; MemoryBound: 0
; FloatMode: 240
; IeeeMode: 1
; LDSByteSize: 4096 bytes/workgroup (compile time only)
; SGPRBlocks: 0
; VGPRBlocks: 11
; NumSGPRsForWavesPerEU: 34
; NumVGPRsForWavesPerEU: 89
; Occupancy: 16
; WaveLimiterHint : 0
; COMPUTE_PGM_RSRC2:SCRATCH_EN: 0
; COMPUTE_PGM_RSRC2:USER_SGPR: 2
; COMPUTE_PGM_RSRC2:TRAP_HANDLER: 0
; COMPUTE_PGM_RSRC2:TGID_X_EN: 1
; COMPUTE_PGM_RSRC2:TGID_Y_EN: 0
; COMPUTE_PGM_RSRC2:TGID_Z_EN: 1
; COMPUTE_PGM_RSRC2:TIDIG_COMP_CNT: 1
	.section	.text._ZL23rocblas_trmm_rTx_kernelILi16ELb1E19rocblas_complex_numIfES1_KS1_S1_Ev13rocblas_fill_17rocblas_diagonal_iiT2_lPT3_llS7_llPT4_lli,"axG",@progbits,_ZL23rocblas_trmm_rTx_kernelILi16ELb1E19rocblas_complex_numIfES1_KS1_S1_Ev13rocblas_fill_17rocblas_diagonal_iiT2_lPT3_llS7_llPT4_lli,comdat
	.globl	_ZL23rocblas_trmm_rTx_kernelILi16ELb1E19rocblas_complex_numIfES1_KS1_S1_Ev13rocblas_fill_17rocblas_diagonal_iiT2_lPT3_llS7_llPT4_lli ; -- Begin function _ZL23rocblas_trmm_rTx_kernelILi16ELb1E19rocblas_complex_numIfES1_KS1_S1_Ev13rocblas_fill_17rocblas_diagonal_iiT2_lPT3_llS7_llPT4_lli
	.p2align	8
	.type	_ZL23rocblas_trmm_rTx_kernelILi16ELb1E19rocblas_complex_numIfES1_KS1_S1_Ev13rocblas_fill_17rocblas_diagonal_iiT2_lPT3_llS7_llPT4_lli,@function
_ZL23rocblas_trmm_rTx_kernelILi16ELb1E19rocblas_complex_numIfES1_KS1_S1_Ev13rocblas_fill_17rocblas_diagonal_iiT2_lPT3_llS7_llPT4_lli: ; @_ZL23rocblas_trmm_rTx_kernelILi16ELb1E19rocblas_complex_numIfES1_KS1_S1_Ev13rocblas_fill_17rocblas_diagonal_iiT2_lPT3_llS7_llPT4_lli
; %bb.0:
	s_load_b32 s28, s[0:1], 0x68
	s_lshr_b32 s2, ttmp7, 16
	s_wait_kmcnt 0x0
	s_cmp_ge_u32 s2, s28
	s_cbranch_scc1 .LBB107_19
; %bb.1:
	s_clause 0x2
	s_load_b64 s[24:25], s[0:1], 0x10
	s_load_b128 s[20:23], s[0:1], 0x0
	s_load_b512 s[4:19], s[0:1], 0x20
	v_bfe_u32 v15, v0, 10, 10
	s_load_b64 s[26:27], s[0:1], 0x60
	v_dual_mov_b32 v1, 0 :: v_dual_and_b32 v0, 0x3ff, v0
	s_delay_alu instid0(VALU_DEP_1)
	v_lshlrev_b64_e32 v[10:11], 3, v[0:1]
	s_wait_kmcnt 0x0
	s_cmp_neq_f32 s24, 0
	v_cmp_gt_i32_e32 vcc_lo, s23, v15
	v_mad_co_u64_u32 v[4:5], null, s6, v15, 0
	v_mad_co_u64_u32 v[6:7], null, s12, v15, 0
	;; [unrolled: 1-line block ×3, first 2 shown]
	s_cselect_b32 s1, -1, 0
	s_cmp_neq_f32 s25, 0
	v_cmp_gt_i32_e64 s0, s23, v0
	v_mad_co_u64_u32 v[12:13], null, s7, v15, v[5:6]
	s_cselect_b32 s3, -1, 0
	s_add_co_i32 s12, s22, -1
	v_mad_co_u64_u32 v[13:14], null, s13, v15, v[7:8]
	s_wait_alu 0xfffe
	s_ashr_i32 s18, s12, 31
	s_or_b32 s6, s1, s3
	s_wait_alu 0xfffe
	s_lshr_b32 s1, s18, 28
	v_dual_mov_b32 v5, v12 :: v_dual_lshlrev_b32 v2, 4, v15
	s_add_co_i32 s12, s12, s1
	v_mov_b32_e32 v7, v13
	s_wait_alu 0xfffe
	s_and_b32 s1, s12, -16
	s_ashr_i32 s3, s12, 4
	s_sub_co_i32 s1, s22, s1
	s_cmp_ge_i32 ttmp9, s3
	v_mad_co_u64_u32 v[12:13], null, s19, v15, v[9:10]
	s_cselect_b32 s1, s1, 16
	s_lshl_b32 s12, ttmp9, 4
	v_lshlrev_b64_e32 v[4:5], 3, v[4:5]
	s_wait_alu 0xfffe
	s_ashr_i32 s13, s12, 31
	v_lshlrev_b64_e32 v[6:7], 3, v[6:7]
	s_and_b32 s7, vcc_lo, s0
	v_cmp_gt_i32_e64 s0, s1, v0
	s_wait_alu 0xfffe
	s_lshl_b64 s[12:13], s[12:13], 3
	v_mov_b32_e32 v9, v12
	s_wait_alu 0xfffe
	s_add_nc_u64 s[10:11], s[10:11], s[12:13]
	v_add_co_u32 v4, s1, s4, v4
	s_and_b32 s4, vcc_lo, s0
	v_add_co_u32 v6, vcc_lo, s10, v6
	s_delay_alu instid0(VALU_DEP_1)
	v_add_co_ci_u32_e64 v7, null, s11, v7, vcc_lo
	v_lshlrev_b64_e32 v[12:13], 3, v[8:9]
	v_add_co_ci_u32_e64 v5, null, s5, v5, s1
	v_cmp_eq_u32_e32 vcc_lo, v15, v0
	s_cmp_eq_u32 s21, 0x84
	v_add_co_u32 v6, s0, v6, v10
	s_add_nc_u64 s[12:13], s[16:17], s[12:13]
	v_add_co_u32 v4, s1, v4, v10
	v_add_co_ci_u32_e64 v7, null, v7, v11, s0
	s_cselect_b32 s0, -1, 0
	v_add_lshl_u32 v2, v2, v0, 3
	s_wait_alu 0xf1ff
	v_add_co_ci_u32_e64 v5, null, v5, v11, s1
	s_wait_alu 0xfffe
	s_and_b32 s5, vcc_lo, s0
	v_cmp_lt_u32_e64 s0, v0, v15
	v_cmp_gt_u32_e64 s1, v0, v15
	v_lshl_add_u32 v8, v0, 3, 0x800
	v_add_co_u32 v0, vcc_lo, s12, v12
	s_wait_alu 0xfffd
	v_add_co_ci_u32_e64 v12, null, s13, v13, vcc_lo
	v_add_nc_u32_e32 v3, 0x800, v2
	s_delay_alu instid0(VALU_DEP_3)
	v_add_co_u32 v10, vcc_lo, v0, v10
	v_lshlrev_b32_e32 v9, 3, v15
	s_wait_alu 0xfffd
	v_add_co_ci_u32_e64 v11, null, v12, v11, vcc_lo
	v_mov_b32_e32 v0, 1.0
	s_cmp_lg_u32 s20, 0x79
	s_mov_b32 s3, 0
	s_cselect_b32 s10, -1, 0
	s_branch .LBB107_4
.LBB107_2:                              ;   in Loop: Header=BB107_4 Depth=1
	s_wait_alu 0xfffe
	s_or_b32 exec_lo, exec_lo, s11
.LBB107_3:                              ;   in Loop: Header=BB107_4 Depth=1
	s_add_co_i32 s2, s2, 0x10000
	s_delay_alu instid0(SALU_CYCLE_1)
	s_cmp_lt_u32 s2, s28
	s_cbranch_scc0 .LBB107_19
.LBB107_4:                              ; =>This Inner Loop Header: Depth=1
	s_and_not1_b32 vcc_lo, exec_lo, s6
	s_wait_alu 0xfffe
	s_cbranch_vccnz .LBB107_3
; %bb.5:                                ;   in Loop: Header=BB107_4 Depth=1
	s_mov_b32 s12, s3
	s_mov_b32 s13, s3
	s_wait_alu 0xfffe
	v_dual_mov_b32 v12, s12 :: v_dual_mov_b32 v13, s13
	ds_store_b64 v2, v[12:13]
	ds_store_b64 v3, v[12:13]
	s_and_saveexec_b32 s11, s7
	s_cbranch_execnz .LBB107_10
; %bb.6:                                ;   in Loop: Header=BB107_4 Depth=1
	s_wait_alu 0xfffe
	s_or_b32 exec_lo, exec_lo, s11
	s_and_saveexec_b32 s11, s4
	s_cbranch_execnz .LBB107_11
.LBB107_7:                              ;   in Loop: Header=BB107_4 Depth=1
	s_wait_alu 0xfffe
	s_or_b32 exec_lo, exec_lo, s11
	s_and_saveexec_b32 s11, s5
	s_cbranch_execnz .LBB107_12
.LBB107_8:                              ;   in Loop: Header=BB107_4 Depth=1
	s_wait_alu 0xfffe
	s_or_b32 exec_lo, exec_lo, s11
	s_delay_alu instid0(SALU_CYCLE_1)
	s_and_b32 vcc_lo, exec_lo, s10
	s_wait_alu 0xfffe
	s_cbranch_vccz .LBB107_13
.LBB107_9:                              ;   in Loop: Header=BB107_4 Depth=1
	s_and_b32 s11, s0, exec_lo
	s_cbranch_execz .LBB107_14
	s_branch .LBB107_15
.LBB107_10:                             ;   in Loop: Header=BB107_4 Depth=1
	s_mul_u64 s[12:13], s[8:9], s[2:3]
	s_wait_alu 0xfffe
	s_lshl_b64 s[12:13], s[12:13], 3
	s_wait_alu 0xfffe
	v_add_co_u32 v12, vcc_lo, v4, s12
	s_wait_alu 0xfffd
	v_add_co_ci_u32_e64 v13, null, s13, v5, vcc_lo
	global_load_b64 v[12:13], v[12:13], off
	s_wait_loadcnt 0x0
	v_xor_b32_e32 v13, 0x80000000, v13
	ds_store_b64 v2, v[12:13]
	s_or_b32 exec_lo, exec_lo, s11
	s_and_saveexec_b32 s11, s4
	s_cbranch_execz .LBB107_7
.LBB107_11:                             ;   in Loop: Header=BB107_4 Depth=1
	s_mul_u64 s[12:13], s[14:15], s[2:3]
	s_wait_alu 0xfffe
	s_lshl_b64 s[12:13], s[12:13], 3
	s_wait_alu 0xfffe
	v_add_co_u32 v12, vcc_lo, v6, s12
	s_wait_alu 0xfffd
	v_add_co_ci_u32_e64 v13, null, s13, v7, vcc_lo
	global_load_b64 v[12:13], v[12:13], off
	s_wait_loadcnt 0x0
	ds_store_b64 v3, v[12:13]
	s_or_b32 exec_lo, exec_lo, s11
	s_and_saveexec_b32 s11, s5
	s_cbranch_execz .LBB107_8
.LBB107_12:                             ;   in Loop: Header=BB107_4 Depth=1
	ds_store_b64 v2, v[0:1]
	s_wait_alu 0xfffe
	s_or_b32 exec_lo, exec_lo, s11
	s_delay_alu instid0(SALU_CYCLE_1)
	s_and_b32 vcc_lo, exec_lo, s10
	s_wait_alu 0xfffe
	s_cbranch_vccnz .LBB107_9
.LBB107_13:                             ;   in Loop: Header=BB107_4 Depth=1
	s_mov_b32 s11, 0
.LBB107_14:                             ;   in Loop: Header=BB107_4 Depth=1
	s_wait_alu 0xfffe
	s_and_not1_b32 s11, s11, exec_lo
	s_and_b32 s12, s1, exec_lo
	s_wait_alu 0xfffe
	s_or_b32 s11, s11, s12
.LBB107_15:                             ;   in Loop: Header=BB107_4 Depth=1
	s_wait_alu 0xfffe
	s_and_saveexec_b32 s12, s11
; %bb.16:                               ;   in Loop: Header=BB107_4 Depth=1
	v_dual_mov_b32 v12, v1 :: v_dual_mov_b32 v13, v1
	ds_store_b64 v2, v[12:13]
; %bb.17:                               ;   in Loop: Header=BB107_4 Depth=1
	s_wait_alu 0xfffe
	s_or_b32 exec_lo, exec_lo, s12
	s_wait_dscnt 0x0
	s_barrier_signal -1
	s_barrier_wait -1
	global_inv scope:SCOPE_SE
	s_and_saveexec_b32 s11, s4
	s_cbranch_execz .LBB107_2
; %bb.18:                               ;   in Loop: Header=BB107_4 Depth=1
	ds_load_2addr_b64 v[12:15], v9 offset1:16
	ds_load_2addr_b64 v[16:19], v8 offset1:16
	ds_load_2addr_b64 v[20:23], v9 offset0:32 offset1:48
	ds_load_2addr_b64 v[24:27], v8 offset0:32 offset1:48
	;; [unrolled: 1-line block ×14, first 2 shown]
	s_mul_u64 s[12:13], s[26:27], s[2:3]
	s_wait_alu 0xfffe
	s_lshl_b64 s[12:13], s[12:13], 3
	s_wait_dscnt 0xe
	v_dual_mul_f32 v76, v12, v17 :: v_dual_mul_f32 v77, v14, v19
	s_wait_dscnt 0xc
	v_dual_mul_f32 v78, v20, v25 :: v_dual_mul_f32 v79, v22, v27
	;; [unrolled: 2-line block ×3, first 2 shown]
	v_dual_fmac_f32 v76, v13, v16 :: v_dual_fmac_f32 v77, v15, v18
	v_mul_f32_e32 v13, v13, v17
	v_dual_mul_f32 v15, v15, v19 :: v_dual_fmac_f32 v78, v21, v24
	s_wait_dscnt 0x4
	s_delay_alu instid0(VALU_DEP_3) | instskip(SKIP_3) | instid1(VALU_DEP_4)
	v_dual_mul_f32 v86, v52, v57 :: v_dual_add_f32 v17, 0, v76
	v_mul_f32_e32 v76, v54, v59
	v_fma_f32 v12, v12, v16, -v13
	v_dual_mul_f32 v16, v21, v25 :: v_dual_fmac_f32 v79, v23, v26
	v_add_f32_e32 v13, v17, v77
	v_fma_f32 v14, v14, v18, -v15
	s_delay_alu instid0(VALU_DEP_4) | instskip(NEXT) | instid1(VALU_DEP_4)
	v_dual_add_f32 v12, 0, v12 :: v_dual_mul_f32 v15, v23, v27
	v_fma_f32 v16, v20, v24, -v16
	v_dual_mul_f32 v82, v36, v41 :: v_dual_mul_f32 v83, v38, v43
	s_delay_alu instid0(VALU_DEP_3)
	v_add_f32_e32 v12, v12, v14
	v_add_f32_e32 v13, v13, v78
	v_mul_f32_e32 v14, v29, v33
	v_fma_f32 v15, v22, v26, -v15
	v_dual_fmac_f32 v80, v29, v32 :: v_dual_fmac_f32 v81, v31, v34
	v_dual_add_f32 v12, v12, v16 :: v_dual_fmac_f32 v83, v39, v42
	s_delay_alu instid0(VALU_DEP_4) | instskip(SKIP_1) | instid1(VALU_DEP_3)
	v_fma_f32 v14, v28, v32, -v14
	v_dual_mul_f32 v84, v44, v49 :: v_dual_mul_f32 v85, v46, v51
	v_add_f32_e32 v12, v12, v15
	v_add_f32_e32 v13, v13, v79
	v_mul_f32_e32 v16, v31, v35
	s_delay_alu instid0(VALU_DEP_4) | instskip(NEXT) | instid1(VALU_DEP_3)
	v_dual_fmac_f32 v82, v37, v40 :: v_dual_fmac_f32 v85, v47, v50
	v_dual_add_f32 v12, v12, v14 :: v_dual_add_f32 v13, v13, v80
	v_dual_mul_f32 v15, v37, v41 :: v_dual_mul_f32 v14, v39, v43
	s_delay_alu instid0(VALU_DEP_4) | instskip(SKIP_1) | instid1(VALU_DEP_4)
	v_fma_f32 v16, v30, v34, -v16
	v_fmac_f32_e32 v84, v45, v48
	v_add_f32_e32 v13, v13, v81
	s_delay_alu instid0(VALU_DEP_4)
	v_fma_f32 v15, v36, v40, -v15
	v_fma_f32 v14, v38, v42, -v14
	v_add_f32_e32 v12, v12, v16
	v_mul_f32_e32 v16, v45, v49
	v_add_f32_e32 v13, v13, v82
	s_wait_dscnt 0x2
	v_dual_fmac_f32 v86, v53, v56 :: v_dual_mul_f32 v17, v62, v67
	v_add_f32_e32 v12, v12, v15
	v_mul_f32_e32 v15, v47, v51
	v_add_f32_e32 v13, v13, v83
	v_fma_f32 v16, v44, v48, -v16
	v_fmac_f32_e32 v76, v55, v58
	v_add_f32_e32 v12, v12, v14
	v_dual_mul_f32 v14, v53, v57 :: v_dual_fmac_f32 v17, v63, v66
	v_add_f32_e32 v13, v13, v84
	v_fma_f32 v15, v46, v50, -v15
	s_delay_alu instid0(VALU_DEP_4) | instskip(SKIP_3) | instid1(VALU_DEP_3)
	v_add_f32_e32 v12, v12, v16
	v_mul_f32_e32 v16, v60, v65
	v_fma_f32 v14, v52, v56, -v14
	v_add_f32_e32 v13, v13, v85
	v_fmac_f32_e32 v16, v61, v64
	s_delay_alu instid0(VALU_DEP_2) | instskip(NEXT) | instid1(VALU_DEP_1)
	v_dual_add_f32 v13, v13, v86 :: v_dual_add_f32 v12, v12, v15
	v_dual_mul_f32 v15, v55, v59 :: v_dual_add_f32 v12, v12, v14
	s_delay_alu instid0(VALU_DEP_1) | instskip(SKIP_1) | instid1(VALU_DEP_2)
	v_fma_f32 v14, v54, v58, -v15
	v_mul_f32_e32 v15, v61, v65
	v_dual_add_f32 v13, v13, v76 :: v_dual_add_f32 v12, v12, v14
	s_delay_alu instid0(VALU_DEP_2) | instskip(SKIP_2) | instid1(VALU_DEP_3)
	v_fma_f32 v14, v60, v64, -v15
	v_mul_f32_e32 v15, v63, v67
	s_wait_dscnt 0x0
	v_dual_add_f32 v13, v13, v16 :: v_dual_mul_f32 v16, v68, v73
	s_delay_alu instid0(VALU_DEP_1) | instskip(NEXT) | instid1(VALU_DEP_3)
	v_dual_add_f32 v13, v13, v17 :: v_dual_add_f32 v12, v12, v14
	v_fma_f32 v14, v62, v66, -v15
	v_mul_f32_e32 v15, v69, v73
	s_delay_alu instid0(VALU_DEP_4) | instskip(NEXT) | instid1(VALU_DEP_1)
	v_dual_mul_f32 v17, v70, v75 :: v_dual_fmac_f32 v16, v69, v72
	v_fmac_f32_e32 v17, v71, v74
	s_delay_alu instid0(VALU_DEP_4) | instskip(NEXT) | instid1(VALU_DEP_4)
	v_add_f32_e32 v12, v12, v14
	v_fma_f32 v14, v68, v72, -v15
	v_mul_f32_e32 v15, v71, v75
	s_delay_alu instid0(VALU_DEP_2) | instskip(NEXT) | instid1(VALU_DEP_2)
	v_dual_add_f32 v13, v13, v16 :: v_dual_add_f32 v12, v12, v14
	v_fma_f32 v14, v70, v74, -v15
	s_delay_alu instid0(VALU_DEP_1) | instskip(NEXT) | instid1(VALU_DEP_1)
	v_dual_add_f32 v15, v13, v17 :: v_dual_add_f32 v12, v12, v14
	v_mul_f32_e32 v13, s24, v15
	s_delay_alu instid0(VALU_DEP_1) | instskip(NEXT) | instid1(VALU_DEP_1)
	v_dual_mul_f32 v14, s25, v15 :: v_dual_fmac_f32 v13, s25, v12
	v_fma_f32 v12, s24, v12, -v14
	s_wait_alu 0xfffe
	v_add_co_u32 v14, vcc_lo, v10, s12
	s_wait_alu 0xfffd
	v_add_co_ci_u32_e64 v15, null, s13, v11, vcc_lo
	global_store_b64 v[14:15], v[12:13], off
	s_branch .LBB107_2
.LBB107_19:
	s_endpgm
	.section	.rodata,"a",@progbits
	.p2align	6, 0x0
	.amdhsa_kernel _ZL23rocblas_trmm_rTx_kernelILi16ELb1E19rocblas_complex_numIfES1_KS1_S1_Ev13rocblas_fill_17rocblas_diagonal_iiT2_lPT3_llS7_llPT4_lli
		.amdhsa_group_segment_fixed_size 4096
		.amdhsa_private_segment_fixed_size 0
		.amdhsa_kernarg_size 108
		.amdhsa_user_sgpr_count 2
		.amdhsa_user_sgpr_dispatch_ptr 0
		.amdhsa_user_sgpr_queue_ptr 0
		.amdhsa_user_sgpr_kernarg_segment_ptr 1
		.amdhsa_user_sgpr_dispatch_id 0
		.amdhsa_user_sgpr_private_segment_size 0
		.amdhsa_wavefront_size32 1
		.amdhsa_uses_dynamic_stack 0
		.amdhsa_enable_private_segment 0
		.amdhsa_system_sgpr_workgroup_id_x 1
		.amdhsa_system_sgpr_workgroup_id_y 0
		.amdhsa_system_sgpr_workgroup_id_z 1
		.amdhsa_system_sgpr_workgroup_info 0
		.amdhsa_system_vgpr_workitem_id 1
		.amdhsa_next_free_vgpr 87
		.amdhsa_next_free_sgpr 29
		.amdhsa_reserve_vcc 1
		.amdhsa_float_round_mode_32 0
		.amdhsa_float_round_mode_16_64 0
		.amdhsa_float_denorm_mode_32 3
		.amdhsa_float_denorm_mode_16_64 3
		.amdhsa_fp16_overflow 0
		.amdhsa_workgroup_processor_mode 1
		.amdhsa_memory_ordered 1
		.amdhsa_forward_progress 1
		.amdhsa_inst_pref_size 14
		.amdhsa_round_robin_scheduling 0
		.amdhsa_exception_fp_ieee_invalid_op 0
		.amdhsa_exception_fp_denorm_src 0
		.amdhsa_exception_fp_ieee_div_zero 0
		.amdhsa_exception_fp_ieee_overflow 0
		.amdhsa_exception_fp_ieee_underflow 0
		.amdhsa_exception_fp_ieee_inexact 0
		.amdhsa_exception_int_div_zero 0
	.end_amdhsa_kernel
	.section	.text._ZL23rocblas_trmm_rTx_kernelILi16ELb1E19rocblas_complex_numIfES1_KS1_S1_Ev13rocblas_fill_17rocblas_diagonal_iiT2_lPT3_llS7_llPT4_lli,"axG",@progbits,_ZL23rocblas_trmm_rTx_kernelILi16ELb1E19rocblas_complex_numIfES1_KS1_S1_Ev13rocblas_fill_17rocblas_diagonal_iiT2_lPT3_llS7_llPT4_lli,comdat
.Lfunc_end107:
	.size	_ZL23rocblas_trmm_rTx_kernelILi16ELb1E19rocblas_complex_numIfES1_KS1_S1_Ev13rocblas_fill_17rocblas_diagonal_iiT2_lPT3_llS7_llPT4_lli, .Lfunc_end107-_ZL23rocblas_trmm_rTx_kernelILi16ELb1E19rocblas_complex_numIfES1_KS1_S1_Ev13rocblas_fill_17rocblas_diagonal_iiT2_lPT3_llS7_llPT4_lli
                                        ; -- End function
	.set _ZL23rocblas_trmm_rTx_kernelILi16ELb1E19rocblas_complex_numIfES1_KS1_S1_Ev13rocblas_fill_17rocblas_diagonal_iiT2_lPT3_llS7_llPT4_lli.num_vgpr, 87
	.set _ZL23rocblas_trmm_rTx_kernelILi16ELb1E19rocblas_complex_numIfES1_KS1_S1_Ev13rocblas_fill_17rocblas_diagonal_iiT2_lPT3_llS7_llPT4_lli.num_agpr, 0
	.set _ZL23rocblas_trmm_rTx_kernelILi16ELb1E19rocblas_complex_numIfES1_KS1_S1_Ev13rocblas_fill_17rocblas_diagonal_iiT2_lPT3_llS7_llPT4_lli.numbered_sgpr, 29
	.set _ZL23rocblas_trmm_rTx_kernelILi16ELb1E19rocblas_complex_numIfES1_KS1_S1_Ev13rocblas_fill_17rocblas_diagonal_iiT2_lPT3_llS7_llPT4_lli.num_named_barrier, 0
	.set _ZL23rocblas_trmm_rTx_kernelILi16ELb1E19rocblas_complex_numIfES1_KS1_S1_Ev13rocblas_fill_17rocblas_diagonal_iiT2_lPT3_llS7_llPT4_lli.private_seg_size, 0
	.set _ZL23rocblas_trmm_rTx_kernelILi16ELb1E19rocblas_complex_numIfES1_KS1_S1_Ev13rocblas_fill_17rocblas_diagonal_iiT2_lPT3_llS7_llPT4_lli.uses_vcc, 1
	.set _ZL23rocblas_trmm_rTx_kernelILi16ELb1E19rocblas_complex_numIfES1_KS1_S1_Ev13rocblas_fill_17rocblas_diagonal_iiT2_lPT3_llS7_llPT4_lli.uses_flat_scratch, 0
	.set _ZL23rocblas_trmm_rTx_kernelILi16ELb1E19rocblas_complex_numIfES1_KS1_S1_Ev13rocblas_fill_17rocblas_diagonal_iiT2_lPT3_llS7_llPT4_lli.has_dyn_sized_stack, 0
	.set _ZL23rocblas_trmm_rTx_kernelILi16ELb1E19rocblas_complex_numIfES1_KS1_S1_Ev13rocblas_fill_17rocblas_diagonal_iiT2_lPT3_llS7_llPT4_lli.has_recursion, 0
	.set _ZL23rocblas_trmm_rTx_kernelILi16ELb1E19rocblas_complex_numIfES1_KS1_S1_Ev13rocblas_fill_17rocblas_diagonal_iiT2_lPT3_llS7_llPT4_lli.has_indirect_call, 0
	.section	.AMDGPU.csdata,"",@progbits
; Kernel info:
; codeLenInByte = 1676
; TotalNumSgprs: 31
; NumVgprs: 87
; ScratchSize: 0
; MemoryBound: 0
; FloatMode: 240
; IeeeMode: 1
; LDSByteSize: 4096 bytes/workgroup (compile time only)
; SGPRBlocks: 0
; VGPRBlocks: 10
; NumSGPRsForWavesPerEU: 31
; NumVGPRsForWavesPerEU: 87
; Occupancy: 16
; WaveLimiterHint : 0
; COMPUTE_PGM_RSRC2:SCRATCH_EN: 0
; COMPUTE_PGM_RSRC2:USER_SGPR: 2
; COMPUTE_PGM_RSRC2:TRAP_HANDLER: 0
; COMPUTE_PGM_RSRC2:TGID_X_EN: 1
; COMPUTE_PGM_RSRC2:TGID_Y_EN: 0
; COMPUTE_PGM_RSRC2:TGID_Z_EN: 1
; COMPUTE_PGM_RSRC2:TIDIG_COMP_CNT: 1
	.section	.text._ZL30rocblas_trmm_outofplace_kernelI19rocblas_complex_numIdELi32ELi2ELb1ELb0ELb0ELb0EPKS1_S2_S1_Ev17rocblas_diagonal_iiT6_lPT7_lllS7_lllPT8_llli,"axG",@progbits,_ZL30rocblas_trmm_outofplace_kernelI19rocblas_complex_numIdELi32ELi2ELb1ELb0ELb0ELb0EPKS1_S2_S1_Ev17rocblas_diagonal_iiT6_lPT7_lllS7_lllPT8_llli,comdat
	.globl	_ZL30rocblas_trmm_outofplace_kernelI19rocblas_complex_numIdELi32ELi2ELb1ELb0ELb0ELb0EPKS1_S2_S1_Ev17rocblas_diagonal_iiT6_lPT7_lllS7_lllPT8_llli ; -- Begin function _ZL30rocblas_trmm_outofplace_kernelI19rocblas_complex_numIdELi32ELi2ELb1ELb0ELb0ELb0EPKS1_S2_S1_Ev17rocblas_diagonal_iiT6_lPT7_lllS7_lllPT8_llli
	.p2align	8
	.type	_ZL30rocblas_trmm_outofplace_kernelI19rocblas_complex_numIdELi32ELi2ELb1ELb0ELb0ELb0EPKS1_S2_S1_Ev17rocblas_diagonal_iiT6_lPT7_lllS7_lllPT8_llli,@function
_ZL30rocblas_trmm_outofplace_kernelI19rocblas_complex_numIdELi32ELi2ELb1ELb0ELb0ELb0EPKS1_S2_S1_Ev17rocblas_diagonal_iiT6_lPT7_lllS7_lllPT8_llli: ; @_ZL30rocblas_trmm_outofplace_kernelI19rocblas_complex_numIdELi32ELi2ELb1ELb0ELb0ELb0EPKS1_S2_S1_Ev17rocblas_diagonal_iiT6_lPT7_lllS7_lllPT8_llli
; %bb.0:
	s_load_b32 s11, s[0:1], 0x80
	s_lshr_b32 s34, ttmp7, 16
	s_wait_kmcnt 0x0
	s_cmp_ge_u32 s34, s11
	s_cbranch_scc1 .LBB108_67
; %bb.1:
	s_clause 0x3
	s_load_b96 s[8:10], s[0:1], 0x0
	s_load_b256 s[36:43], s[0:1], 0x50
	s_load_b512 s[12:27], s[0:1], 0x10
	s_load_b128 s[28:31], s[0:1], 0x70
	s_add_nc_u64 s[44:45], s[0:1], 0x88
	s_and_b32 s33, ttmp7, 0xffff
	v_bfe_u32 v68, v0, 10, 10
	v_dual_mov_b32 v0, 0 :: v_dual_and_b32 v69, 0x3ff, v0
	s_mov_b32 s35, 0
	s_delay_alu instid0(VALU_DEP_2) | instskip(NEXT) | instid1(VALU_DEP_2)
	v_lshlrev_b32_e32 v1, 9, v68
	v_lshlrev_b32_e32 v70, 4, v69
	v_lshl_add_u32 v7, v68, 4, 0x100
	v_lshl_add_u32 v74, s33, 5, v68
	s_delay_alu instid0(VALU_DEP_4) | instskip(NEXT) | instid1(VALU_DEP_4)
	v_add_nc_u32_e32 v71, 0x4000, v1
	v_add_nc_u32_e32 v72, v70, v1
	s_wait_kmcnt 0x0
	s_add_co_i32 s2, s10, -1
	s_mov_b32 s51, s10
	s_ashr_i32 s0, s2, 31
	v_mad_co_u64_u32 v[3:4], null, s20, v68, 0
	s_lshr_b32 s0, s0, 27
	s_delay_alu instid0(SALU_CYCLE_1)
	s_add_co_i32 s2, s2, s0
	s_lshl_b64 s[0:1], s[42:43], 4
	s_ashr_i32 s50, s2, 5
	s_mov_b32 s42, s9
	s_cmp_le_i32 s33, s50
	v_mad_co_u64_u32 v[4:5], null, s21, v68, v[4:5]
	s_cselect_b32 s52, -1, 0
	s_lshl_b32 s53, ttmp9, 5
	s_cmp_gt_i32 ttmp9, -1
	v_add_nc_u32_e32 v16, s53, v69
	s_cselect_b32 s54, -1, 0
	s_cmp_eq_u32 s8, 0x84
	v_lshlrev_b64_e32 v[3:4], 4, v[3:4]
	s_cselect_b32 s55, -1, 0
	v_add_nc_u32_e32 v1, 16, v16
	v_ashrrev_i32_e32 v17, 31, v16
	s_lshl_b64 s[6:7], s[18:19], 4
	v_add_co_u32 v18, vcc_lo, v16, 16
	s_add_nc_u64 s[6:7], s[16:17], s[6:7]
	v_ashrrev_i32_e32 v2, 31, v1
	v_add_co_ci_u32_e64 v19, null, 0, v17, vcc_lo
	v_sub_co_u32 v20, vcc_lo, v16, v68
	s_lshl_b64 s[4:5], s[26:27], 4
	v_mad_co_u64_u32 v[5:6], null, s20, v7, s[6:7]
	s_wait_alu 0xfffd
	v_subrev_co_ci_u32_e64 v21, null, 0, v17, vcc_lo
	s_add_nc_u64 s[4:5], s[24:25], s[4:5]
	v_cmp_gt_i32_e64 s2, s9, v1
	v_lshlrev_b64_e32 v[34:35], 4, v[1:2]
	v_mov_b32_e32 v1, 0x3ff00000
	v_add_co_u32 v8, s4, s4, v70
	v_add_co_u32 v22, vcc_lo, v20, 16
	s_wait_alu 0xf1ff
	v_add_co_ci_u32_e64 v9, null, s5, 0, s4
	s_wait_alu 0xfffd
	v_add_co_ci_u32_e64 v23, null, 0, v21, vcc_lo
	v_add_co_u32 v24, vcc_lo, v20, -16
	v_mad_co_u64_u32 v[6:7], null, s21, v7, v[6:7]
	s_wait_alu 0xfffd
	v_add_co_ci_u32_e64 v25, null, -1, v21, vcc_lo
	v_add_co_u32 v26, vcc_lo, 0x100, v8
	s_wait_alu 0xfffd
	v_add_co_ci_u32_e64 v27, null, 0, v9, vcc_lo
	v_add_co_u32 v3, vcc_lo, s6, v3
	s_wait_alu 0xfffd
	v_add_co_ci_u32_e64 v4, null, s7, v4, vcc_lo
	v_add_co_u32 v30, vcc_lo, 0x100, v5
	s_ashr_i32 s43, s9, 31
	s_wait_alu 0xfffd
	v_add_co_ci_u32_e64 v31, null, 0, v6, vcc_lo
	v_add_co_u32 v32, vcc_lo, 0x100, v3
	v_cmp_le_i64_e64 s3, s[42:43], v[18:19]
	v_lshlrev_b64_e32 v[28:29], 4, v[16:17]
	v_add_nc_u32_e32 v73, v71, v70
	s_add_nc_u64 s[40:41], s[40:41], s[0:1]
	v_cmp_le_i32_e64 s0, s9, v16
	v_cmp_gt_i32_e64 s1, s9, v16
	s_wait_alu 0xfffd
	v_add_co_ci_u32_e64 v33, null, 0, v4, vcc_lo
	s_ashr_i32 s56, s10, 31
	s_lshl_b64 s[46:47], s[20:21], 9
	s_add_nc_u64 s[48:49], s[42:43], -16
	s_lshl_b64 s[16:17], s[38:39], 4
	s_lshl_b64 s[18:19], s[36:37], 4
	;; [unrolled: 1-line block ×3, first 2 shown]
	s_branch .LBB108_4
.LBB108_2:                              ;   in Loop: Header=BB108_4 Depth=1
	s_add_co_i32 s34, s34, 0x10000
	s_wait_alu 0xfffe
	s_cmp_ge_u32 s34, s11
	s_cselect_b32 s4, -1, 0
.LBB108_3:                              ;   in Loop: Header=BB108_4 Depth=1
	s_wait_alu 0xfffe
	s_and_b32 vcc_lo, exec_lo, s4
	s_wait_alu 0xfffe
	s_cbranch_vccnz .LBB108_67
.LBB108_4:                              ; =>This Loop Header: Depth=1
                                        ;     Child Loop BB108_8 Depth 2
                                        ;       Child Loop BB108_11 Depth 3
	s_mul_u64 s[4:5], s[14:15], s[34:35]
	s_wait_alu 0xfffe
	s_lshl_b64 s[4:5], s[4:5], 4
	s_wait_alu 0xfffe
	s_add_nc_u64 s[4:5], s[12:13], s[4:5]
	global_load_b128 v[4:7], v0, s[4:5]
	s_wait_loadcnt 0x0
	v_cmp_eq_f64_e32 vcc_lo, 0, v[4:5]
	v_cmp_eq_f64_e64 s4, 0, v[6:7]
	s_wait_alu 0xfffe
	s_and_b32 s4, vcc_lo, s4
	s_wait_alu 0xfffe
	s_and_b32 vcc_lo, exec_lo, s4
	s_mov_b32 s4, -1
	s_wait_alu 0xfffe
	s_cbranch_vccnz .LBB108_3
; %bb.5:                                ;   in Loop: Header=BB108_4 Depth=1
	s_and_not1_b32 vcc_lo, exec_lo, s52
	s_wait_alu 0xfffe
	s_cbranch_vccnz .LBB108_2
; %bb.6:                                ;   in Loop: Header=BB108_4 Depth=1
	v_mad_co_u64_u32 v[36:37], null, s16, s34, v[26:27]
	s_load_b32 s9, s[44:45], 0x4
	v_mad_co_u64_u32 v[38:39], null, s20, s34, v[30:31]
	s_mul_i32 s6, s21, s34
	v_mad_co_u64_u32 v[40:41], null, s20, s34, v[32:33]
	v_mov_b32_e32 v2, v37
	s_mul_u64 s[4:5], s[30:31], s[34:35]
	s_wait_alu 0xfffe
	v_dual_mov_b32 v42, v74 :: v_dual_add_nc_u32 v39, s6, v39
	s_lshl_b64 s[4:5], s[4:5], 4
	v_mad_co_u64_u32 v[2:3], null, s17, s34, v[2:3]
	s_delay_alu instid0(VALU_DEP_4) | instskip(SKIP_3) | instid1(VALU_DEP_2)
	v_add_nc_u32_e32 v41, s6, v41
	s_wait_alu 0xfffe
	s_add_nc_u64 s[22:23], s[40:41], s[4:5]
	s_mov_b32 s27, s33
	v_mov_b32_e32 v37, v2
	s_wait_kmcnt 0x0
	s_lshl_b32 s26, s9, 5
	s_branch .LBB108_8
.LBB108_7:                              ;   in Loop: Header=BB108_8 Depth=2
	s_wait_alu 0xfffe
	s_or_b32 exec_lo, exec_lo, s4
	v_add_nc_u32_e32 v42, s26, v42
	s_add_co_i32 s27, s9, s27
	s_wait_alu 0xfffe
	s_cmp_gt_i32 s27, s50
	s_cbranch_scc1 .LBB108_2
.LBB108_8:                              ;   Parent Loop BB108_4 Depth=1
                                        ; =>  This Loop Header: Depth=2
                                        ;       Child Loop BB108_11 Depth 3
	s_wait_alu 0xfffe
	v_lshl_add_u32 v75, s27, 5, v68
	v_mov_b32_e32 v56, 0
	v_mov_b32_e32 v52, 0
	;; [unrolled: 1-line block ×3, first 2 shown]
	v_dual_mov_b32 v66, 0 :: v_dual_mov_b32 v57, 0
	v_dual_mov_b32 v58, 0 :: v_dual_mov_b32 v53, 0
	;; [unrolled: 1-line block ×5, first 2 shown]
	v_mov_b32_e32 v55, 0
	v_mov_b32_e32 v63, 0
	;; [unrolled: 1-line block ×3, first 2 shown]
	v_ashrrev_i32_e32 v76, 31, v75
	s_and_not1_b32 vcc_lo, exec_lo, s54
	s_wait_alu 0xfffe
	s_cbranch_vccnz .LBB108_59
; %bb.9:                                ;   in Loop: Header=BB108_8 Depth=2
	v_ashrrev_i32_e32 v43, 31, v42
	v_mad_co_u64_u32 v[44:45], null, s18, v42, v[36:37]
	v_mul_lo_u32 v8, s19, v42
	v_mov_b32_e32 v66, 0
	s_delay_alu instid0(VALU_DEP_4)
	v_lshlrev_b64_e32 v[2:3], 4, v[42:43]
	v_mul_lo_u32 v11, s18, v43
	v_mov_b32_e32 v60, 0
	v_mov_b32_e32 v52, 0
	v_dual_mov_b32 v64, 0 :: v_dual_mov_b32 v49, v41
	v_add_co_u32 v9, vcc_lo, 0x100, v2
	s_wait_alu 0xfffd
	v_add_co_ci_u32_e64 v10, null, 0, v3, vcc_lo
	v_sub_co_u32 v2, vcc_lo, s51, v75
	s_delay_alu instid0(VALU_DEP_3) | instskip(NEXT) | instid1(VALU_DEP_3)
	v_mul_lo_u32 v12, s37, v9
	v_mul_lo_u32 v10, s36, v10
	v_mad_co_u64_u32 v[46:47], null, s36, v9, v[36:37]
	s_wait_alu 0xfffd
	v_sub_co_ci_u32_e64 v3, null, s56, v76, vcc_lo
	v_dual_mov_b32 v67, 0 :: v_dual_mov_b32 v62, 0
	v_dual_mov_b32 v61, 0 :: v_dual_mov_b32 v54, 0
	s_delay_alu instid0(VALU_DEP_3)
	v_cmp_lt_i64_e64 s4, 16, v[2:3]
	v_dual_mov_b32 v53, 0 :: v_dual_mov_b32 v58, 0
	v_dual_mov_b32 v56, 0 :: v_dual_mov_b32 v51, v39
	;; [unrolled: 1-line block ×3, first 2 shown]
	v_add3_u32 v45, v8, v45, v11
	v_add3_u32 v47, v12, v47, v10
	v_mov_b32_e32 v63, 0
	v_mov_b32_e32 v55, 0
	;; [unrolled: 1-line block ×3, first 2 shown]
	v_dual_mov_b32 v57, 0 :: v_dual_mov_b32 v50, v38
	s_mov_b64 s[24:25], 0
	v_cmp_lt_i64_e32 vcc_lo, 0, v[2:3]
	s_branch .LBB108_11
.LBB108_10:                             ;   in Loop: Header=BB108_11 Depth=3
	s_wait_alu 0xfffe
	s_or_b32 exec_lo, exec_lo, s5
	s_wait_dscnt 0x0
	s_barrier_signal -1
	s_barrier_wait -1
	global_inv scope:SCOPE_SE
	ds_load_b128 v[77:80], v71
	ds_load_b128 v[81:84], v71 offset:16
	ds_load_b128 v[12:15], v71 offset:32
	;; [unrolled: 1-line block ×3, first 2 shown]
	ds_load_b128 v[85:88], v70
	v_add_co_u32 v44, s5, 0x200, v44
	s_wait_alu 0xf1ff
	v_add_co_ci_u32_e64 v45, null, 0, v45, s5
	v_add_co_u32 v46, s5, 0x200, v46
	s_wait_alu 0xf1ff
	v_add_co_ci_u32_e64 v47, null, 0, v47, s5
	;; [unrolled: 3-line block ×3, first 2 shown]
	v_add_co_u32 v48, s5, v48, s46
	s_add_nc_u64 s[24:25], s[24:25], 32
	v_add_co_ci_u32_e64 v49, null, s47, v49, s5
	s_wait_alu 0xfffe
	s_sub_co_i32 s5, s24, 32
	s_wait_dscnt 0x0
	v_mul_f64_e32 v[2:3], v[79:80], v[87:88]
	v_mul_f64_e32 v[89:90], v[77:78], v[87:88]
	s_wait_alu 0xfffe
	s_cmp_ge_i32 s5, s53
	s_delay_alu instid0(VALU_DEP_2) | instskip(NEXT) | instid1(VALU_DEP_2)
	v_fma_f64 v[2:3], v[77:78], v[85:86], -v[2:3]
	v_fma_f64 v[89:90], v[79:80], v[85:86], v[89:90]
	s_delay_alu instid0(VALU_DEP_2) | instskip(NEXT) | instid1(VALU_DEP_2)
	v_add_f64_e32 v[2:3], v[56:57], v[2:3]
	v_add_f64_e32 v[89:90], v[89:90], v[58:59]
	ds_load_b128 v[56:59], v70 offset:256
	s_wait_dscnt 0x0
	v_mul_f64_e32 v[91:92], v[79:80], v[58:59]
	s_delay_alu instid0(VALU_DEP_1) | instskip(SKIP_1) | instid1(VALU_DEP_1)
	v_fma_f64 v[91:92], v[77:78], v[56:57], -v[91:92]
	v_mul_f64_e32 v[77:78], v[77:78], v[58:59]
	v_fma_f64 v[77:78], v[79:80], v[56:57], v[77:78]
	s_delay_alu instid0(VALU_DEP_3) | instskip(NEXT) | instid1(VALU_DEP_2)
	v_add_f64_e32 v[79:80], v[52:53], v[91:92]
	v_add_f64_e32 v[77:78], v[77:78], v[54:55]
	ds_load_b128 v[52:55], v71 offset:8192
	s_wait_dscnt 0x0
	v_mul_f64_e32 v[91:92], v[54:55], v[87:88]
	v_mul_f64_e32 v[87:88], v[52:53], v[87:88]
	s_delay_alu instid0(VALU_DEP_2) | instskip(NEXT) | instid1(VALU_DEP_2)
	v_fma_f64 v[91:92], v[52:53], v[85:86], -v[91:92]
	v_fma_f64 v[85:86], v[54:55], v[85:86], v[87:88]
	s_delay_alu instid0(VALU_DEP_2) | instskip(SKIP_1) | instid1(VALU_DEP_3)
	v_add_f64_e32 v[87:88], v[60:61], v[91:92]
	v_mul_f64_e32 v[60:61], v[54:55], v[58:59]
	v_add_f64_e32 v[85:86], v[85:86], v[62:63]
	s_delay_alu instid0(VALU_DEP_2) | instskip(SKIP_1) | instid1(VALU_DEP_2)
	v_fma_f64 v[60:61], v[52:53], v[56:57], -v[60:61]
	v_mul_f64_e32 v[52:53], v[52:53], v[58:59]
	v_add_f64_e32 v[66:67], v[66:67], v[60:61]
	s_delay_alu instid0(VALU_DEP_2) | instskip(NEXT) | instid1(VALU_DEP_1)
	v_fma_f64 v[52:53], v[54:55], v[56:57], v[52:53]
	v_add_f64_e32 v[64:65], v[52:53], v[64:65]
	ds_load_b128 v[52:55], v70 offset:512
	s_wait_dscnt 0x0
	v_mul_f64_e32 v[56:57], v[83:84], v[54:55]
	v_mul_f64_e32 v[58:59], v[81:82], v[54:55]
	s_delay_alu instid0(VALU_DEP_2) | instskip(NEXT) | instid1(VALU_DEP_2)
	v_fma_f64 v[56:57], v[81:82], v[52:53], -v[56:57]
	v_fma_f64 v[58:59], v[83:84], v[52:53], v[58:59]
	s_delay_alu instid0(VALU_DEP_2) | instskip(NEXT) | instid1(VALU_DEP_2)
	v_add_f64_e32 v[2:3], v[2:3], v[56:57]
	v_add_f64_e32 v[89:90], v[58:59], v[89:90]
	ds_load_b128 v[56:59], v70 offset:768
	s_wait_dscnt 0x0
	v_mul_f64_e32 v[60:61], v[83:84], v[58:59]
	v_mul_f64_e32 v[62:63], v[81:82], v[58:59]
	s_delay_alu instid0(VALU_DEP_2) | instskip(NEXT) | instid1(VALU_DEP_2)
	v_fma_f64 v[60:61], v[81:82], v[56:57], -v[60:61]
	v_fma_f64 v[62:63], v[83:84], v[56:57], v[62:63]
	s_delay_alu instid0(VALU_DEP_2) | instskip(NEXT) | instid1(VALU_DEP_2)
	v_add_f64_e32 v[79:80], v[79:80], v[60:61]
	v_add_f64_e32 v[77:78], v[62:63], v[77:78]
	ds_load_b128 v[60:63], v71 offset:8208
	s_wait_dscnt 0x0
	v_mul_f64_e32 v[81:82], v[62:63], v[54:55]
	v_mul_f64_e32 v[54:55], v[60:61], v[54:55]
	s_delay_alu instid0(VALU_DEP_2) | instskip(NEXT) | instid1(VALU_DEP_2)
	v_fma_f64 v[81:82], v[60:61], v[52:53], -v[81:82]
	v_fma_f64 v[52:53], v[62:63], v[52:53], v[54:55]
	v_mul_f64_e32 v[54:55], v[60:61], v[58:59]
	s_delay_alu instid0(VALU_DEP_3) | instskip(NEXT) | instid1(VALU_DEP_3)
	v_add_f64_e32 v[81:82], v[87:88], v[81:82]
	v_add_f64_e32 v[83:84], v[52:53], v[85:86]
	v_mul_f64_e32 v[52:53], v[62:63], v[58:59]
	s_delay_alu instid0(VALU_DEP_4) | instskip(NEXT) | instid1(VALU_DEP_2)
	v_fma_f64 v[54:55], v[62:63], v[56:57], v[54:55]
	v_fma_f64 v[52:53], v[60:61], v[56:57], -v[52:53]
	s_delay_alu instid0(VALU_DEP_2) | instskip(NEXT) | instid1(VALU_DEP_2)
	v_add_f64_e32 v[62:63], v[54:55], v[64:65]
	v_add_f64_e32 v[60:61], v[66:67], v[52:53]
	ds_load_b128 v[52:55], v70 offset:1024
	s_wait_dscnt 0x0
	v_mul_f64_e32 v[56:57], v[14:15], v[54:55]
	v_mul_f64_e32 v[58:59], v[12:13], v[54:55]
	s_delay_alu instid0(VALU_DEP_2) | instskip(NEXT) | instid1(VALU_DEP_2)
	v_fma_f64 v[56:57], v[12:13], v[52:53], -v[56:57]
	v_fma_f64 v[58:59], v[14:15], v[52:53], v[58:59]
	s_delay_alu instid0(VALU_DEP_2) | instskip(NEXT) | instid1(VALU_DEP_2)
	v_add_f64_e32 v[2:3], v[2:3], v[56:57]
	v_add_f64_e32 v[64:65], v[58:59], v[89:90]
	ds_load_b128 v[56:59], v70 offset:1280
	s_wait_dscnt 0x0
	v_mul_f64_e32 v[66:67], v[14:15], v[58:59]
	s_delay_alu instid0(VALU_DEP_1) | instskip(SKIP_1) | instid1(VALU_DEP_2)
	v_fma_f64 v[66:67], v[12:13], v[56:57], -v[66:67]
	v_mul_f64_e32 v[12:13], v[12:13], v[58:59]
	v_add_f64_e32 v[66:67], v[79:80], v[66:67]
	s_delay_alu instid0(VALU_DEP_2) | instskip(NEXT) | instid1(VALU_DEP_1)
	v_fma_f64 v[12:13], v[14:15], v[56:57], v[12:13]
	v_add_f64_e32 v[77:78], v[12:13], v[77:78]
	ds_load_b128 v[12:15], v71 offset:8224
	s_wait_dscnt 0x0
	v_mul_f64_e32 v[79:80], v[14:15], v[54:55]
	v_mul_f64_e32 v[54:55], v[12:13], v[54:55]
	s_delay_alu instid0(VALU_DEP_2) | instskip(NEXT) | instid1(VALU_DEP_2)
	v_fma_f64 v[79:80], v[12:13], v[52:53], -v[79:80]
	v_fma_f64 v[52:53], v[14:15], v[52:53], v[54:55]
	s_delay_alu instid0(VALU_DEP_2) | instskip(NEXT) | instid1(VALU_DEP_2)
	v_add_f64_e32 v[79:80], v[81:82], v[79:80]
	v_add_f64_e32 v[81:82], v[52:53], v[83:84]
	v_mul_f64_e32 v[52:53], v[14:15], v[58:59]
	s_delay_alu instid0(VALU_DEP_1) | instskip(SKIP_1) | instid1(VALU_DEP_1)
	v_fma_f64 v[52:53], v[12:13], v[56:57], -v[52:53]
	v_mul_f64_e32 v[12:13], v[12:13], v[58:59]
	v_fma_f64 v[12:13], v[14:15], v[56:57], v[12:13]
	s_delay_alu instid0(VALU_DEP_3) | instskip(NEXT) | instid1(VALU_DEP_2)
	v_add_f64_e32 v[56:57], v[60:61], v[52:53]
	v_add_f64_e32 v[58:59], v[12:13], v[62:63]
	ds_load_b128 v[12:15], v70 offset:1536
	s_wait_dscnt 0x0
	v_mul_f64_e32 v[52:53], v[10:11], v[14:15]
	v_mul_f64_e32 v[54:55], v[8:9], v[14:15]
	s_delay_alu instid0(VALU_DEP_2) | instskip(NEXT) | instid1(VALU_DEP_2)
	v_fma_f64 v[52:53], v[8:9], v[12:13], -v[52:53]
	v_fma_f64 v[54:55], v[10:11], v[12:13], v[54:55]
	s_delay_alu instid0(VALU_DEP_2) | instskip(NEXT) | instid1(VALU_DEP_2)
	v_add_f64_e32 v[2:3], v[2:3], v[52:53]
	v_add_f64_e32 v[60:61], v[54:55], v[64:65]
	ds_load_b128 v[52:55], v70 offset:1792
	s_wait_dscnt 0x0
	v_mul_f64_e32 v[62:63], v[10:11], v[54:55]
	s_delay_alu instid0(VALU_DEP_1) | instskip(SKIP_1) | instid1(VALU_DEP_2)
	v_fma_f64 v[62:63], v[8:9], v[52:53], -v[62:63]
	v_mul_f64_e32 v[8:9], v[8:9], v[54:55]
	v_add_f64_e32 v[62:63], v[66:67], v[62:63]
	s_delay_alu instid0(VALU_DEP_2) | instskip(NEXT) | instid1(VALU_DEP_1)
	v_fma_f64 v[8:9], v[10:11], v[52:53], v[8:9]
	v_add_f64_e32 v[64:65], v[8:9], v[77:78]
	ds_load_b128 v[8:11], v71 offset:8240
	s_wait_dscnt 0x0
	v_mul_f64_e32 v[66:67], v[10:11], v[14:15]
	v_mul_f64_e32 v[14:15], v[8:9], v[14:15]
	s_delay_alu instid0(VALU_DEP_2) | instskip(NEXT) | instid1(VALU_DEP_2)
	v_fma_f64 v[66:67], v[8:9], v[12:13], -v[66:67]
	v_fma_f64 v[12:13], v[10:11], v[12:13], v[14:15]
	s_delay_alu instid0(VALU_DEP_2) | instskip(NEXT) | instid1(VALU_DEP_2)
	v_add_f64_e32 v[66:67], v[79:80], v[66:67]
	v_add_f64_e32 v[77:78], v[12:13], v[81:82]
	v_mul_f64_e32 v[12:13], v[10:11], v[54:55]
	s_delay_alu instid0(VALU_DEP_1) | instskip(SKIP_1) | instid1(VALU_DEP_2)
	v_fma_f64 v[12:13], v[8:9], v[52:53], -v[12:13]
	v_mul_f64_e32 v[8:9], v[8:9], v[54:55]
	v_add_f64_e32 v[56:57], v[56:57], v[12:13]
	s_delay_alu instid0(VALU_DEP_2) | instskip(NEXT) | instid1(VALU_DEP_1)
	v_fma_f64 v[8:9], v[10:11], v[52:53], v[8:9]
	v_add_f64_e32 v[58:59], v[8:9], v[58:59]
	ds_load_b128 v[8:11], v71 offset:64
	ds_load_b128 v[12:15], v70 offset:2048
	s_wait_dscnt 0x0
	v_mul_f64_e32 v[52:53], v[10:11], v[14:15]
	v_mul_f64_e32 v[54:55], v[8:9], v[14:15]
	s_delay_alu instid0(VALU_DEP_2) | instskip(NEXT) | instid1(VALU_DEP_2)
	v_fma_f64 v[52:53], v[8:9], v[12:13], -v[52:53]
	v_fma_f64 v[54:55], v[10:11], v[12:13], v[54:55]
	s_delay_alu instid0(VALU_DEP_2) | instskip(NEXT) | instid1(VALU_DEP_2)
	v_add_f64_e32 v[2:3], v[2:3], v[52:53]
	v_add_f64_e32 v[60:61], v[54:55], v[60:61]
	ds_load_b128 v[52:55], v70 offset:2304
	s_wait_dscnt 0x0
	v_mul_f64_e32 v[79:80], v[10:11], v[54:55]
	s_delay_alu instid0(VALU_DEP_1) | instskip(SKIP_1) | instid1(VALU_DEP_2)
	v_fma_f64 v[79:80], v[8:9], v[52:53], -v[79:80]
	v_mul_f64_e32 v[8:9], v[8:9], v[54:55]
	v_add_f64_e32 v[62:63], v[62:63], v[79:80]
	s_delay_alu instid0(VALU_DEP_2) | instskip(NEXT) | instid1(VALU_DEP_1)
	v_fma_f64 v[8:9], v[10:11], v[52:53], v[8:9]
	v_add_f64_e32 v[64:65], v[8:9], v[64:65]
	ds_load_b128 v[8:11], v71 offset:8256
	s_wait_dscnt 0x0
	v_mul_f64_e32 v[79:80], v[10:11], v[14:15]
	v_mul_f64_e32 v[14:15], v[8:9], v[14:15]
	s_delay_alu instid0(VALU_DEP_2) | instskip(NEXT) | instid1(VALU_DEP_2)
	v_fma_f64 v[79:80], v[8:9], v[12:13], -v[79:80]
	v_fma_f64 v[12:13], v[10:11], v[12:13], v[14:15]
	s_delay_alu instid0(VALU_DEP_2) | instskip(NEXT) | instid1(VALU_DEP_2)
	v_add_f64_e32 v[66:67], v[66:67], v[79:80]
	v_add_f64_e32 v[77:78], v[12:13], v[77:78]
	v_mul_f64_e32 v[12:13], v[10:11], v[54:55]
	s_delay_alu instid0(VALU_DEP_1) | instskip(SKIP_1) | instid1(VALU_DEP_2)
	v_fma_f64 v[12:13], v[8:9], v[52:53], -v[12:13]
	v_mul_f64_e32 v[8:9], v[8:9], v[54:55]
	v_add_f64_e32 v[56:57], v[56:57], v[12:13]
	s_delay_alu instid0(VALU_DEP_2) | instskip(NEXT) | instid1(VALU_DEP_1)
	v_fma_f64 v[8:9], v[10:11], v[52:53], v[8:9]
	v_add_f64_e32 v[58:59], v[8:9], v[58:59]
	ds_load_b128 v[8:11], v71 offset:80
	;; [unrolled: 39-line block ×19, first 2 shown]
	ds_load_b128 v[12:15], v70 offset:11264
	ds_load_b128 v[56:59], v71 offset:8544
	s_wait_dscnt 0x1
	v_mul_f64_e32 v[52:53], v[10:11], v[14:15]
	v_mul_f64_e32 v[54:55], v[8:9], v[14:15]
	s_delay_alu instid0(VALU_DEP_2) | instskip(NEXT) | instid1(VALU_DEP_2)
	v_fma_f64 v[52:53], v[8:9], v[12:13], -v[52:53]
	v_fma_f64 v[54:55], v[10:11], v[12:13], v[54:55]
	s_delay_alu instid0(VALU_DEP_2) | instskip(NEXT) | instid1(VALU_DEP_2)
	v_add_f64_e32 v[83:84], v[2:3], v[52:53]
	v_add_f64_e32 v[60:61], v[54:55], v[60:61]
	ds_load_b128 v[52:55], v70 offset:11520
	s_wait_dscnt 0x0
	v_mul_f64_e32 v[2:3], v[10:11], v[54:55]
	s_delay_alu instid0(VALU_DEP_1) | instskip(SKIP_1) | instid1(VALU_DEP_2)
	v_fma_f64 v[2:3], v[8:9], v[52:53], -v[2:3]
	v_mul_f64_e32 v[8:9], v[8:9], v[54:55]
	v_add_f64_e32 v[85:86], v[62:63], v[2:3]
	s_delay_alu instid0(VALU_DEP_2) | instskip(SKIP_1) | instid1(VALU_DEP_2)
	v_fma_f64 v[8:9], v[10:11], v[52:53], v[8:9]
	v_mul_f64_e32 v[2:3], v[58:59], v[14:15]
	v_add_f64_e32 v[64:65], v[8:9], v[64:65]
	v_mul_f64_e32 v[8:9], v[56:57], v[14:15]
	s_delay_alu instid0(VALU_DEP_3) | instskip(NEXT) | instid1(VALU_DEP_2)
	v_fma_f64 v[2:3], v[56:57], v[12:13], -v[2:3]
	v_fma_f64 v[8:9], v[58:59], v[12:13], v[8:9]
	s_delay_alu instid0(VALU_DEP_2) | instskip(SKIP_1) | instid1(VALU_DEP_3)
	v_add_f64_e32 v[10:11], v[66:67], v[2:3]
	v_mul_f64_e32 v[2:3], v[58:59], v[54:55]
	v_add_f64_e32 v[12:13], v[8:9], v[77:78]
	v_mul_f64_e32 v[8:9], v[56:57], v[54:55]
	s_delay_alu instid0(VALU_DEP_3) | instskip(NEXT) | instid1(VALU_DEP_2)
	v_fma_f64 v[2:3], v[56:57], v[52:53], -v[2:3]
	v_fma_f64 v[8:9], v[58:59], v[52:53], v[8:9]
	ds_load_b128 v[52:55], v71 offset:368
	ds_load_b128 v[56:59], v70 offset:11776
	v_add_f64_e32 v[2:3], v[79:80], v[2:3]
	s_wait_dscnt 0x0
	v_mul_f64_e32 v[62:63], v[52:53], v[58:59]
	v_mul_f64_e32 v[14:15], v[54:55], v[58:59]
	v_add_f64_e32 v[8:9], v[8:9], v[81:82]
	s_delay_alu instid0(VALU_DEP_3) | instskip(NEXT) | instid1(VALU_DEP_3)
	v_fma_f64 v[62:63], v[54:55], v[56:57], v[62:63]
	v_fma_f64 v[14:15], v[52:53], v[56:57], -v[14:15]
	s_delay_alu instid0(VALU_DEP_2) | instskip(SKIP_4) | instid1(VALU_DEP_1)
	v_add_f64_e32 v[79:80], v[62:63], v[60:61]
	ds_load_b128 v[60:63], v70 offset:12032
	v_add_f64_e32 v[77:78], v[83:84], v[14:15]
	s_wait_dscnt 0x0
	v_mul_f64_e32 v[14:15], v[54:55], v[62:63]
	v_fma_f64 v[14:15], v[52:53], v[60:61], -v[14:15]
	v_mul_f64_e32 v[52:53], v[52:53], v[62:63]
	s_delay_alu instid0(VALU_DEP_2) | instskip(NEXT) | instid1(VALU_DEP_2)
	v_add_f64_e32 v[14:15], v[85:86], v[14:15]
	v_fma_f64 v[52:53], v[54:55], v[60:61], v[52:53]
	s_delay_alu instid0(VALU_DEP_1) | instskip(SKIP_4) | instid1(VALU_DEP_2)
	v_add_f64_e32 v[52:53], v[52:53], v[64:65]
	ds_load_b128 v[64:67], v71 offset:8560
	s_wait_dscnt 0x0
	v_mul_f64_e32 v[54:55], v[66:67], v[58:59]
	v_mul_f64_e32 v[58:59], v[64:65], v[58:59]
	v_fma_f64 v[54:55], v[64:65], v[56:57], -v[54:55]
	s_delay_alu instid0(VALU_DEP_2) | instskip(NEXT) | instid1(VALU_DEP_2)
	v_fma_f64 v[56:57], v[66:67], v[56:57], v[58:59]
	v_add_f64_e32 v[81:82], v[10:11], v[54:55]
	v_mul_f64_e32 v[10:11], v[66:67], v[62:63]
	v_mul_f64_e32 v[54:55], v[64:65], v[62:63]
	s_delay_alu instid0(VALU_DEP_4) | instskip(NEXT) | instid1(VALU_DEP_3)
	v_add_f64_e32 v[12:13], v[56:57], v[12:13]
	v_fma_f64 v[10:11], v[64:65], v[60:61], -v[10:11]
	s_delay_alu instid0(VALU_DEP_3) | instskip(NEXT) | instid1(VALU_DEP_2)
	v_fma_f64 v[54:55], v[66:67], v[60:61], v[54:55]
	v_add_f64_e32 v[2:3], v[2:3], v[10:11]
	s_delay_alu instid0(VALU_DEP_2)
	v_add_f64_e32 v[62:63], v[54:55], v[8:9]
	ds_load_b128 v[8:11], v71 offset:384
	ds_load_b128 v[54:57], v70 offset:12288
	s_wait_dscnt 0x0
	v_mul_f64_e32 v[58:59], v[10:11], v[56:57]
	v_mul_f64_e32 v[60:61], v[8:9], v[56:57]
	s_delay_alu instid0(VALU_DEP_2) | instskip(NEXT) | instid1(VALU_DEP_2)
	v_fma_f64 v[58:59], v[8:9], v[54:55], -v[58:59]
	v_fma_f64 v[60:61], v[10:11], v[54:55], v[60:61]
	s_delay_alu instid0(VALU_DEP_2) | instskip(NEXT) | instid1(VALU_DEP_2)
	v_add_f64_e32 v[64:65], v[77:78], v[58:59]
	v_add_f64_e32 v[66:67], v[60:61], v[79:80]
	ds_load_b128 v[58:61], v70 offset:12544
	s_wait_dscnt 0x0
	v_mul_f64_e32 v[77:78], v[10:11], v[60:61]
	s_delay_alu instid0(VALU_DEP_1) | instskip(SKIP_1) | instid1(VALU_DEP_2)
	v_fma_f64 v[77:78], v[8:9], v[58:59], -v[77:78]
	v_mul_f64_e32 v[8:9], v[8:9], v[60:61]
	v_add_f64_e32 v[77:78], v[14:15], v[77:78]
	s_delay_alu instid0(VALU_DEP_2) | instskip(NEXT) | instid1(VALU_DEP_1)
	v_fma_f64 v[8:9], v[10:11], v[58:59], v[8:9]
	v_add_f64_e32 v[79:80], v[8:9], v[52:53]
	ds_load_b128 v[8:11], v71 offset:8576
	s_wait_dscnt 0x0
	v_mul_f64_e32 v[14:15], v[10:11], v[56:57]
	v_mul_f64_e32 v[52:53], v[8:9], v[56:57]
	s_delay_alu instid0(VALU_DEP_2) | instskip(NEXT) | instid1(VALU_DEP_2)
	v_fma_f64 v[14:15], v[8:9], v[54:55], -v[14:15]
	v_fma_f64 v[52:53], v[10:11], v[54:55], v[52:53]
	s_delay_alu instid0(VALU_DEP_2) | instskip(NEXT) | instid1(VALU_DEP_2)
	v_add_f64_e32 v[56:57], v[81:82], v[14:15]
	v_add_f64_e32 v[81:82], v[52:53], v[12:13]
	v_mul_f64_e32 v[12:13], v[10:11], v[60:61]
	s_delay_alu instid0(VALU_DEP_1) | instskip(SKIP_1) | instid1(VALU_DEP_2)
	v_fma_f64 v[12:13], v[8:9], v[58:59], -v[12:13]
	v_mul_f64_e32 v[8:9], v[8:9], v[60:61]
	v_add_f64_e32 v[2:3], v[2:3], v[12:13]
	s_delay_alu instid0(VALU_DEP_2) | instskip(NEXT) | instid1(VALU_DEP_1)
	v_fma_f64 v[8:9], v[10:11], v[58:59], v[8:9]
	v_add_f64_e32 v[58:59], v[8:9], v[62:63]
	ds_load_b128 v[8:11], v71 offset:400
	ds_load_b128 v[12:15], v70 offset:12800
	s_wait_dscnt 0x0
	v_mul_f64_e32 v[52:53], v[10:11], v[14:15]
	v_mul_f64_e32 v[54:55], v[8:9], v[14:15]
	s_delay_alu instid0(VALU_DEP_2) | instskip(NEXT) | instid1(VALU_DEP_2)
	v_fma_f64 v[52:53], v[8:9], v[12:13], -v[52:53]
	v_fma_f64 v[54:55], v[10:11], v[12:13], v[54:55]
	s_delay_alu instid0(VALU_DEP_2) | instskip(NEXT) | instid1(VALU_DEP_2)
	v_add_f64_e32 v[60:61], v[64:65], v[52:53]
	v_add_f64_e32 v[62:63], v[54:55], v[66:67]
	ds_load_b128 v[52:55], v70 offset:13056
	s_wait_dscnt 0x0
	v_mul_f64_e32 v[64:65], v[10:11], v[54:55]
	s_delay_alu instid0(VALU_DEP_1) | instskip(SKIP_1) | instid1(VALU_DEP_2)
	v_fma_f64 v[64:65], v[8:9], v[52:53], -v[64:65]
	v_mul_f64_e32 v[8:9], v[8:9], v[54:55]
	v_add_f64_e32 v[64:65], v[77:78], v[64:65]
	s_delay_alu instid0(VALU_DEP_2) | instskip(NEXT) | instid1(VALU_DEP_1)
	v_fma_f64 v[8:9], v[10:11], v[52:53], v[8:9]
	v_add_f64_e32 v[66:67], v[8:9], v[79:80]
	ds_load_b128 v[8:11], v71 offset:8592
	s_wait_dscnt 0x0
	v_mul_f64_e32 v[77:78], v[10:11], v[14:15]
	v_mul_f64_e32 v[14:15], v[8:9], v[14:15]
	s_delay_alu instid0(VALU_DEP_2) | instskip(NEXT) | instid1(VALU_DEP_2)
	v_fma_f64 v[77:78], v[8:9], v[12:13], -v[77:78]
	v_fma_f64 v[12:13], v[10:11], v[12:13], v[14:15]
	s_delay_alu instid0(VALU_DEP_2) | instskip(NEXT) | instid1(VALU_DEP_2)
	v_add_f64_e32 v[56:57], v[56:57], v[77:78]
	v_add_f64_e32 v[77:78], v[12:13], v[81:82]
	v_mul_f64_e32 v[12:13], v[10:11], v[54:55]
	s_delay_alu instid0(VALU_DEP_1) | instskip(SKIP_1) | instid1(VALU_DEP_2)
	v_fma_f64 v[12:13], v[8:9], v[52:53], -v[12:13]
	v_mul_f64_e32 v[8:9], v[8:9], v[54:55]
	v_add_f64_e32 v[2:3], v[2:3], v[12:13]
	s_delay_alu instid0(VALU_DEP_2) | instskip(NEXT) | instid1(VALU_DEP_1)
	v_fma_f64 v[8:9], v[10:11], v[52:53], v[8:9]
	;; [unrolled: 39-line block ×6, first 2 shown]
	v_add_f64_e32 v[58:59], v[8:9], v[58:59]
	ds_load_b128 v[8:11], v71 offset:480
	ds_load_b128 v[12:15], v70 offset:15360
	s_wait_dscnt 0x0
	v_mul_f64_e32 v[52:53], v[10:11], v[14:15]
	v_mul_f64_e32 v[54:55], v[8:9], v[14:15]
	s_delay_alu instid0(VALU_DEP_2) | instskip(NEXT) | instid1(VALU_DEP_2)
	v_fma_f64 v[52:53], v[8:9], v[12:13], -v[52:53]
	v_fma_f64 v[54:55], v[10:11], v[12:13], v[54:55]
	s_delay_alu instid0(VALU_DEP_2) | instskip(NEXT) | instid1(VALU_DEP_2)
	v_add_f64_e32 v[79:80], v[60:61], v[52:53]
	v_add_f64_e32 v[81:82], v[54:55], v[62:63]
	ds_load_b128 v[52:55], v70 offset:15616
	s_wait_dscnt 0x0
	v_mul_f64_e32 v[60:61], v[10:11], v[54:55]
	s_delay_alu instid0(VALU_DEP_1) | instskip(SKIP_1) | instid1(VALU_DEP_2)
	v_fma_f64 v[60:61], v[8:9], v[52:53], -v[60:61]
	v_mul_f64_e32 v[8:9], v[8:9], v[54:55]
	v_add_f64_e32 v[83:84], v[64:65], v[60:61]
	s_delay_alu instid0(VALU_DEP_2) | instskip(NEXT) | instid1(VALU_DEP_1)
	v_fma_f64 v[8:9], v[10:11], v[52:53], v[8:9]
	v_add_f64_e32 v[85:86], v[8:9], v[66:67]
	ds_load_b128 v[8:11], v71 offset:8672
	s_wait_dscnt 0x0
	v_mul_f64_e32 v[60:61], v[10:11], v[14:15]
	v_mul_f64_e32 v[14:15], v[8:9], v[14:15]
	s_delay_alu instid0(VALU_DEP_2) | instskip(NEXT) | instid1(VALU_DEP_2)
	v_fma_f64 v[60:61], v[8:9], v[12:13], -v[60:61]
	v_fma_f64 v[12:13], v[10:11], v[12:13], v[14:15]
	s_delay_alu instid0(VALU_DEP_2) | instskip(NEXT) | instid1(VALU_DEP_2)
	v_add_f64_e32 v[87:88], v[56:57], v[60:61]
	v_add_f64_e32 v[77:78], v[12:13], v[77:78]
	v_mul_f64_e32 v[12:13], v[10:11], v[54:55]
	s_delay_alu instid0(VALU_DEP_1) | instskip(SKIP_1) | instid1(VALU_DEP_2)
	v_fma_f64 v[12:13], v[8:9], v[52:53], -v[12:13]
	v_mul_f64_e32 v[8:9], v[8:9], v[54:55]
	v_add_f64_e32 v[2:3], v[2:3], v[12:13]
	s_delay_alu instid0(VALU_DEP_2)
	v_fma_f64 v[8:9], v[10:11], v[52:53], v[8:9]
	ds_load_b128 v[10:13], v71 offset:496
	ds_load_b128 v[60:63], v70 offset:15872
	;; [unrolled: 1-line block ×3, first 2 shown]
	s_wait_dscnt 0x1
	v_mul_f64_e32 v[14:15], v[12:13], v[62:63]
	v_mul_f64_e32 v[52:53], v[10:11], v[62:63]
	v_add_f64_e32 v[8:9], v[8:9], v[58:59]
	s_delay_alu instid0(VALU_DEP_3) | instskip(NEXT) | instid1(VALU_DEP_3)
	v_fma_f64 v[14:15], v[10:11], v[60:61], -v[14:15]
	v_fma_f64 v[52:53], v[12:13], v[60:61], v[52:53]
	s_delay_alu instid0(VALU_DEP_2) | instskip(SKIP_2) | instid1(VALU_DEP_3)
	v_add_f64_e32 v[56:57], v[79:80], v[14:15]
	s_wait_dscnt 0x0
	v_mul_f64_e32 v[14:15], v[12:13], v[66:67]
	v_add_f64_e32 v[58:59], v[52:53], v[81:82]
	s_delay_alu instid0(VALU_DEP_2) | instskip(SKIP_1) | instid1(VALU_DEP_2)
	v_fma_f64 v[14:15], v[10:11], v[64:65], -v[14:15]
	v_mul_f64_e32 v[10:11], v[10:11], v[66:67]
	v_add_f64_e32 v[52:53], v[83:84], v[14:15]
	s_delay_alu instid0(VALU_DEP_2)
	v_fma_f64 v[10:11], v[12:13], v[64:65], v[10:11]
	ds_load_b128 v[12:15], v71 offset:8688
	s_wait_loadcnt_dscnt 0x0
	s_barrier_signal -1
	s_barrier_wait -1
	global_inv scope:SCOPE_SE
	v_add_f64_e32 v[54:55], v[10:11], v[85:86]
	v_mul_f64_e32 v[10:11], v[14:15], v[62:63]
	v_mul_f64_e32 v[62:63], v[12:13], v[62:63]
	s_delay_alu instid0(VALU_DEP_2) | instskip(NEXT) | instid1(VALU_DEP_2)
	v_fma_f64 v[10:11], v[12:13], v[60:61], -v[10:11]
	v_fma_f64 v[62:63], v[14:15], v[60:61], v[62:63]
	s_delay_alu instid0(VALU_DEP_2) | instskip(SKIP_1) | instid1(VALU_DEP_3)
	v_add_f64_e32 v[60:61], v[87:88], v[10:11]
	v_mul_f64_e32 v[10:11], v[14:15], v[66:67]
	v_add_f64_e32 v[62:63], v[62:63], v[77:78]
	s_delay_alu instid0(VALU_DEP_2) | instskip(SKIP_1) | instid1(VALU_DEP_2)
	v_fma_f64 v[10:11], v[12:13], v[64:65], -v[10:11]
	v_mul_f64_e32 v[12:13], v[12:13], v[66:67]
	v_add_f64_e32 v[66:67], v[2:3], v[10:11]
	s_delay_alu instid0(VALU_DEP_2) | instskip(NEXT) | instid1(VALU_DEP_1)
	v_fma_f64 v[12:13], v[14:15], v[64:65], v[12:13]
	v_add_f64_e32 v[64:65], v[12:13], v[8:9]
	s_cbranch_scc1 .LBB108_59
.LBB108_11:                             ;   Parent Loop BB108_4 Depth=1
                                        ;     Parent Loop BB108_8 Depth=2
                                        ; =>    This Inner Loop Header: Depth=3
	s_wait_alu 0xfffe
	v_add_co_u32 v8, s5, v68, s24
	s_wait_alu 0xf1ff
	v_add_co_ci_u32_e64 v9, null, 0, s25, s5
	v_cmp_eq_u64_e64 s7, s[24:25], v[20:21]
	s_delay_alu instid0(VALU_DEP_2)
	v_cmp_le_i64_e64 s6, s[42:43], v[8:9]
	v_cmp_gt_i64_e64 s5, v[8:9], v[16:17]
	s_and_b32 s39, s55, s7
	v_add_co_u32 v10, s7, v48, v28
	s_wait_alu 0xf1ff
	v_add_co_ci_u32_e64 v11, null, v49, v29, s7
	s_or_b32 s8, s6, s5
	s_wait_alu 0xfffe
	s_or_b32 s7, s8, s39
	s_wait_alu 0xfffe
	s_nor_b32 s7, s0, s7
	s_wait_alu 0xfffe
	s_and_saveexec_b32 s8, s7
	s_wait_alu 0xfffe
	s_xor_b32 s7, exec_lo, s8
	s_cbranch_execz .LBB108_13
; %bb.12:                               ;   in Loop: Header=BB108_11 Depth=3
	global_load_b128 v[12:15], v[10:11], off offset:-256
	s_wait_loadcnt 0x0
	ds_store_2addr_b64 v72, v[12:13], v[14:15] offset1:1
.LBB108_13:                             ;   in Loop: Header=BB108_11 Depth=3
	s_wait_alu 0xfffe
	s_or_saveexec_b32 s7, s7
	s_xor_b32 s38, s39, -1
	s_wait_alu 0xfffe
	s_xor_b32 exec_lo, exec_lo, s7
	s_cbranch_execz .LBB108_19
; %bb.14:                               ;   in Loop: Header=BB108_11 Depth=3
	s_and_saveexec_b32 s8, s38
	s_wait_alu 0xfffe
	s_xor_b32 s8, exec_lo, s8
; %bb.15:                               ;   in Loop: Header=BB108_11 Depth=3
	v_dual_mov_b32 v12, v0 :: v_dual_mov_b32 v13, v0
	v_dual_mov_b32 v14, v0 :: v_dual_mov_b32 v15, v0
	ds_store_b128 v72, v[12:15]
; %bb.16:                               ;   in Loop: Header=BB108_11 Depth=3
	s_wait_alu 0xfffe
	s_and_not1_saveexec_b32 s8, s8
; %bb.17:                               ;   in Loop: Header=BB108_11 Depth=3
	v_dual_mov_b32 v2, v0 :: v_dual_mov_b32 v3, v0
	ds_store_b128 v72, v[0:3]
; %bb.18:                               ;   in Loop: Header=BB108_11 Depth=3
	s_wait_alu 0xfffe
	s_or_b32 exec_lo, exec_lo, s8
.LBB108_19:                             ;   in Loop: Header=BB108_11 Depth=3
	s_delay_alu instid0(SALU_CYCLE_1)
	s_or_b32 exec_lo, exec_lo, s7
	v_cmp_eq_u64_e64 s7, s[24:25], v[22:23]
	v_cmp_lt_i64_e64 s8, v[18:19], v[8:9]
	s_and_b32 s7, s55, s7
	s_or_b32 s6, s6, s8
	s_wait_alu 0xfffe
	s_or_b32 s6, s6, s7
	s_wait_alu 0xfffe
	s_nor_b32 s6, s3, s6
	s_wait_alu 0xfffe
	s_and_saveexec_b32 s8, s6
	s_wait_alu 0xfffe
	s_xor_b32 s6, exec_lo, s8
	s_cbranch_execz .LBB108_21
; %bb.20:                               ;   in Loop: Header=BB108_11 Depth=3
	global_load_b128 v[10:13], v[10:11], off
	v_add_nc_u32_e32 v2, 0x100, v72
	s_wait_loadcnt 0x0
	ds_store_2addr_b64 v2, v[10:11], v[12:13] offset1:1
.LBB108_21:                             ;   in Loop: Header=BB108_11 Depth=3
	s_wait_alu 0xfffe
	s_and_not1_saveexec_b32 s6, s6
	s_cbranch_execz .LBB108_27
; %bb.22:                               ;   in Loop: Header=BB108_11 Depth=3
	s_xor_b32 s7, s7, -1
	s_wait_alu 0xfffe
	s_and_saveexec_b32 s8, s7
	s_wait_alu 0xfffe
	s_xor_b32 s7, exec_lo, s8
; %bb.23:                               ;   in Loop: Header=BB108_11 Depth=3
	v_dual_mov_b32 v10, v0 :: v_dual_mov_b32 v11, v0
	v_dual_mov_b32 v12, v0 :: v_dual_mov_b32 v13, v0
	ds_store_b128 v72, v[10:13] offset:256
; %bb.24:                               ;   in Loop: Header=BB108_11 Depth=3
	s_wait_alu 0xfffe
	s_and_not1_saveexec_b32 s7, s7
; %bb.25:                               ;   in Loop: Header=BB108_11 Depth=3
	v_dual_mov_b32 v2, v0 :: v_dual_mov_b32 v3, v0
	ds_store_b128 v72, v[0:3] offset:256
; %bb.26:                               ;   in Loop: Header=BB108_11 Depth=3
	s_wait_alu 0xfffe
	s_or_b32 exec_lo, exec_lo, s7
.LBB108_27:                             ;   in Loop: Header=BB108_11 Depth=3
	s_wait_alu 0xfffe
	s_or_b32 exec_lo, exec_lo, s6
	v_add_co_u32 v2, s6, v8, 16
	s_wait_alu 0xf1ff
	v_add_co_ci_u32_e64 v3, null, 0, v9, s6
	v_cmp_eq_u64_e64 s7, s[24:25], v[24:25]
	s_delay_alu instid0(VALU_DEP_2)
	v_cmp_le_i64_e64 s6, s[42:43], v[2:3]
	v_cmp_gt_i64_e64 s8, v[2:3], v[16:17]
	s_and_b32 s57, s55, s7
	v_add_co_u32 v8, s7, v50, v28
	s_wait_alu 0xf1ff
	v_add_co_ci_u32_e64 v9, null, v51, v29, s7
	s_or_b32 s8, s6, s8
	s_wait_alu 0xfffe
	s_or_b32 s7, s8, s57
	s_wait_alu 0xfffe
	s_nor_b32 s7, s0, s7
	s_wait_alu 0xfffe
	s_and_saveexec_b32 s8, s7
	s_wait_alu 0xfffe
	s_xor_b32 s7, exec_lo, s8
	s_cbranch_execz .LBB108_29
; %bb.28:                               ;   in Loop: Header=BB108_11 Depth=3
	global_load_b128 v[10:13], v[8:9], off offset:-256
	v_add_nc_u32_e32 v2, 0x2000, v72
	s_wait_loadcnt 0x0
	ds_store_2addr_b64 v2, v[10:11], v[12:13] offset1:1
.LBB108_29:                             ;   in Loop: Header=BB108_11 Depth=3
	s_wait_alu 0xfffe
	s_and_not1_saveexec_b32 s7, s7
	s_cbranch_execz .LBB108_35
; %bb.30:                               ;   in Loop: Header=BB108_11 Depth=3
	s_xor_b32 s8, s57, -1
	s_wait_alu 0xfffe
	s_and_saveexec_b32 s57, s8
	s_wait_alu 0xfffe
	s_xor_b32 s8, exec_lo, s57
; %bb.31:                               ;   in Loop: Header=BB108_11 Depth=3
	v_dual_mov_b32 v10, v0 :: v_dual_mov_b32 v11, v0
	v_dual_mov_b32 v12, v0 :: v_dual_mov_b32 v13, v0
	ds_store_b128 v72, v[10:13] offset:8192
; %bb.32:                               ;   in Loop: Header=BB108_11 Depth=3
	s_wait_alu 0xfffe
	s_and_not1_saveexec_b32 s8, s8
; %bb.33:                               ;   in Loop: Header=BB108_11 Depth=3
	v_dual_mov_b32 v2, v0 :: v_dual_mov_b32 v3, v0
	ds_store_b128 v72, v[0:3] offset:8192
; %bb.34:                               ;   in Loop: Header=BB108_11 Depth=3
	s_wait_alu 0xfffe
	s_or_b32 exec_lo, exec_lo, s8
.LBB108_35:                             ;   in Loop: Header=BB108_11 Depth=3
	s_wait_alu 0xfffe
	s_or_b32 exec_lo, exec_lo, s7
	s_or_b32 s5, s6, s5
	s_wait_alu 0xfffe
	s_or_b32 s5, s5, s39
	s_wait_alu 0xfffe
	s_nor_b32 s5, s3, s5
	s_wait_alu 0xfffe
	s_and_saveexec_b32 s6, s5
	s_wait_alu 0xfffe
	s_xor_b32 s5, exec_lo, s6
	s_cbranch_execz .LBB108_37
; %bb.36:                               ;   in Loop: Header=BB108_11 Depth=3
	global_load_b128 v[8:11], v[8:9], off
	v_add_nc_u32_e32 v2, 0x2100, v72
	s_wait_loadcnt 0x0
	ds_store_2addr_b64 v2, v[8:9], v[10:11] offset1:1
.LBB108_37:                             ;   in Loop: Header=BB108_11 Depth=3
	s_wait_alu 0xfffe
	s_and_not1_saveexec_b32 s5, s5
	s_cbranch_execz .LBB108_43
; %bb.38:                               ;   in Loop: Header=BB108_11 Depth=3
	s_and_saveexec_b32 s6, s38
	s_wait_alu 0xfffe
	s_xor_b32 s6, exec_lo, s6
; %bb.39:                               ;   in Loop: Header=BB108_11 Depth=3
	v_dual_mov_b32 v8, v0 :: v_dual_mov_b32 v9, v0
	v_dual_mov_b32 v10, v0 :: v_dual_mov_b32 v11, v0
	ds_store_b128 v72, v[8:11] offset:8448
; %bb.40:                               ;   in Loop: Header=BB108_11 Depth=3
	s_wait_alu 0xfffe
	s_and_not1_saveexec_b32 s6, s6
; %bb.41:                               ;   in Loop: Header=BB108_11 Depth=3
	v_dual_mov_b32 v2, v0 :: v_dual_mov_b32 v3, v0
	ds_store_b128 v72, v[0:3] offset:8448
; %bb.42:                               ;   in Loop: Header=BB108_11 Depth=3
	s_wait_alu 0xfffe
	s_or_b32 exec_lo, exec_lo, s6
.LBB108_43:                             ;   in Loop: Header=BB108_11 Depth=3
	s_wait_alu 0xfffe
	s_or_b32 exec_lo, exec_lo, s5
	v_add_co_u32 v2, s5, v69, s24
	s_wait_alu 0xf1ff
	v_add_co_ci_u32_e64 v3, null, 0, s25, s5
	s_delay_alu instid0(VALU_DEP_1)
	v_cmp_gt_i64_e64 s5, s[42:43], v[2:3]
	s_and_b32 s6, vcc_lo, s5
	s_wait_alu 0xfffe
	s_xor_b32 s6, s6, -1
	s_wait_alu 0xfffe
	s_and_saveexec_b32 s7, s6
	s_wait_alu 0xfffe
	s_xor_b32 s6, exec_lo, s7
; %bb.44:                               ;   in Loop: Header=BB108_11 Depth=3
	v_dual_mov_b32 v8, v0 :: v_dual_mov_b32 v9, v0
	v_dual_mov_b32 v10, v0 :: v_dual_mov_b32 v11, v0
	ds_store_b128 v73, v[8:11]
; %bb.45:                               ;   in Loop: Header=BB108_11 Depth=3
	s_wait_alu 0xfffe
	s_and_not1_saveexec_b32 s6, s6
	s_cbranch_execz .LBB108_47
; %bb.46:                               ;   in Loop: Header=BB108_11 Depth=3
	global_load_b128 v[8:11], v[44:45], off offset:-256
	s_wait_loadcnt 0x0
	ds_store_2addr_b64 v73, v[8:9], v[10:11] offset1:1
.LBB108_47:                             ;   in Loop: Header=BB108_11 Depth=3
	s_wait_alu 0xfffe
	s_or_b32 exec_lo, exec_lo, s6
	v_cmp_gt_i64_e64 s6, s[48:49], v[2:3]
	s_and_b32 s7, vcc_lo, s6
	s_wait_alu 0xfffe
	s_xor_b32 s7, s7, -1
	s_wait_alu 0xfffe
	s_and_saveexec_b32 s8, s7
	s_wait_alu 0xfffe
	s_xor_b32 s7, exec_lo, s8
; %bb.48:                               ;   in Loop: Header=BB108_11 Depth=3
	v_dual_mov_b32 v8, v0 :: v_dual_mov_b32 v9, v0
	v_dual_mov_b32 v10, v0 :: v_dual_mov_b32 v11, v0
	ds_store_b128 v73, v[8:11] offset:256
; %bb.49:                               ;   in Loop: Header=BB108_11 Depth=3
	s_wait_alu 0xfffe
	s_and_not1_saveexec_b32 s7, s7
	s_cbranch_execz .LBB108_51
; %bb.50:                               ;   in Loop: Header=BB108_11 Depth=3
	global_load_b128 v[8:11], v[44:45], off
	v_add_nc_u32_e32 v2, 0x100, v73
	s_wait_loadcnt 0x0
	ds_store_2addr_b64 v2, v[8:9], v[10:11] offset1:1
.LBB108_51:                             ;   in Loop: Header=BB108_11 Depth=3
	s_wait_alu 0xfffe
	s_or_b32 exec_lo, exec_lo, s7
	s_and_b32 s5, s4, s5
	s_wait_alu 0xfffe
	s_xor_b32 s5, s5, -1
	s_wait_alu 0xfffe
	s_and_saveexec_b32 s7, s5
	s_wait_alu 0xfffe
	s_xor_b32 s5, exec_lo, s7
; %bb.52:                               ;   in Loop: Header=BB108_11 Depth=3
	v_dual_mov_b32 v8, v0 :: v_dual_mov_b32 v9, v0
	v_dual_mov_b32 v10, v0 :: v_dual_mov_b32 v11, v0
	ds_store_b128 v73, v[8:11] offset:8192
; %bb.53:                               ;   in Loop: Header=BB108_11 Depth=3
	s_wait_alu 0xfffe
	s_and_not1_saveexec_b32 s5, s5
	s_cbranch_execz .LBB108_55
; %bb.54:                               ;   in Loop: Header=BB108_11 Depth=3
	global_load_b128 v[8:11], v[46:47], off offset:-256
	v_add_nc_u32_e32 v2, 0x2000, v73
	s_wait_loadcnt 0x0
	ds_store_2addr_b64 v2, v[8:9], v[10:11] offset1:1
.LBB108_55:                             ;   in Loop: Header=BB108_11 Depth=3
	s_wait_alu 0xfffe
	s_or_b32 exec_lo, exec_lo, s5
	s_and_b32 s5, s4, s6
	s_wait_alu 0xfffe
	s_xor_b32 s5, s5, -1
	s_wait_alu 0xfffe
	s_and_saveexec_b32 s6, s5
	s_wait_alu 0xfffe
	s_xor_b32 s5, exec_lo, s6
; %bb.56:                               ;   in Loop: Header=BB108_11 Depth=3
	v_dual_mov_b32 v8, v0 :: v_dual_mov_b32 v9, v0
	v_dual_mov_b32 v10, v0 :: v_dual_mov_b32 v11, v0
	ds_store_b128 v73, v[8:11] offset:8448
; %bb.57:                               ;   in Loop: Header=BB108_11 Depth=3
	s_wait_alu 0xfffe
	s_and_not1_saveexec_b32 s5, s5
	s_cbranch_execz .LBB108_10
; %bb.58:                               ;   in Loop: Header=BB108_11 Depth=3
	global_load_b128 v[8:11], v[46:47], off
	v_add_nc_u32_e32 v2, 0x2100, v73
	s_wait_loadcnt 0x0
	ds_store_2addr_b64 v2, v[8:9], v[10:11] offset1:1
	s_branch .LBB108_10
.LBB108_59:                             ;   in Loop: Header=BB108_8 Depth=2
	v_mul_lo_u32 v8, s29, v75
	v_mul_lo_u32 v9, s28, v76
	v_mad_co_u64_u32 v[2:3], null, s28, v75, 0
	v_cmp_gt_i32_e32 vcc_lo, s10, v75
	s_delay_alu instid0(VALU_DEP_2) | instskip(NEXT) | instid1(VALU_DEP_1)
	v_add3_u32 v3, v3, v9, v8
	v_lshlrev_b64_e32 v[2:3], 4, v[2:3]
	s_delay_alu instid0(VALU_DEP_1) | instskip(SKIP_1) | instid1(VALU_DEP_2)
	v_add_co_u32 v2, s4, s22, v2
	s_wait_alu 0xf1ff
	v_add_co_ci_u32_e64 v3, null, s23, v3, s4
	s_and_b32 s4, s1, vcc_lo
	s_wait_alu 0xfffe
	s_and_saveexec_b32 s5, s4
	s_cbranch_execz .LBB108_61
; %bb.60:                               ;   in Loop: Header=BB108_8 Depth=2
	v_add_co_u32 v12, s4, v2, v28
	s_wait_alu 0xf1ff
	v_add_co_ci_u32_e64 v13, null, v3, v29, s4
	v_mul_f64_e32 v[14:15], v[6:7], v[58:59]
	v_mul_f64_e32 v[43:44], v[4:5], v[58:59]
	global_load_b128 v[8:11], v[12:13], off
	v_fma_f64 v[14:15], v[4:5], v[56:57], -v[14:15]
	v_fma_f64 v[43:44], v[6:7], v[56:57], v[43:44]
	s_wait_loadcnt 0x0
	s_delay_alu instid0(VALU_DEP_2) | instskip(NEXT) | instid1(VALU_DEP_2)
	v_add_f64_e32 v[8:9], v[8:9], v[14:15]
	v_add_f64_e32 v[10:11], v[43:44], v[10:11]
	global_store_b128 v[12:13], v[8:11], off
.LBB108_61:                             ;   in Loop: Header=BB108_8 Depth=2
	s_wait_alu 0xfffe
	s_or_b32 exec_lo, exec_lo, s5
	s_and_b32 s5, s2, vcc_lo
	s_wait_alu 0xfffe
	s_and_saveexec_b32 s4, s5
	s_cbranch_execz .LBB108_63
; %bb.62:                               ;   in Loop: Header=BB108_8 Depth=2
	v_add_co_u32 v2, vcc_lo, v2, v34
	s_wait_alu 0xfffd
	v_add_co_ci_u32_e64 v3, null, v3, v35, vcc_lo
	v_mul_f64_e32 v[12:13], v[6:7], v[54:55]
	v_mul_f64_e32 v[14:15], v[4:5], v[54:55]
	global_load_b128 v[8:11], v[2:3], off
	v_fma_f64 v[12:13], v[4:5], v[52:53], -v[12:13]
	v_fma_f64 v[14:15], v[6:7], v[52:53], v[14:15]
	s_wait_loadcnt 0x0
	s_delay_alu instid0(VALU_DEP_2) | instskip(NEXT) | instid1(VALU_DEP_2)
	v_add_f64_e32 v[8:9], v[8:9], v[12:13]
	v_add_f64_e32 v[10:11], v[14:15], v[10:11]
	global_store_b128 v[2:3], v[8:11], off
.LBB108_63:                             ;   in Loop: Header=BB108_8 Depth=2
	s_wait_alu 0xfffe
	s_or_b32 exec_lo, exec_lo, s4
	v_add_nc_u32_e32 v8, 16, v75
	s_delay_alu instid0(VALU_DEP_1) | instskip(SKIP_3) | instid1(VALU_DEP_4)
	v_ashrrev_i32_e32 v9, 31, v8
	v_mul_lo_u32 v10, s29, v8
	v_mad_co_u64_u32 v[2:3], null, s28, v8, 0
	v_cmp_gt_i32_e32 vcc_lo, s10, v8
	v_mul_lo_u32 v9, s28, v9
	s_delay_alu instid0(VALU_DEP_1) | instskip(NEXT) | instid1(VALU_DEP_1)
	v_add3_u32 v3, v3, v9, v10
	v_lshlrev_b64_e32 v[2:3], 4, v[2:3]
	s_delay_alu instid0(VALU_DEP_1) | instskip(SKIP_1) | instid1(VALU_DEP_2)
	v_add_co_u32 v2, s4, s22, v2
	s_wait_alu 0xf1ff
	v_add_co_ci_u32_e64 v3, null, s23, v3, s4
	s_and_b32 s4, s1, vcc_lo
	s_wait_alu 0xfffe
	s_and_saveexec_b32 s5, s4
	s_cbranch_execz .LBB108_65
; %bb.64:                               ;   in Loop: Header=BB108_8 Depth=2
	v_add_co_u32 v12, s4, v2, v28
	s_wait_alu 0xf1ff
	v_add_co_ci_u32_e64 v13, null, v3, v29, s4
	v_mul_f64_e32 v[14:15], v[6:7], v[62:63]
	v_mul_f64_e32 v[43:44], v[4:5], v[62:63]
	global_load_b128 v[8:11], v[12:13], off
	v_fma_f64 v[14:15], v[4:5], v[60:61], -v[14:15]
	v_fma_f64 v[43:44], v[6:7], v[60:61], v[43:44]
	s_wait_loadcnt 0x0
	s_delay_alu instid0(VALU_DEP_2) | instskip(NEXT) | instid1(VALU_DEP_2)
	v_add_f64_e32 v[8:9], v[8:9], v[14:15]
	v_add_f64_e32 v[10:11], v[43:44], v[10:11]
	global_store_b128 v[12:13], v[8:11], off
.LBB108_65:                             ;   in Loop: Header=BB108_8 Depth=2
	s_wait_alu 0xfffe
	s_or_b32 exec_lo, exec_lo, s5
	s_and_b32 s5, s2, vcc_lo
	s_wait_alu 0xfffe
	s_and_saveexec_b32 s4, s5
	s_cbranch_execz .LBB108_7
; %bb.66:                               ;   in Loop: Header=BB108_8 Depth=2
	v_add_co_u32 v2, vcc_lo, v2, v34
	s_wait_alu 0xfffd
	v_add_co_ci_u32_e64 v3, null, v3, v35, vcc_lo
	v_mul_f64_e32 v[12:13], v[6:7], v[64:65]
	v_mul_f64_e32 v[14:15], v[4:5], v[64:65]
	global_load_b128 v[8:11], v[2:3], off
	v_fma_f64 v[12:13], v[4:5], v[66:67], -v[12:13]
	v_fma_f64 v[14:15], v[6:7], v[66:67], v[14:15]
	s_wait_loadcnt 0x0
	s_delay_alu instid0(VALU_DEP_2) | instskip(NEXT) | instid1(VALU_DEP_2)
	v_add_f64_e32 v[8:9], v[8:9], v[12:13]
	v_add_f64_e32 v[10:11], v[14:15], v[10:11]
	global_store_b128 v[2:3], v[8:11], off
	s_branch .LBB108_7
.LBB108_67:
	s_endpgm
	.section	.rodata,"a",@progbits
	.p2align	6, 0x0
	.amdhsa_kernel _ZL30rocblas_trmm_outofplace_kernelI19rocblas_complex_numIdELi32ELi2ELb1ELb0ELb0ELb0EPKS1_S2_S1_Ev17rocblas_diagonal_iiT6_lPT7_lllS7_lllPT8_llli
		.amdhsa_group_segment_fixed_size 32768
		.amdhsa_private_segment_fixed_size 0
		.amdhsa_kernarg_size 392
		.amdhsa_user_sgpr_count 2
		.amdhsa_user_sgpr_dispatch_ptr 0
		.amdhsa_user_sgpr_queue_ptr 0
		.amdhsa_user_sgpr_kernarg_segment_ptr 1
		.amdhsa_user_sgpr_dispatch_id 0
		.amdhsa_user_sgpr_private_segment_size 0
		.amdhsa_wavefront_size32 1
		.amdhsa_uses_dynamic_stack 0
		.amdhsa_enable_private_segment 0
		.amdhsa_system_sgpr_workgroup_id_x 1
		.amdhsa_system_sgpr_workgroup_id_y 1
		.amdhsa_system_sgpr_workgroup_id_z 1
		.amdhsa_system_sgpr_workgroup_info 0
		.amdhsa_system_vgpr_workitem_id 1
		.amdhsa_next_free_vgpr 93
		.amdhsa_next_free_sgpr 58
		.amdhsa_reserve_vcc 1
		.amdhsa_float_round_mode_32 0
		.amdhsa_float_round_mode_16_64 0
		.amdhsa_float_denorm_mode_32 3
		.amdhsa_float_denorm_mode_16_64 3
		.amdhsa_fp16_overflow 0
		.amdhsa_workgroup_processor_mode 1
		.amdhsa_memory_ordered 1
		.amdhsa_forward_progress 1
		.amdhsa_inst_pref_size 76
		.amdhsa_round_robin_scheduling 0
		.amdhsa_exception_fp_ieee_invalid_op 0
		.amdhsa_exception_fp_denorm_src 0
		.amdhsa_exception_fp_ieee_div_zero 0
		.amdhsa_exception_fp_ieee_overflow 0
		.amdhsa_exception_fp_ieee_underflow 0
		.amdhsa_exception_fp_ieee_inexact 0
		.amdhsa_exception_int_div_zero 0
	.end_amdhsa_kernel
	.section	.text._ZL30rocblas_trmm_outofplace_kernelI19rocblas_complex_numIdELi32ELi2ELb1ELb0ELb0ELb0EPKS1_S2_S1_Ev17rocblas_diagonal_iiT6_lPT7_lllS7_lllPT8_llli,"axG",@progbits,_ZL30rocblas_trmm_outofplace_kernelI19rocblas_complex_numIdELi32ELi2ELb1ELb0ELb0ELb0EPKS1_S2_S1_Ev17rocblas_diagonal_iiT6_lPT7_lllS7_lllPT8_llli,comdat
.Lfunc_end108:
	.size	_ZL30rocblas_trmm_outofplace_kernelI19rocblas_complex_numIdELi32ELi2ELb1ELb0ELb0ELb0EPKS1_S2_S1_Ev17rocblas_diagonal_iiT6_lPT7_lllS7_lllPT8_llli, .Lfunc_end108-_ZL30rocblas_trmm_outofplace_kernelI19rocblas_complex_numIdELi32ELi2ELb1ELb0ELb0ELb0EPKS1_S2_S1_Ev17rocblas_diagonal_iiT6_lPT7_lllS7_lllPT8_llli
                                        ; -- End function
	.set _ZL30rocblas_trmm_outofplace_kernelI19rocblas_complex_numIdELi32ELi2ELb1ELb0ELb0ELb0EPKS1_S2_S1_Ev17rocblas_diagonal_iiT6_lPT7_lllS7_lllPT8_llli.num_vgpr, 93
	.set _ZL30rocblas_trmm_outofplace_kernelI19rocblas_complex_numIdELi32ELi2ELb1ELb0ELb0ELb0EPKS1_S2_S1_Ev17rocblas_diagonal_iiT6_lPT7_lllS7_lllPT8_llli.num_agpr, 0
	.set _ZL30rocblas_trmm_outofplace_kernelI19rocblas_complex_numIdELi32ELi2ELb1ELb0ELb0ELb0EPKS1_S2_S1_Ev17rocblas_diagonal_iiT6_lPT7_lllS7_lllPT8_llli.numbered_sgpr, 58
	.set _ZL30rocblas_trmm_outofplace_kernelI19rocblas_complex_numIdELi32ELi2ELb1ELb0ELb0ELb0EPKS1_S2_S1_Ev17rocblas_diagonal_iiT6_lPT7_lllS7_lllPT8_llli.num_named_barrier, 0
	.set _ZL30rocblas_trmm_outofplace_kernelI19rocblas_complex_numIdELi32ELi2ELb1ELb0ELb0ELb0EPKS1_S2_S1_Ev17rocblas_diagonal_iiT6_lPT7_lllS7_lllPT8_llli.private_seg_size, 0
	.set _ZL30rocblas_trmm_outofplace_kernelI19rocblas_complex_numIdELi32ELi2ELb1ELb0ELb0ELb0EPKS1_S2_S1_Ev17rocblas_diagonal_iiT6_lPT7_lllS7_lllPT8_llli.uses_vcc, 1
	.set _ZL30rocblas_trmm_outofplace_kernelI19rocblas_complex_numIdELi32ELi2ELb1ELb0ELb0ELb0EPKS1_S2_S1_Ev17rocblas_diagonal_iiT6_lPT7_lllS7_lllPT8_llli.uses_flat_scratch, 0
	.set _ZL30rocblas_trmm_outofplace_kernelI19rocblas_complex_numIdELi32ELi2ELb1ELb0ELb0ELb0EPKS1_S2_S1_Ev17rocblas_diagonal_iiT6_lPT7_lllS7_lllPT8_llli.has_dyn_sized_stack, 0
	.set _ZL30rocblas_trmm_outofplace_kernelI19rocblas_complex_numIdELi32ELi2ELb1ELb0ELb0ELb0EPKS1_S2_S1_Ev17rocblas_diagonal_iiT6_lPT7_lllS7_lllPT8_llli.has_recursion, 0
	.set _ZL30rocblas_trmm_outofplace_kernelI19rocblas_complex_numIdELi32ELi2ELb1ELb0ELb0ELb0EPKS1_S2_S1_Ev17rocblas_diagonal_iiT6_lPT7_lllS7_lllPT8_llli.has_indirect_call, 0
	.section	.AMDGPU.csdata,"",@progbits
; Kernel info:
; codeLenInByte = 9672
; TotalNumSgprs: 60
; NumVgprs: 93
; ScratchSize: 0
; MemoryBound: 0
; FloatMode: 240
; IeeeMode: 1
; LDSByteSize: 32768 bytes/workgroup (compile time only)
; SGPRBlocks: 0
; VGPRBlocks: 11
; NumSGPRsForWavesPerEU: 60
; NumVGPRsForWavesPerEU: 93
; Occupancy: 16
; WaveLimiterHint : 0
; COMPUTE_PGM_RSRC2:SCRATCH_EN: 0
; COMPUTE_PGM_RSRC2:USER_SGPR: 2
; COMPUTE_PGM_RSRC2:TRAP_HANDLER: 0
; COMPUTE_PGM_RSRC2:TGID_X_EN: 1
; COMPUTE_PGM_RSRC2:TGID_Y_EN: 1
; COMPUTE_PGM_RSRC2:TGID_Z_EN: 1
; COMPUTE_PGM_RSRC2:TIDIG_COMP_CNT: 1
	.section	.text._ZL30rocblas_trmm_outofplace_kernelI19rocblas_complex_numIdELi32ELi2ELb1ELb0ELb0ELb0ES1_KS1_S1_Ev17rocblas_diagonal_iiT6_lPT7_lllS6_lllPT8_llli,"axG",@progbits,_ZL30rocblas_trmm_outofplace_kernelI19rocblas_complex_numIdELi32ELi2ELb1ELb0ELb0ELb0ES1_KS1_S1_Ev17rocblas_diagonal_iiT6_lPT7_lllS6_lllPT8_llli,comdat
	.globl	_ZL30rocblas_trmm_outofplace_kernelI19rocblas_complex_numIdELi32ELi2ELb1ELb0ELb0ELb0ES1_KS1_S1_Ev17rocblas_diagonal_iiT6_lPT7_lllS6_lllPT8_llli ; -- Begin function _ZL30rocblas_trmm_outofplace_kernelI19rocblas_complex_numIdELi32ELi2ELb1ELb0ELb0ELb0ES1_KS1_S1_Ev17rocblas_diagonal_iiT6_lPT7_lllS6_lllPT8_llli
	.p2align	8
	.type	_ZL30rocblas_trmm_outofplace_kernelI19rocblas_complex_numIdELi32ELi2ELb1ELb0ELb0ELb0ES1_KS1_S1_Ev17rocblas_diagonal_iiT6_lPT7_lllS6_lllPT8_llli,@function
_ZL30rocblas_trmm_outofplace_kernelI19rocblas_complex_numIdELi32ELi2ELb1ELb0ELb0ELb0ES1_KS1_S1_Ev17rocblas_diagonal_iiT6_lPT7_lllS6_lllPT8_llli: ; @_ZL30rocblas_trmm_outofplace_kernelI19rocblas_complex_numIdELi32ELi2ELb1ELb0ELb0ELb0ES1_KS1_S1_Ev17rocblas_diagonal_iiT6_lPT7_lllS6_lllPT8_llli
; %bb.0:
	s_load_b32 s33, s[0:1], 0x88
	s_lshr_b32 s34, ttmp7, 16
	s_wait_kmcnt 0x0
	s_cmp_ge_u32 s34, s33
	s_cbranch_scc1 .LBB109_66
; %bb.1:
	s_load_b128 s[28:31], s[0:1], 0x10
	s_wait_kmcnt 0x0
	v_cmp_eq_f64_e64 s2, s[28:29], 0
	v_cmp_eq_f64_e64 s3, s[30:31], 0
	s_and_b32 s2, s2, s3
	s_delay_alu instid0(SALU_CYCLE_1)
	s_and_b32 vcc_lo, exec_lo, s2
	s_cbranch_vccnz .LBB109_66
; %bb.2:
	s_clause 0x1
	s_load_b96 s[36:38], s[0:1], 0x0
	s_load_b512 s[4:19], s[0:1], 0x28
	s_add_nc_u64 s[40:41], s[0:1], 0x90
	s_load_b256 s[20:27], s[0:1], 0x68
	s_and_b32 s39, ttmp7, 0xffff
	v_bfe_u32 v62, v0, 10, 10
	v_dual_mov_b32 v0, 0 :: v_dual_and_b32 v63, 0x3ff, v0
	s_mov_b32 s35, 0
	s_delay_alu instid0(VALU_DEP_2) | instskip(NEXT) | instid1(VALU_DEP_2)
	v_lshlrev_b32_e32 v1, 9, v62
	v_lshlrev_b32_e32 v64, 4, v63
	v_lshl_add_u32 v7, v62, 4, 0x100
	v_lshl_add_u32 v72, s39, 5, v62
	s_delay_alu instid0(VALU_DEP_4) | instskip(NEXT) | instid1(VALU_DEP_4)
	v_add_nc_u32_e32 v65, 0x4000, v1
	v_add_nc_u32_e32 v66, v64, v1
	s_wait_kmcnt 0x0
	s_add_co_i32 s0, s38, -1
	v_mad_co_u64_u32 v[3:4], null, s8, v62, 0
	s_ashr_i32 s1, s0, 31
	s_mov_b32 s42, s37
	s_lshr_b32 s1, s1, 27
	v_add_nc_u32_e32 v68, 0x2100, v66
	s_add_co_i32 s0, s0, s1
	s_mov_b32 s46, s38
	s_ashr_i32 s47, s0, 5
	v_mad_co_u64_u32 v[4:5], null, s9, v62, v[4:5]
	s_cmp_le_i32 s39, s47
	s_cselect_b32 s48, -1, 0
	s_lshl_b32 s49, ttmp9, 5
	s_cmp_gt_i32 ttmp9, -1
	v_add_nc_u32_e32 v10, s49, v63
	s_cselect_b32 s50, -1, 0
	s_cmp_eq_u32 s36, 0x84
	v_lshlrev_b64_e32 v[3:4], 4, v[3:4]
	s_cselect_b32 s51, -1, 0
	v_add_nc_u32_e32 v1, 16, v10
	v_ashrrev_i32_e32 v11, 31, v10
	s_lshl_b64 s[6:7], s[6:7], 4
	v_add_co_u32 v12, vcc_lo, v10, 16
	s_add_nc_u64 s[4:5], s[4:5], s[6:7]
	v_ashrrev_i32_e32 v2, 31, v1
	v_add_co_ci_u32_e64 v13, null, 0, v11, vcc_lo
	v_sub_co_u32 v14, vcc_lo, v10, v62
	s_lshl_b64 s[14:15], s[14:15], 4
	v_mad_co_u64_u32 v[5:6], null, s8, v7, s[4:5]
	s_wait_alu 0xfffd
	v_subrev_co_ci_u32_e64 v15, null, 0, v11, vcc_lo
	s_add_nc_u64 s[12:13], s[12:13], s[14:15]
	v_cmp_gt_i32_e64 s2, s37, v1
	v_lshlrev_b64_e32 v[28:29], 4, v[1:2]
	v_mov_b32_e32 v1, 0x3ff00000
	v_add_co_u32 v8, s6, s12, v64
	v_add_co_u32 v16, vcc_lo, v14, 16
	v_add_co_ci_u32_e64 v9, null, s13, 0, s6
	s_wait_alu 0xfffd
	v_add_co_ci_u32_e64 v17, null, 0, v15, vcc_lo
	v_add_co_u32 v18, vcc_lo, v14, -16
	v_mad_co_u64_u32 v[6:7], null, s9, v7, v[6:7]
	s_wait_alu 0xfffd
	v_add_co_ci_u32_e64 v19, null, -1, v15, vcc_lo
	v_add_co_u32 v20, vcc_lo, 0x100, v8
	s_wait_alu 0xfffd
	v_add_co_ci_u32_e64 v21, null, 0, v9, vcc_lo
	v_add_co_u32 v3, vcc_lo, s4, v3
	v_add_nc_u32_e32 v67, v65, v64
	s_wait_alu 0xfffd
	v_add_co_ci_u32_e64 v4, null, s5, v4, vcc_lo
	v_add_co_u32 v24, vcc_lo, 0x100, v5
	s_ashr_i32 s43, s37, 31
	s_lshl_b64 s[0:1], s[22:23], 4
	s_wait_alu 0xfffd
	v_add_co_ci_u32_e64 v25, null, 0, v6, vcc_lo
	v_add_co_u32 v26, vcc_lo, 0x100, v3
	v_cmp_le_i64_e64 s3, s[42:43], v[12:13]
	v_lshlrev_b64_e32 v[22:23], 4, v[10:11]
	v_add_nc_u32_e32 v69, 0x100, v67
	v_add_nc_u32_e32 v70, 0x2000, v67
	;; [unrolled: 1-line block ×3, first 2 shown]
	s_add_nc_u64 s[20:21], s[20:21], s[0:1]
	v_cmp_le_i32_e64 s0, s37, v10
	v_cmp_gt_i32_e64 s1, s37, v10
	s_wait_alu 0xfffd
	v_add_co_ci_u32_e64 v27, null, 0, v4, vcc_lo
	s_ashr_i32 s52, s38, 31
	s_lshl_b64 s[44:45], s[8:9], 9
	s_add_nc_u64 s[22:23], s[42:43], -16
	s_lshl_b64 s[12:13], s[18:19], 4
	s_lshl_b64 s[14:15], s[16:17], 4
	;; [unrolled: 1-line block ×3, first 2 shown]
	s_branch .LBB109_4
.LBB109_3:                              ;   in Loop: Header=BB109_4 Depth=1
	s_add_co_i32 s34, s34, 0x10000
	s_wait_alu 0xfffe
	s_cmp_ge_u32 s34, s33
	s_cbranch_scc1 .LBB109_66
.LBB109_4:                              ; =>This Loop Header: Depth=1
                                        ;     Child Loop BB109_7 Depth 2
                                        ;       Child Loop BB109_10 Depth 3
	s_and_not1_b32 vcc_lo, exec_lo, s48
	s_wait_alu 0xfffe
	s_cbranch_vccnz .LBB109_3
; %bb.5:                                ;   in Loop: Header=BB109_4 Depth=1
	v_mad_co_u64_u32 v[30:31], null, s12, s34, v[20:21]
	s_load_b32 s9, s[40:41], 0x4
	v_mad_co_u64_u32 v[32:33], null, s10, s34, v[24:25]
	s_mul_i32 s6, s11, s34
	v_mad_co_u64_u32 v[34:35], null, s10, s34, v[26:27]
	v_mov_b32_e32 v2, v31
	s_mul_u64 s[4:5], s[26:27], s[34:35]
	s_wait_alu 0xfffe
	v_dual_mov_b32 v36, v72 :: v_dual_add_nc_u32 v33, s6, v33
	s_lshl_b64 s[4:5], s[4:5], 4
	v_mad_co_u64_u32 v[2:3], null, s13, s34, v[2:3]
	s_delay_alu instid0(VALU_DEP_4) | instskip(SKIP_3) | instid1(VALU_DEP_2)
	v_add_nc_u32_e32 v35, s6, v35
	s_wait_alu 0xfffe
	s_add_nc_u64 s[18:19], s[20:21], s[4:5]
	s_mov_b32 s54, s39
	v_mov_b32_e32 v31, v2
	s_wait_kmcnt 0x0
	s_lshl_b32 s53, s9, 5
	s_branch .LBB109_7
.LBB109_6:                              ;   in Loop: Header=BB109_7 Depth=2
	s_wait_alu 0xfffe
	s_or_b32 exec_lo, exec_lo, s4
	v_add_nc_u32_e32 v36, s53, v36
	s_add_co_i32 s54, s9, s54
	s_wait_alu 0xfffe
	s_cmp_gt_i32 s54, s47
	s_cbranch_scc1 .LBB109_3
.LBB109_7:                              ;   Parent Loop BB109_4 Depth=1
                                        ; =>  This Loop Header: Depth=2
                                        ;       Child Loop BB109_10 Depth 3
	s_wait_alu 0xfffe
	v_lshl_add_u32 v73, s54, 5, v62
	v_mov_b32_e32 v50, 0
	v_mov_b32_e32 v46, 0
	;; [unrolled: 1-line block ×3, first 2 shown]
	v_dual_mov_b32 v60, 0 :: v_dual_mov_b32 v51, 0
	v_dual_mov_b32 v52, 0 :: v_dual_mov_b32 v47, 0
	;; [unrolled: 1-line block ×5, first 2 shown]
	v_mov_b32_e32 v49, 0
	v_mov_b32_e32 v57, 0
	;; [unrolled: 1-line block ×3, first 2 shown]
	v_ashrrev_i32_e32 v74, 31, v73
	s_and_not1_b32 vcc_lo, exec_lo, s50
	s_wait_alu 0xfffe
	s_cbranch_vccnz .LBB109_58
; %bb.8:                                ;   in Loop: Header=BB109_7 Depth=2
	v_ashrrev_i32_e32 v37, 31, v36
	v_mad_co_u64_u32 v[38:39], null, s14, v36, v[30:31]
	v_mul_lo_u32 v4, s15, v36
	v_mov_b32_e32 v60, 0
	s_delay_alu instid0(VALU_DEP_4)
	v_lshlrev_b64_e32 v[2:3], 4, v[36:37]
	v_mul_lo_u32 v7, s14, v37
	v_mov_b32_e32 v54, 0
	v_mov_b32_e32 v46, 0
	v_dual_mov_b32 v58, 0 :: v_dual_mov_b32 v43, v35
	v_add_co_u32 v5, vcc_lo, 0x100, v2
	s_wait_alu 0xfffd
	v_add_co_ci_u32_e64 v6, null, 0, v3, vcc_lo
	v_sub_co_u32 v2, vcc_lo, s46, v73
	s_delay_alu instid0(VALU_DEP_3) | instskip(NEXT) | instid1(VALU_DEP_3)
	v_mul_lo_u32 v8, s17, v5
	v_mul_lo_u32 v6, s16, v6
	v_mad_co_u64_u32 v[40:41], null, s16, v5, v[30:31]
	s_wait_alu 0xfffd
	v_sub_co_ci_u32_e64 v3, null, s52, v74, vcc_lo
	v_dual_mov_b32 v61, 0 :: v_dual_mov_b32 v56, 0
	v_dual_mov_b32 v55, 0 :: v_dual_mov_b32 v48, 0
	s_delay_alu instid0(VALU_DEP_3)
	v_cmp_lt_i64_e64 s4, 16, v[2:3]
	v_dual_mov_b32 v47, 0 :: v_dual_mov_b32 v52, 0
	v_dual_mov_b32 v50, 0 :: v_dual_mov_b32 v45, v33
	;; [unrolled: 1-line block ×3, first 2 shown]
	v_add3_u32 v39, v4, v39, v7
	v_add3_u32 v41, v8, v41, v6
	v_mov_b32_e32 v57, 0
	v_mov_b32_e32 v49, 0
	;; [unrolled: 1-line block ×3, first 2 shown]
	v_dual_mov_b32 v51, 0 :: v_dual_mov_b32 v44, v32
	s_mov_b64 s[36:37], 0
	v_cmp_lt_i64_e32 vcc_lo, 0, v[2:3]
	s_branch .LBB109_10
.LBB109_9:                              ;   in Loop: Header=BB109_10 Depth=3
	s_wait_alu 0xfffe
	s_or_b32 exec_lo, exec_lo, s5
	s_wait_dscnt 0x0
	s_barrier_signal -1
	s_barrier_wait -1
	global_inv scope:SCOPE_SE
	ds_load_b128 v[75:78], v65
	ds_load_b128 v[79:82], v65 offset:16
	ds_load_b128 v[6:9], v65 offset:32
	;; [unrolled: 1-line block ×3, first 2 shown]
	ds_load_b128 v[83:86], v64
	v_add_co_u32 v38, s5, 0x200, v38
	s_wait_alu 0xf1ff
	v_add_co_ci_u32_e64 v39, null, 0, v39, s5
	v_add_co_u32 v40, s5, 0x200, v40
	s_wait_alu 0xf1ff
	v_add_co_ci_u32_e64 v41, null, 0, v41, s5
	;; [unrolled: 3-line block ×3, first 2 shown]
	v_add_co_u32 v42, s5, v42, s44
	s_add_nc_u64 s[36:37], s[36:37], 32
	v_add_co_ci_u32_e64 v43, null, s45, v43, s5
	s_wait_alu 0xfffe
	s_sub_co_i32 s5, s36, 32
	s_wait_dscnt 0x0
	v_mul_f64_e32 v[87:88], v[77:78], v[85:86]
	v_mul_f64_e32 v[89:90], v[75:76], v[85:86]
	s_wait_alu 0xfffe
	s_cmp_ge_i32 s5, s49
	s_delay_alu instid0(VALU_DEP_2) | instskip(NEXT) | instid1(VALU_DEP_2)
	v_fma_f64 v[87:88], v[75:76], v[83:84], -v[87:88]
	v_fma_f64 v[89:90], v[77:78], v[83:84], v[89:90]
	s_delay_alu instid0(VALU_DEP_2) | instskip(NEXT) | instid1(VALU_DEP_2)
	v_add_f64_e32 v[87:88], v[50:51], v[87:88]
	v_add_f64_e32 v[89:90], v[89:90], v[52:53]
	ds_load_b128 v[50:53], v64 offset:256
	s_wait_dscnt 0x0
	v_mul_f64_e32 v[91:92], v[77:78], v[52:53]
	s_delay_alu instid0(VALU_DEP_1) | instskip(SKIP_1) | instid1(VALU_DEP_1)
	v_fma_f64 v[91:92], v[75:76], v[50:51], -v[91:92]
	v_mul_f64_e32 v[75:76], v[75:76], v[52:53]
	v_fma_f64 v[75:76], v[77:78], v[50:51], v[75:76]
	s_delay_alu instid0(VALU_DEP_3) | instskip(NEXT) | instid1(VALU_DEP_2)
	v_add_f64_e32 v[77:78], v[46:47], v[91:92]
	v_add_f64_e32 v[75:76], v[75:76], v[48:49]
	ds_load_b128 v[46:49], v65 offset:8192
	s_wait_dscnt 0x0
	v_mul_f64_e32 v[91:92], v[48:49], v[85:86]
	v_mul_f64_e32 v[85:86], v[46:47], v[85:86]
	s_delay_alu instid0(VALU_DEP_2) | instskip(NEXT) | instid1(VALU_DEP_2)
	v_fma_f64 v[91:92], v[46:47], v[83:84], -v[91:92]
	v_fma_f64 v[83:84], v[48:49], v[83:84], v[85:86]
	s_delay_alu instid0(VALU_DEP_2) | instskip(SKIP_1) | instid1(VALU_DEP_3)
	v_add_f64_e32 v[85:86], v[54:55], v[91:92]
	v_mul_f64_e32 v[54:55], v[48:49], v[52:53]
	v_add_f64_e32 v[83:84], v[83:84], v[56:57]
	s_delay_alu instid0(VALU_DEP_2) | instskip(SKIP_1) | instid1(VALU_DEP_2)
	v_fma_f64 v[54:55], v[46:47], v[50:51], -v[54:55]
	v_mul_f64_e32 v[46:47], v[46:47], v[52:53]
	v_add_f64_e32 v[60:61], v[60:61], v[54:55]
	s_delay_alu instid0(VALU_DEP_2) | instskip(NEXT) | instid1(VALU_DEP_1)
	v_fma_f64 v[46:47], v[48:49], v[50:51], v[46:47]
	v_add_f64_e32 v[58:59], v[46:47], v[58:59]
	ds_load_b128 v[46:49], v64 offset:512
	s_wait_dscnt 0x0
	v_mul_f64_e32 v[50:51], v[81:82], v[48:49]
	v_mul_f64_e32 v[52:53], v[79:80], v[48:49]
	s_delay_alu instid0(VALU_DEP_2) | instskip(NEXT) | instid1(VALU_DEP_2)
	v_fma_f64 v[50:51], v[79:80], v[46:47], -v[50:51]
	v_fma_f64 v[52:53], v[81:82], v[46:47], v[52:53]
	s_delay_alu instid0(VALU_DEP_2) | instskip(NEXT) | instid1(VALU_DEP_2)
	v_add_f64_e32 v[87:88], v[87:88], v[50:51]
	v_add_f64_e32 v[89:90], v[52:53], v[89:90]
	ds_load_b128 v[50:53], v64 offset:768
	s_wait_dscnt 0x0
	v_mul_f64_e32 v[54:55], v[81:82], v[52:53]
	v_mul_f64_e32 v[56:57], v[79:80], v[52:53]
	s_delay_alu instid0(VALU_DEP_2) | instskip(NEXT) | instid1(VALU_DEP_2)
	v_fma_f64 v[54:55], v[79:80], v[50:51], -v[54:55]
	v_fma_f64 v[56:57], v[81:82], v[50:51], v[56:57]
	s_delay_alu instid0(VALU_DEP_2) | instskip(NEXT) | instid1(VALU_DEP_2)
	v_add_f64_e32 v[77:78], v[77:78], v[54:55]
	v_add_f64_e32 v[75:76], v[56:57], v[75:76]
	ds_load_b128 v[54:57], v65 offset:8208
	s_wait_dscnt 0x0
	v_mul_f64_e32 v[79:80], v[56:57], v[48:49]
	v_mul_f64_e32 v[48:49], v[54:55], v[48:49]
	s_delay_alu instid0(VALU_DEP_2) | instskip(NEXT) | instid1(VALU_DEP_2)
	v_fma_f64 v[79:80], v[54:55], v[46:47], -v[79:80]
	v_fma_f64 v[46:47], v[56:57], v[46:47], v[48:49]
	v_mul_f64_e32 v[48:49], v[54:55], v[52:53]
	s_delay_alu instid0(VALU_DEP_3) | instskip(NEXT) | instid1(VALU_DEP_3)
	v_add_f64_e32 v[79:80], v[85:86], v[79:80]
	v_add_f64_e32 v[81:82], v[46:47], v[83:84]
	v_mul_f64_e32 v[46:47], v[56:57], v[52:53]
	s_delay_alu instid0(VALU_DEP_4) | instskip(NEXT) | instid1(VALU_DEP_2)
	v_fma_f64 v[48:49], v[56:57], v[50:51], v[48:49]
	v_fma_f64 v[46:47], v[54:55], v[50:51], -v[46:47]
	s_delay_alu instid0(VALU_DEP_2) | instskip(NEXT) | instid1(VALU_DEP_2)
	v_add_f64_e32 v[56:57], v[48:49], v[58:59]
	v_add_f64_e32 v[54:55], v[60:61], v[46:47]
	ds_load_b128 v[46:49], v64 offset:1024
	s_wait_dscnt 0x0
	v_mul_f64_e32 v[50:51], v[8:9], v[48:49]
	v_mul_f64_e32 v[52:53], v[6:7], v[48:49]
	s_delay_alu instid0(VALU_DEP_2) | instskip(NEXT) | instid1(VALU_DEP_2)
	v_fma_f64 v[50:51], v[6:7], v[46:47], -v[50:51]
	v_fma_f64 v[52:53], v[8:9], v[46:47], v[52:53]
	s_delay_alu instid0(VALU_DEP_2) | instskip(NEXT) | instid1(VALU_DEP_2)
	v_add_f64_e32 v[58:59], v[87:88], v[50:51]
	v_add_f64_e32 v[60:61], v[52:53], v[89:90]
	ds_load_b128 v[50:53], v64 offset:1280
	s_wait_dscnt 0x0
	v_mul_f64_e32 v[83:84], v[8:9], v[52:53]
	s_delay_alu instid0(VALU_DEP_1) | instskip(SKIP_1) | instid1(VALU_DEP_2)
	v_fma_f64 v[83:84], v[6:7], v[50:51], -v[83:84]
	v_mul_f64_e32 v[6:7], v[6:7], v[52:53]
	v_add_f64_e32 v[77:78], v[77:78], v[83:84]
	s_delay_alu instid0(VALU_DEP_2) | instskip(NEXT) | instid1(VALU_DEP_1)
	v_fma_f64 v[6:7], v[8:9], v[50:51], v[6:7]
	v_add_f64_e32 v[75:76], v[6:7], v[75:76]
	ds_load_b128 v[6:9], v65 offset:8224
	s_wait_dscnt 0x0
	v_mul_f64_e32 v[83:84], v[8:9], v[48:49]
	v_mul_f64_e32 v[48:49], v[6:7], v[48:49]
	s_delay_alu instid0(VALU_DEP_2) | instskip(NEXT) | instid1(VALU_DEP_2)
	v_fma_f64 v[83:84], v[6:7], v[46:47], -v[83:84]
	v_fma_f64 v[46:47], v[8:9], v[46:47], v[48:49]
	s_delay_alu instid0(VALU_DEP_2) | instskip(NEXT) | instid1(VALU_DEP_2)
	v_add_f64_e32 v[79:80], v[79:80], v[83:84]
	v_add_f64_e32 v[81:82], v[46:47], v[81:82]
	v_mul_f64_e32 v[46:47], v[8:9], v[52:53]
	s_delay_alu instid0(VALU_DEP_1) | instskip(SKIP_1) | instid1(VALU_DEP_1)
	v_fma_f64 v[46:47], v[6:7], v[50:51], -v[46:47]
	v_mul_f64_e32 v[6:7], v[6:7], v[52:53]
	v_fma_f64 v[6:7], v[8:9], v[50:51], v[6:7]
	s_delay_alu instid0(VALU_DEP_3) | instskip(NEXT) | instid1(VALU_DEP_2)
	v_add_f64_e32 v[50:51], v[54:55], v[46:47]
	v_add_f64_e32 v[52:53], v[6:7], v[56:57]
	ds_load_b128 v[6:9], v64 offset:1536
	s_wait_dscnt 0x0
	v_mul_f64_e32 v[46:47], v[4:5], v[8:9]
	v_mul_f64_e32 v[48:49], v[2:3], v[8:9]
	s_delay_alu instid0(VALU_DEP_2) | instskip(NEXT) | instid1(VALU_DEP_2)
	v_fma_f64 v[46:47], v[2:3], v[6:7], -v[46:47]
	v_fma_f64 v[48:49], v[4:5], v[6:7], v[48:49]
	s_delay_alu instid0(VALU_DEP_2) | instskip(NEXT) | instid1(VALU_DEP_2)
	v_add_f64_e32 v[54:55], v[58:59], v[46:47]
	v_add_f64_e32 v[56:57], v[48:49], v[60:61]
	ds_load_b128 v[46:49], v64 offset:1792
	s_wait_dscnt 0x0
	v_mul_f64_e32 v[58:59], v[4:5], v[48:49]
	s_delay_alu instid0(VALU_DEP_1) | instskip(SKIP_1) | instid1(VALU_DEP_2)
	v_fma_f64 v[58:59], v[2:3], v[46:47], -v[58:59]
	v_mul_f64_e32 v[2:3], v[2:3], v[48:49]
	v_add_f64_e32 v[58:59], v[77:78], v[58:59]
	s_delay_alu instid0(VALU_DEP_2) | instskip(NEXT) | instid1(VALU_DEP_1)
	v_fma_f64 v[2:3], v[4:5], v[46:47], v[2:3]
	v_add_f64_e32 v[60:61], v[2:3], v[75:76]
	ds_load_b128 v[2:5], v65 offset:8240
	s_wait_dscnt 0x0
	v_mul_f64_e32 v[75:76], v[4:5], v[8:9]
	v_mul_f64_e32 v[8:9], v[2:3], v[8:9]
	s_delay_alu instid0(VALU_DEP_2) | instskip(NEXT) | instid1(VALU_DEP_2)
	v_fma_f64 v[75:76], v[2:3], v[6:7], -v[75:76]
	v_fma_f64 v[6:7], v[4:5], v[6:7], v[8:9]
	s_delay_alu instid0(VALU_DEP_2) | instskip(NEXT) | instid1(VALU_DEP_2)
	v_add_f64_e32 v[75:76], v[79:80], v[75:76]
	v_add_f64_e32 v[77:78], v[6:7], v[81:82]
	v_mul_f64_e32 v[6:7], v[4:5], v[48:49]
	s_delay_alu instid0(VALU_DEP_1) | instskip(SKIP_1) | instid1(VALU_DEP_2)
	v_fma_f64 v[6:7], v[2:3], v[46:47], -v[6:7]
	v_mul_f64_e32 v[2:3], v[2:3], v[48:49]
	v_add_f64_e32 v[50:51], v[50:51], v[6:7]
	s_delay_alu instid0(VALU_DEP_2) | instskip(NEXT) | instid1(VALU_DEP_1)
	v_fma_f64 v[2:3], v[4:5], v[46:47], v[2:3]
	v_add_f64_e32 v[52:53], v[2:3], v[52:53]
	ds_load_b128 v[2:5], v65 offset:64
	ds_load_b128 v[6:9], v64 offset:2048
	s_wait_dscnt 0x0
	v_mul_f64_e32 v[46:47], v[4:5], v[8:9]
	v_mul_f64_e32 v[48:49], v[2:3], v[8:9]
	s_delay_alu instid0(VALU_DEP_2) | instskip(NEXT) | instid1(VALU_DEP_2)
	v_fma_f64 v[46:47], v[2:3], v[6:7], -v[46:47]
	v_fma_f64 v[48:49], v[4:5], v[6:7], v[48:49]
	s_delay_alu instid0(VALU_DEP_2) | instskip(NEXT) | instid1(VALU_DEP_2)
	v_add_f64_e32 v[54:55], v[54:55], v[46:47]
	v_add_f64_e32 v[56:57], v[48:49], v[56:57]
	ds_load_b128 v[46:49], v64 offset:2304
	s_wait_dscnt 0x0
	v_mul_f64_e32 v[79:80], v[4:5], v[48:49]
	s_delay_alu instid0(VALU_DEP_1) | instskip(SKIP_1) | instid1(VALU_DEP_2)
	v_fma_f64 v[79:80], v[2:3], v[46:47], -v[79:80]
	v_mul_f64_e32 v[2:3], v[2:3], v[48:49]
	v_add_f64_e32 v[58:59], v[58:59], v[79:80]
	s_delay_alu instid0(VALU_DEP_2) | instskip(NEXT) | instid1(VALU_DEP_1)
	v_fma_f64 v[2:3], v[4:5], v[46:47], v[2:3]
	v_add_f64_e32 v[60:61], v[2:3], v[60:61]
	ds_load_b128 v[2:5], v65 offset:8256
	s_wait_dscnt 0x0
	v_mul_f64_e32 v[79:80], v[4:5], v[8:9]
	v_mul_f64_e32 v[8:9], v[2:3], v[8:9]
	s_delay_alu instid0(VALU_DEP_2) | instskip(NEXT) | instid1(VALU_DEP_2)
	v_fma_f64 v[79:80], v[2:3], v[6:7], -v[79:80]
	v_fma_f64 v[6:7], v[4:5], v[6:7], v[8:9]
	s_delay_alu instid0(VALU_DEP_2) | instskip(NEXT) | instid1(VALU_DEP_2)
	v_add_f64_e32 v[75:76], v[75:76], v[79:80]
	v_add_f64_e32 v[77:78], v[6:7], v[77:78]
	v_mul_f64_e32 v[6:7], v[4:5], v[48:49]
	s_delay_alu instid0(VALU_DEP_1) | instskip(SKIP_1) | instid1(VALU_DEP_2)
	v_fma_f64 v[6:7], v[2:3], v[46:47], -v[6:7]
	v_mul_f64_e32 v[2:3], v[2:3], v[48:49]
	v_add_f64_e32 v[50:51], v[50:51], v[6:7]
	s_delay_alu instid0(VALU_DEP_2) | instskip(NEXT) | instid1(VALU_DEP_1)
	v_fma_f64 v[2:3], v[4:5], v[46:47], v[2:3]
	v_add_f64_e32 v[52:53], v[2:3], v[52:53]
	ds_load_b128 v[2:5], v65 offset:80
	;; [unrolled: 39-line block ×19, first 2 shown]
	ds_load_b128 v[6:9], v64 offset:11264
	s_wait_dscnt 0x0
	v_mul_f64_e32 v[46:47], v[4:5], v[8:9]
	v_mul_f64_e32 v[48:49], v[2:3], v[8:9]
	s_delay_alu instid0(VALU_DEP_2) | instskip(NEXT) | instid1(VALU_DEP_2)
	v_fma_f64 v[46:47], v[2:3], v[6:7], -v[46:47]
	v_fma_f64 v[48:49], v[4:5], v[6:7], v[48:49]
	s_delay_alu instid0(VALU_DEP_2) | instskip(NEXT) | instid1(VALU_DEP_2)
	v_add_f64_e32 v[54:55], v[54:55], v[46:47]
	v_add_f64_e32 v[56:57], v[48:49], v[56:57]
	ds_load_b128 v[46:49], v64 offset:11520
	s_wait_dscnt 0x0
	v_mul_f64_e32 v[79:80], v[4:5], v[48:49]
	s_delay_alu instid0(VALU_DEP_1) | instskip(SKIP_1) | instid1(VALU_DEP_2)
	v_fma_f64 v[79:80], v[2:3], v[46:47], -v[79:80]
	v_mul_f64_e32 v[2:3], v[2:3], v[48:49]
	v_add_f64_e32 v[58:59], v[58:59], v[79:80]
	s_delay_alu instid0(VALU_DEP_2) | instskip(NEXT) | instid1(VALU_DEP_1)
	v_fma_f64 v[2:3], v[4:5], v[46:47], v[2:3]
	v_add_f64_e32 v[60:61], v[2:3], v[60:61]
	ds_load_b128 v[2:5], v65 offset:8544
	s_wait_dscnt 0x0
	v_mul_f64_e32 v[79:80], v[4:5], v[8:9]
	v_mul_f64_e32 v[8:9], v[2:3], v[8:9]
	s_delay_alu instid0(VALU_DEP_2) | instskip(NEXT) | instid1(VALU_DEP_2)
	v_fma_f64 v[79:80], v[2:3], v[6:7], -v[79:80]
	v_fma_f64 v[8:9], v[4:5], v[6:7], v[8:9]
	s_delay_alu instid0(VALU_DEP_2) | instskip(SKIP_1) | instid1(VALU_DEP_3)
	v_add_f64_e32 v[6:7], v[75:76], v[79:80]
	v_mul_f64_e32 v[75:76], v[4:5], v[48:49]
	v_add_f64_e32 v[8:9], v[8:9], v[77:78]
	s_delay_alu instid0(VALU_DEP_2) | instskip(SKIP_1) | instid1(VALU_DEP_1)
	v_fma_f64 v[75:76], v[2:3], v[46:47], -v[75:76]
	v_mul_f64_e32 v[2:3], v[2:3], v[48:49]
	v_fma_f64 v[4:5], v[4:5], v[46:47], v[2:3]
	s_delay_alu instid0(VALU_DEP_3) | instskip(NEXT) | instid1(VALU_DEP_2)
	v_add_f64_e32 v[2:3], v[50:51], v[75:76]
	v_add_f64_e32 v[4:5], v[4:5], v[52:53]
	ds_load_b128 v[46:49], v65 offset:368
	ds_load_b128 v[50:53], v64 offset:11776
	s_wait_dscnt 0x0
	v_mul_f64_e32 v[75:76], v[48:49], v[52:53]
	v_mul_f64_e32 v[77:78], v[46:47], v[52:53]
	s_delay_alu instid0(VALU_DEP_2) | instskip(NEXT) | instid1(VALU_DEP_2)
	v_fma_f64 v[75:76], v[46:47], v[50:51], -v[75:76]
	v_fma_f64 v[77:78], v[48:49], v[50:51], v[77:78]
	s_delay_alu instid0(VALU_DEP_2) | instskip(NEXT) | instid1(VALU_DEP_2)
	v_add_f64_e32 v[75:76], v[54:55], v[75:76]
	v_add_f64_e32 v[77:78], v[77:78], v[56:57]
	ds_load_b128 v[54:57], v64 offset:12032
	s_wait_dscnt 0x0
	v_mul_f64_e32 v[79:80], v[48:49], v[56:57]
	s_delay_alu instid0(VALU_DEP_1) | instskip(SKIP_1) | instid1(VALU_DEP_1)
	v_fma_f64 v[79:80], v[46:47], v[54:55], -v[79:80]
	v_mul_f64_e32 v[46:47], v[46:47], v[56:57]
	v_fma_f64 v[48:49], v[48:49], v[54:55], v[46:47]
	s_delay_alu instid0(VALU_DEP_3) | instskip(NEXT) | instid1(VALU_DEP_2)
	v_add_f64_e32 v[46:47], v[58:59], v[79:80]
	v_add_f64_e32 v[48:49], v[48:49], v[60:61]
	ds_load_b128 v[58:61], v65 offset:8560
	s_wait_dscnt 0x0
	v_mul_f64_e32 v[79:80], v[60:61], v[52:53]
	v_mul_f64_e32 v[52:53], v[58:59], v[52:53]
	s_delay_alu instid0(VALU_DEP_2) | instskip(NEXT) | instid1(VALU_DEP_2)
	v_fma_f64 v[79:80], v[58:59], v[50:51], -v[79:80]
	v_fma_f64 v[50:51], v[60:61], v[50:51], v[52:53]
	s_delay_alu instid0(VALU_DEP_2) | instskip(NEXT) | instid1(VALU_DEP_2)
	v_add_f64_e32 v[79:80], v[6:7], v[79:80]
	v_add_f64_e32 v[81:82], v[50:51], v[8:9]
	v_mul_f64_e32 v[6:7], v[60:61], v[56:57]
	v_mul_f64_e32 v[8:9], v[58:59], v[56:57]
	s_delay_alu instid0(VALU_DEP_2) | instskip(NEXT) | instid1(VALU_DEP_2)
	v_fma_f64 v[6:7], v[58:59], v[54:55], -v[6:7]
	v_fma_f64 v[8:9], v[60:61], v[54:55], v[8:9]
	s_delay_alu instid0(VALU_DEP_2) | instskip(NEXT) | instid1(VALU_DEP_2)
	v_add_f64_e32 v[54:55], v[2:3], v[6:7]
	v_add_f64_e32 v[56:57], v[8:9], v[4:5]
	ds_load_b128 v[2:5], v65 offset:384
	ds_load_b128 v[6:9], v64 offset:12288
	s_wait_dscnt 0x0
	v_mul_f64_e32 v[50:51], v[4:5], v[8:9]
	v_mul_f64_e32 v[52:53], v[2:3], v[8:9]
	s_delay_alu instid0(VALU_DEP_2) | instskip(NEXT) | instid1(VALU_DEP_2)
	v_fma_f64 v[50:51], v[2:3], v[6:7], -v[50:51]
	v_fma_f64 v[52:53], v[4:5], v[6:7], v[52:53]
	s_delay_alu instid0(VALU_DEP_2) | instskip(NEXT) | instid1(VALU_DEP_2)
	v_add_f64_e32 v[58:59], v[75:76], v[50:51]
	v_add_f64_e32 v[60:61], v[52:53], v[77:78]
	ds_load_b128 v[50:53], v64 offset:12544
	s_wait_dscnt 0x0
	v_mul_f64_e32 v[75:76], v[4:5], v[52:53]
	s_delay_alu instid0(VALU_DEP_1) | instskip(SKIP_1) | instid1(VALU_DEP_2)
	v_fma_f64 v[75:76], v[2:3], v[50:51], -v[75:76]
	v_mul_f64_e32 v[2:3], v[2:3], v[52:53]
	v_add_f64_e32 v[75:76], v[46:47], v[75:76]
	s_delay_alu instid0(VALU_DEP_2) | instskip(NEXT) | instid1(VALU_DEP_1)
	v_fma_f64 v[2:3], v[4:5], v[50:51], v[2:3]
	v_add_f64_e32 v[77:78], v[2:3], v[48:49]
	ds_load_b128 v[2:5], v65 offset:8576
	s_wait_dscnt 0x0
	v_mul_f64_e32 v[46:47], v[4:5], v[8:9]
	v_mul_f64_e32 v[8:9], v[2:3], v[8:9]
	s_delay_alu instid0(VALU_DEP_2) | instskip(NEXT) | instid1(VALU_DEP_2)
	v_fma_f64 v[46:47], v[2:3], v[6:7], -v[46:47]
	v_fma_f64 v[6:7], v[4:5], v[6:7], v[8:9]
	s_delay_alu instid0(VALU_DEP_2) | instskip(NEXT) | instid1(VALU_DEP_2)
	v_add_f64_e32 v[79:80], v[79:80], v[46:47]
	v_add_f64_e32 v[81:82], v[6:7], v[81:82]
	v_mul_f64_e32 v[6:7], v[4:5], v[52:53]
	s_delay_alu instid0(VALU_DEP_1) | instskip(SKIP_1) | instid1(VALU_DEP_1)
	v_fma_f64 v[6:7], v[2:3], v[50:51], -v[6:7]
	v_mul_f64_e32 v[2:3], v[2:3], v[52:53]
	v_fma_f64 v[2:3], v[4:5], v[50:51], v[2:3]
	s_delay_alu instid0(VALU_DEP_3) | instskip(NEXT) | instid1(VALU_DEP_2)
	v_add_f64_e32 v[50:51], v[54:55], v[6:7]
	v_add_f64_e32 v[52:53], v[2:3], v[56:57]
	ds_load_b128 v[2:5], v65 offset:400
	ds_load_b128 v[6:9], v64 offset:12800
	s_wait_dscnt 0x0
	v_mul_f64_e32 v[46:47], v[4:5], v[8:9]
	v_mul_f64_e32 v[48:49], v[2:3], v[8:9]
	s_delay_alu instid0(VALU_DEP_2) | instskip(NEXT) | instid1(VALU_DEP_2)
	v_fma_f64 v[46:47], v[2:3], v[6:7], -v[46:47]
	v_fma_f64 v[48:49], v[4:5], v[6:7], v[48:49]
	s_delay_alu instid0(VALU_DEP_2) | instskip(NEXT) | instid1(VALU_DEP_2)
	v_add_f64_e32 v[54:55], v[58:59], v[46:47]
	v_add_f64_e32 v[56:57], v[48:49], v[60:61]
	ds_load_b128 v[46:49], v64 offset:13056
	s_wait_dscnt 0x0
	v_mul_f64_e32 v[58:59], v[4:5], v[48:49]
	s_delay_alu instid0(VALU_DEP_1) | instskip(SKIP_1) | instid1(VALU_DEP_2)
	v_fma_f64 v[58:59], v[2:3], v[46:47], -v[58:59]
	v_mul_f64_e32 v[2:3], v[2:3], v[48:49]
	v_add_f64_e32 v[58:59], v[75:76], v[58:59]
	s_delay_alu instid0(VALU_DEP_2) | instskip(NEXT) | instid1(VALU_DEP_1)
	v_fma_f64 v[2:3], v[4:5], v[46:47], v[2:3]
	v_add_f64_e32 v[60:61], v[2:3], v[77:78]
	ds_load_b128 v[2:5], v65 offset:8592
	s_wait_dscnt 0x0
	v_mul_f64_e32 v[75:76], v[4:5], v[8:9]
	v_mul_f64_e32 v[8:9], v[2:3], v[8:9]
	s_delay_alu instid0(VALU_DEP_2) | instskip(NEXT) | instid1(VALU_DEP_2)
	v_fma_f64 v[75:76], v[2:3], v[6:7], -v[75:76]
	v_fma_f64 v[6:7], v[4:5], v[6:7], v[8:9]
	s_delay_alu instid0(VALU_DEP_2) | instskip(NEXT) | instid1(VALU_DEP_2)
	v_add_f64_e32 v[75:76], v[79:80], v[75:76]
	v_add_f64_e32 v[77:78], v[6:7], v[81:82]
	v_mul_f64_e32 v[6:7], v[4:5], v[48:49]
	s_delay_alu instid0(VALU_DEP_1) | instskip(SKIP_1) | instid1(VALU_DEP_2)
	v_fma_f64 v[6:7], v[2:3], v[46:47], -v[6:7]
	v_mul_f64_e32 v[2:3], v[2:3], v[48:49]
	v_add_f64_e32 v[50:51], v[50:51], v[6:7]
	s_delay_alu instid0(VALU_DEP_2) | instskip(NEXT) | instid1(VALU_DEP_1)
	v_fma_f64 v[2:3], v[4:5], v[46:47], v[2:3]
	v_add_f64_e32 v[52:53], v[2:3], v[52:53]
	ds_load_b128 v[2:5], v65 offset:416
	ds_load_b128 v[6:9], v64 offset:13312
	s_wait_dscnt 0x0
	v_mul_f64_e32 v[46:47], v[4:5], v[8:9]
	v_mul_f64_e32 v[48:49], v[2:3], v[8:9]
	s_delay_alu instid0(VALU_DEP_2) | instskip(NEXT) | instid1(VALU_DEP_2)
	v_fma_f64 v[46:47], v[2:3], v[6:7], -v[46:47]
	v_fma_f64 v[48:49], v[4:5], v[6:7], v[48:49]
	s_delay_alu instid0(VALU_DEP_2) | instskip(NEXT) | instid1(VALU_DEP_2)
	v_add_f64_e32 v[54:55], v[54:55], v[46:47]
	v_add_f64_e32 v[56:57], v[48:49], v[56:57]
	ds_load_b128 v[46:49], v64 offset:13568
	s_wait_dscnt 0x0
	v_mul_f64_e32 v[79:80], v[4:5], v[48:49]
	s_delay_alu instid0(VALU_DEP_1) | instskip(SKIP_1) | instid1(VALU_DEP_2)
	v_fma_f64 v[79:80], v[2:3], v[46:47], -v[79:80]
	v_mul_f64_e32 v[2:3], v[2:3], v[48:49]
	v_add_f64_e32 v[58:59], v[58:59], v[79:80]
	s_delay_alu instid0(VALU_DEP_2) | instskip(NEXT) | instid1(VALU_DEP_1)
	v_fma_f64 v[2:3], v[4:5], v[46:47], v[2:3]
	v_add_f64_e32 v[60:61], v[2:3], v[60:61]
	ds_load_b128 v[2:5], v65 offset:8608
	s_wait_dscnt 0x0
	v_mul_f64_e32 v[79:80], v[4:5], v[8:9]
	v_mul_f64_e32 v[8:9], v[2:3], v[8:9]
	s_delay_alu instid0(VALU_DEP_2) | instskip(NEXT) | instid1(VALU_DEP_2)
	v_fma_f64 v[79:80], v[2:3], v[6:7], -v[79:80]
	v_fma_f64 v[6:7], v[4:5], v[6:7], v[8:9]
	s_delay_alu instid0(VALU_DEP_2) | instskip(NEXT) | instid1(VALU_DEP_2)
	v_add_f64_e32 v[75:76], v[75:76], v[79:80]
	v_add_f64_e32 v[77:78], v[6:7], v[77:78]
	v_mul_f64_e32 v[6:7], v[4:5], v[48:49]
	s_delay_alu instid0(VALU_DEP_1) | instskip(SKIP_1) | instid1(VALU_DEP_2)
	v_fma_f64 v[6:7], v[2:3], v[46:47], -v[6:7]
	v_mul_f64_e32 v[2:3], v[2:3], v[48:49]
	v_add_f64_e32 v[50:51], v[50:51], v[6:7]
	s_delay_alu instid0(VALU_DEP_2) | instskip(NEXT) | instid1(VALU_DEP_1)
	v_fma_f64 v[2:3], v[4:5], v[46:47], v[2:3]
	;; [unrolled: 39-line block ×5, first 2 shown]
	v_add_f64_e32 v[52:53], v[2:3], v[52:53]
	ds_load_b128 v[2:5], v65 offset:480
	ds_load_b128 v[6:9], v64 offset:15360
	s_wait_dscnt 0x0
	v_mul_f64_e32 v[46:47], v[4:5], v[8:9]
	v_mul_f64_e32 v[48:49], v[2:3], v[8:9]
	s_delay_alu instid0(VALU_DEP_2) | instskip(NEXT) | instid1(VALU_DEP_2)
	v_fma_f64 v[46:47], v[2:3], v[6:7], -v[46:47]
	v_fma_f64 v[48:49], v[4:5], v[6:7], v[48:49]
	s_delay_alu instid0(VALU_DEP_2) | instskip(NEXT) | instid1(VALU_DEP_2)
	v_add_f64_e32 v[79:80], v[54:55], v[46:47]
	v_add_f64_e32 v[81:82], v[48:49], v[56:57]
	ds_load_b128 v[46:49], v64 offset:15616
	s_wait_dscnt 0x0
	v_mul_f64_e32 v[54:55], v[4:5], v[48:49]
	s_delay_alu instid0(VALU_DEP_1) | instskip(SKIP_1) | instid1(VALU_DEP_2)
	v_fma_f64 v[54:55], v[2:3], v[46:47], -v[54:55]
	v_mul_f64_e32 v[2:3], v[2:3], v[48:49]
	v_add_f64_e32 v[83:84], v[58:59], v[54:55]
	s_delay_alu instid0(VALU_DEP_2) | instskip(NEXT) | instid1(VALU_DEP_1)
	v_fma_f64 v[2:3], v[4:5], v[46:47], v[2:3]
	v_add_f64_e32 v[85:86], v[2:3], v[60:61]
	ds_load_b128 v[2:5], v65 offset:8672
	s_wait_dscnt 0x0
	v_mul_f64_e32 v[54:55], v[4:5], v[8:9]
	v_mul_f64_e32 v[8:9], v[2:3], v[8:9]
	s_delay_alu instid0(VALU_DEP_2) | instskip(NEXT) | instid1(VALU_DEP_2)
	v_fma_f64 v[54:55], v[2:3], v[6:7], -v[54:55]
	v_fma_f64 v[6:7], v[4:5], v[6:7], v[8:9]
	s_delay_alu instid0(VALU_DEP_2) | instskip(NEXT) | instid1(VALU_DEP_2)
	v_add_f64_e32 v[87:88], v[75:76], v[54:55]
	v_add_f64_e32 v[89:90], v[6:7], v[77:78]
	v_mul_f64_e32 v[6:7], v[4:5], v[48:49]
	s_delay_alu instid0(VALU_DEP_1) | instskip(SKIP_1) | instid1(VALU_DEP_1)
	v_fma_f64 v[6:7], v[2:3], v[46:47], -v[6:7]
	v_mul_f64_e32 v[2:3], v[2:3], v[48:49]
	v_fma_f64 v[4:5], v[4:5], v[46:47], v[2:3]
	s_delay_alu instid0(VALU_DEP_3)
	v_add_f64_e32 v[2:3], v[50:51], v[6:7]
	ds_load_b128 v[6:9], v65 offset:496
	ds_load_b128 v[54:57], v64 offset:15872
	;; [unrolled: 1-line block ×4, first 2 shown]
	s_wait_loadcnt_dscnt 0x0
	s_barrier_signal -1
	s_barrier_wait -1
	global_inv scope:SCOPE_SE
	v_mul_f64_e32 v[46:47], v[8:9], v[56:57]
	v_mul_f64_e32 v[48:49], v[6:7], v[56:57]
	v_add_f64_e32 v[4:5], v[4:5], v[52:53]
	s_delay_alu instid0(VALU_DEP_3) | instskip(NEXT) | instid1(VALU_DEP_3)
	v_fma_f64 v[46:47], v[6:7], v[54:55], -v[46:47]
	v_fma_f64 v[48:49], v[8:9], v[54:55], v[48:49]
	s_delay_alu instid0(VALU_DEP_2) | instskip(SKIP_1) | instid1(VALU_DEP_3)
	v_add_f64_e32 v[50:51], v[79:80], v[46:47]
	v_mul_f64_e32 v[46:47], v[8:9], v[60:61]
	v_add_f64_e32 v[52:53], v[48:49], v[81:82]
	s_delay_alu instid0(VALU_DEP_2) | instskip(SKIP_1) | instid1(VALU_DEP_2)
	v_fma_f64 v[46:47], v[6:7], v[58:59], -v[46:47]
	v_mul_f64_e32 v[6:7], v[6:7], v[60:61]
	v_add_f64_e32 v[46:47], v[83:84], v[46:47]
	s_delay_alu instid0(VALU_DEP_2) | instskip(SKIP_1) | instid1(VALU_DEP_2)
	v_fma_f64 v[6:7], v[8:9], v[58:59], v[6:7]
	v_mul_f64_e32 v[8:9], v[75:76], v[56:57]
	v_add_f64_e32 v[48:49], v[6:7], v[85:86]
	v_mul_f64_e32 v[6:7], v[77:78], v[56:57]
	s_delay_alu instid0(VALU_DEP_3) | instskip(NEXT) | instid1(VALU_DEP_2)
	v_fma_f64 v[8:9], v[77:78], v[54:55], v[8:9]
	v_fma_f64 v[6:7], v[75:76], v[54:55], -v[6:7]
	s_delay_alu instid0(VALU_DEP_2) | instskip(SKIP_1) | instid1(VALU_DEP_3)
	v_add_f64_e32 v[56:57], v[8:9], v[89:90]
	v_mul_f64_e32 v[8:9], v[75:76], v[60:61]
	v_add_f64_e32 v[54:55], v[87:88], v[6:7]
	v_mul_f64_e32 v[6:7], v[77:78], v[60:61]
	s_delay_alu instid0(VALU_DEP_3) | instskip(NEXT) | instid1(VALU_DEP_2)
	v_fma_f64 v[8:9], v[77:78], v[58:59], v[8:9]
	v_fma_f64 v[6:7], v[75:76], v[58:59], -v[6:7]
	s_delay_alu instid0(VALU_DEP_2) | instskip(NEXT) | instid1(VALU_DEP_2)
	v_add_f64_e32 v[58:59], v[8:9], v[4:5]
	v_add_f64_e32 v[60:61], v[2:3], v[6:7]
	s_cbranch_scc1 .LBB109_58
.LBB109_10:                             ;   Parent Loop BB109_4 Depth=1
                                        ;     Parent Loop BB109_7 Depth=2
                                        ; =>    This Inner Loop Header: Depth=3
	s_wait_alu 0xfffe
	v_add_co_u32 v4, s5, v62, s36
	s_wait_alu 0xf1ff
	v_add_co_ci_u32_e64 v5, null, 0, s37, s5
	v_cmp_eq_u64_e64 s7, s[36:37], v[14:15]
	s_delay_alu instid0(VALU_DEP_2)
	v_cmp_le_i64_e64 s6, s[42:43], v[4:5]
	v_cmp_gt_i64_e64 s5, v[4:5], v[10:11]
	s_and_b32 s56, s51, s7
	v_add_co_u32 v6, s7, v42, v22
	s_wait_alu 0xf1ff
	v_add_co_ci_u32_e64 v7, null, v43, v23, s7
	s_or_b32 s8, s6, s5
	s_wait_alu 0xfffe
	s_or_b32 s7, s8, s56
	s_wait_alu 0xfffe
	s_nor_b32 s7, s0, s7
	s_wait_alu 0xfffe
	s_and_saveexec_b32 s8, s7
	s_wait_alu 0xfffe
	s_xor_b32 s7, exec_lo, s8
	s_cbranch_execz .LBB109_12
; %bb.11:                               ;   in Loop: Header=BB109_10 Depth=3
	global_load_b128 v[75:78], v[6:7], off offset:-256
	s_wait_loadcnt 0x0
	ds_store_2addr_b64 v66, v[75:76], v[77:78] offset1:1
.LBB109_12:                             ;   in Loop: Header=BB109_10 Depth=3
	s_wait_alu 0xfffe
	s_or_saveexec_b32 s7, s7
	s_xor_b32 s55, s56, -1
	s_wait_alu 0xfffe
	s_xor_b32 exec_lo, exec_lo, s7
	s_cbranch_execz .LBB109_18
; %bb.13:                               ;   in Loop: Header=BB109_10 Depth=3
	s_and_saveexec_b32 s8, s55
	s_wait_alu 0xfffe
	s_xor_b32 s8, exec_lo, s8
; %bb.14:                               ;   in Loop: Header=BB109_10 Depth=3
	v_dual_mov_b32 v75, v0 :: v_dual_mov_b32 v76, v0
	v_dual_mov_b32 v77, v0 :: v_dual_mov_b32 v78, v0
	ds_store_b128 v66, v[75:78]
; %bb.15:                               ;   in Loop: Header=BB109_10 Depth=3
	s_wait_alu 0xfffe
	s_and_not1_saveexec_b32 s8, s8
; %bb.16:                               ;   in Loop: Header=BB109_10 Depth=3
	v_dual_mov_b32 v2, v0 :: v_dual_mov_b32 v3, v0
	ds_store_b128 v66, v[0:3]
; %bb.17:                               ;   in Loop: Header=BB109_10 Depth=3
	s_wait_alu 0xfffe
	s_or_b32 exec_lo, exec_lo, s8
.LBB109_18:                             ;   in Loop: Header=BB109_10 Depth=3
	s_delay_alu instid0(SALU_CYCLE_1)
	s_or_b32 exec_lo, exec_lo, s7
	v_cmp_eq_u64_e64 s7, s[36:37], v[16:17]
	v_cmp_lt_i64_e64 s8, v[12:13], v[4:5]
	s_and_b32 s7, s51, s7
	s_or_b32 s6, s6, s8
	s_wait_alu 0xfffe
	s_or_b32 s6, s6, s7
	s_wait_alu 0xfffe
	s_nor_b32 s6, s3, s6
	s_wait_alu 0xfffe
	s_and_saveexec_b32 s8, s6
	s_wait_alu 0xfffe
	s_xor_b32 s6, exec_lo, s8
	s_cbranch_execz .LBB109_20
; %bb.19:                               ;   in Loop: Header=BB109_10 Depth=3
	global_load_b128 v[6:9], v[6:7], off
	v_add_nc_u32_e32 v2, 0x100, v66
	s_wait_loadcnt 0x0
	ds_store_2addr_b64 v2, v[6:7], v[8:9] offset1:1
.LBB109_20:                             ;   in Loop: Header=BB109_10 Depth=3
	s_wait_alu 0xfffe
	s_and_not1_saveexec_b32 s6, s6
	s_cbranch_execz .LBB109_26
; %bb.21:                               ;   in Loop: Header=BB109_10 Depth=3
	s_xor_b32 s7, s7, -1
	s_wait_alu 0xfffe
	s_and_saveexec_b32 s8, s7
	s_wait_alu 0xfffe
	s_xor_b32 s7, exec_lo, s8
; %bb.22:                               ;   in Loop: Header=BB109_10 Depth=3
	v_dual_mov_b32 v6, v0 :: v_dual_mov_b32 v7, v0
	v_dual_mov_b32 v8, v0 :: v_dual_mov_b32 v9, v0
	ds_store_b128 v66, v[6:9] offset:256
; %bb.23:                               ;   in Loop: Header=BB109_10 Depth=3
	s_wait_alu 0xfffe
	s_and_not1_saveexec_b32 s7, s7
; %bb.24:                               ;   in Loop: Header=BB109_10 Depth=3
	v_dual_mov_b32 v2, v0 :: v_dual_mov_b32 v3, v0
	ds_store_b128 v66, v[0:3] offset:256
; %bb.25:                               ;   in Loop: Header=BB109_10 Depth=3
	s_wait_alu 0xfffe
	s_or_b32 exec_lo, exec_lo, s7
.LBB109_26:                             ;   in Loop: Header=BB109_10 Depth=3
	s_wait_alu 0xfffe
	s_or_b32 exec_lo, exec_lo, s6
	v_add_co_u32 v2, s6, v4, 16
	s_wait_alu 0xf1ff
	v_add_co_ci_u32_e64 v3, null, 0, v5, s6
	v_cmp_eq_u64_e64 s7, s[36:37], v[18:19]
	s_delay_alu instid0(VALU_DEP_2)
	v_cmp_le_i64_e64 s6, s[42:43], v[2:3]
	v_cmp_gt_i64_e64 s8, v[2:3], v[10:11]
	s_and_b32 s57, s51, s7
	v_add_co_u32 v4, s7, v44, v22
	s_wait_alu 0xf1ff
	v_add_co_ci_u32_e64 v5, null, v45, v23, s7
	s_or_b32 s8, s6, s8
	s_wait_alu 0xfffe
	s_or_b32 s7, s8, s57
	s_wait_alu 0xfffe
	s_nor_b32 s7, s0, s7
	s_wait_alu 0xfffe
	s_and_saveexec_b32 s8, s7
	s_wait_alu 0xfffe
	s_xor_b32 s7, exec_lo, s8
	s_cbranch_execz .LBB109_28
; %bb.27:                               ;   in Loop: Header=BB109_10 Depth=3
	global_load_b128 v[6:9], v[4:5], off offset:-256
	v_add_nc_u32_e32 v2, 0x2000, v66
	s_wait_loadcnt 0x0
	ds_store_2addr_b64 v2, v[6:7], v[8:9] offset1:1
.LBB109_28:                             ;   in Loop: Header=BB109_10 Depth=3
	s_wait_alu 0xfffe
	s_and_not1_saveexec_b32 s7, s7
	s_cbranch_execz .LBB109_34
; %bb.29:                               ;   in Loop: Header=BB109_10 Depth=3
	s_xor_b32 s8, s57, -1
	s_wait_alu 0xfffe
	s_and_saveexec_b32 s57, s8
	s_delay_alu instid0(SALU_CYCLE_1)
	s_xor_b32 s8, exec_lo, s57
; %bb.30:                               ;   in Loop: Header=BB109_10 Depth=3
	v_dual_mov_b32 v6, v0 :: v_dual_mov_b32 v7, v0
	v_dual_mov_b32 v8, v0 :: v_dual_mov_b32 v9, v0
	ds_store_b128 v66, v[6:9] offset:8192
; %bb.31:                               ;   in Loop: Header=BB109_10 Depth=3
	s_wait_alu 0xfffe
	s_and_not1_saveexec_b32 s8, s8
; %bb.32:                               ;   in Loop: Header=BB109_10 Depth=3
	v_dual_mov_b32 v2, v0 :: v_dual_mov_b32 v3, v0
	ds_store_b128 v66, v[0:3] offset:8192
; %bb.33:                               ;   in Loop: Header=BB109_10 Depth=3
	s_wait_alu 0xfffe
	s_or_b32 exec_lo, exec_lo, s8
.LBB109_34:                             ;   in Loop: Header=BB109_10 Depth=3
	s_wait_alu 0xfffe
	s_or_b32 exec_lo, exec_lo, s7
	s_or_b32 s5, s6, s5
	s_wait_alu 0xfffe
	s_or_b32 s5, s5, s56
	s_wait_alu 0xfffe
	s_nor_b32 s5, s3, s5
	s_wait_alu 0xfffe
	s_and_saveexec_b32 s6, s5
	s_wait_alu 0xfffe
	s_xor_b32 s5, exec_lo, s6
	s_cbranch_execz .LBB109_36
; %bb.35:                               ;   in Loop: Header=BB109_10 Depth=3
	global_load_b128 v[2:5], v[4:5], off
	s_wait_loadcnt 0x0
	ds_store_2addr_b64 v68, v[2:3], v[4:5] offset1:1
.LBB109_36:                             ;   in Loop: Header=BB109_10 Depth=3
	s_wait_alu 0xfffe
	s_and_not1_saveexec_b32 s5, s5
	s_cbranch_execz .LBB109_42
; %bb.37:                               ;   in Loop: Header=BB109_10 Depth=3
	s_and_saveexec_b32 s6, s55
	s_wait_alu 0xfffe
	s_xor_b32 s6, exec_lo, s6
; %bb.38:                               ;   in Loop: Header=BB109_10 Depth=3
	v_dual_mov_b32 v2, v0 :: v_dual_mov_b32 v3, v0
	v_dual_mov_b32 v4, v0 :: v_dual_mov_b32 v5, v0
	ds_store_b128 v66, v[2:5] offset:8448
; %bb.39:                               ;   in Loop: Header=BB109_10 Depth=3
	s_wait_alu 0xfffe
	s_and_not1_saveexec_b32 s6, s6
; %bb.40:                               ;   in Loop: Header=BB109_10 Depth=3
	v_dual_mov_b32 v2, v0 :: v_dual_mov_b32 v3, v0
	ds_store_b128 v66, v[0:3] offset:8448
; %bb.41:                               ;   in Loop: Header=BB109_10 Depth=3
	s_wait_alu 0xfffe
	s_or_b32 exec_lo, exec_lo, s6
.LBB109_42:                             ;   in Loop: Header=BB109_10 Depth=3
	s_wait_alu 0xfffe
	s_or_b32 exec_lo, exec_lo, s5
	v_add_co_u32 v2, s5, v63, s36
	s_wait_alu 0xf1ff
	v_add_co_ci_u32_e64 v3, null, 0, s37, s5
	s_delay_alu instid0(VALU_DEP_1)
	v_cmp_gt_i64_e64 s5, s[42:43], v[2:3]
	s_and_b32 s6, vcc_lo, s5
	s_wait_alu 0xfffe
	s_xor_b32 s6, s6, -1
	s_wait_alu 0xfffe
	s_and_saveexec_b32 s7, s6
	s_wait_alu 0xfffe
	s_xor_b32 s6, exec_lo, s7
; %bb.43:                               ;   in Loop: Header=BB109_10 Depth=3
	v_dual_mov_b32 v4, v0 :: v_dual_mov_b32 v5, v0
	v_dual_mov_b32 v6, v0 :: v_dual_mov_b32 v7, v0
	ds_store_b128 v67, v[4:7]
; %bb.44:                               ;   in Loop: Header=BB109_10 Depth=3
	s_wait_alu 0xfffe
	s_and_not1_saveexec_b32 s6, s6
	s_cbranch_execz .LBB109_46
; %bb.45:                               ;   in Loop: Header=BB109_10 Depth=3
	global_load_b128 v[4:7], v[38:39], off offset:-256
	s_wait_loadcnt 0x0
	ds_store_2addr_b64 v67, v[4:5], v[6:7] offset1:1
.LBB109_46:                             ;   in Loop: Header=BB109_10 Depth=3
	s_wait_alu 0xfffe
	s_or_b32 exec_lo, exec_lo, s6
	v_cmp_gt_i64_e64 s6, s[22:23], v[2:3]
	s_and_b32 s7, vcc_lo, s6
	s_wait_alu 0xfffe
	s_xor_b32 s7, s7, -1
	s_wait_alu 0xfffe
	s_and_saveexec_b32 s8, s7
	s_wait_alu 0xfffe
	s_xor_b32 s7, exec_lo, s8
; %bb.47:                               ;   in Loop: Header=BB109_10 Depth=3
	v_dual_mov_b32 v2, v0 :: v_dual_mov_b32 v3, v0
	v_dual_mov_b32 v4, v0 :: v_dual_mov_b32 v5, v0
	ds_store_b128 v67, v[2:5] offset:256
; %bb.48:                               ;   in Loop: Header=BB109_10 Depth=3
	s_wait_alu 0xfffe
	s_and_not1_saveexec_b32 s7, s7
	s_cbranch_execz .LBB109_50
; %bb.49:                               ;   in Loop: Header=BB109_10 Depth=3
	global_load_b128 v[2:5], v[38:39], off
	s_wait_loadcnt 0x0
	ds_store_2addr_b64 v69, v[2:3], v[4:5] offset1:1
.LBB109_50:                             ;   in Loop: Header=BB109_10 Depth=3
	s_wait_alu 0xfffe
	s_or_b32 exec_lo, exec_lo, s7
	s_and_b32 s5, s4, s5
	s_wait_alu 0xfffe
	s_xor_b32 s5, s5, -1
	s_wait_alu 0xfffe
	s_and_saveexec_b32 s7, s5
	s_wait_alu 0xfffe
	s_xor_b32 s5, exec_lo, s7
; %bb.51:                               ;   in Loop: Header=BB109_10 Depth=3
	v_dual_mov_b32 v2, v0 :: v_dual_mov_b32 v3, v0
	v_dual_mov_b32 v4, v0 :: v_dual_mov_b32 v5, v0
	ds_store_b128 v67, v[2:5] offset:8192
; %bb.52:                               ;   in Loop: Header=BB109_10 Depth=3
	s_wait_alu 0xfffe
	s_and_not1_saveexec_b32 s5, s5
	s_cbranch_execz .LBB109_54
; %bb.53:                               ;   in Loop: Header=BB109_10 Depth=3
	global_load_b128 v[2:5], v[40:41], off offset:-256
	s_wait_loadcnt 0x0
	ds_store_2addr_b64 v70, v[2:3], v[4:5] offset1:1
.LBB109_54:                             ;   in Loop: Header=BB109_10 Depth=3
	s_wait_alu 0xfffe
	s_or_b32 exec_lo, exec_lo, s5
	s_and_b32 s5, s4, s6
	s_wait_alu 0xfffe
	s_xor_b32 s5, s5, -1
	s_wait_alu 0xfffe
	s_and_saveexec_b32 s6, s5
	s_wait_alu 0xfffe
	s_xor_b32 s5, exec_lo, s6
; %bb.55:                               ;   in Loop: Header=BB109_10 Depth=3
	v_dual_mov_b32 v2, v0 :: v_dual_mov_b32 v3, v0
	v_dual_mov_b32 v4, v0 :: v_dual_mov_b32 v5, v0
	ds_store_b128 v67, v[2:5] offset:8448
; %bb.56:                               ;   in Loop: Header=BB109_10 Depth=3
	s_wait_alu 0xfffe
	s_and_not1_saveexec_b32 s5, s5
	s_cbranch_execz .LBB109_9
; %bb.57:                               ;   in Loop: Header=BB109_10 Depth=3
	global_load_b128 v[2:5], v[40:41], off
	s_wait_loadcnt 0x0
	ds_store_2addr_b64 v71, v[2:3], v[4:5] offset1:1
	s_branch .LBB109_9
.LBB109_58:                             ;   in Loop: Header=BB109_7 Depth=2
	v_mul_lo_u32 v4, s25, v73
	v_mul_lo_u32 v5, s24, v74
	v_mad_co_u64_u32 v[2:3], null, s24, v73, 0
	v_cmp_gt_i32_e32 vcc_lo, s38, v73
	s_delay_alu instid0(VALU_DEP_2) | instskip(NEXT) | instid1(VALU_DEP_1)
	v_add3_u32 v3, v3, v5, v4
	v_lshlrev_b64_e32 v[2:3], 4, v[2:3]
	s_delay_alu instid0(VALU_DEP_1) | instskip(SKIP_1) | instid1(VALU_DEP_2)
	v_add_co_u32 v2, s4, s18, v2
	s_wait_alu 0xf1ff
	v_add_co_ci_u32_e64 v3, null, s19, v3, s4
	s_and_b32 s4, s1, vcc_lo
	s_wait_alu 0xfffe
	s_and_saveexec_b32 s5, s4
	s_cbranch_execz .LBB109_60
; %bb.59:                               ;   in Loop: Header=BB109_7 Depth=2
	v_add_co_u32 v8, s4, v2, v22
	s_wait_alu 0xf1ff
	v_add_co_ci_u32_e64 v9, null, v3, v23, s4
	v_mul_f64_e32 v[37:38], s[30:31], v[52:53]
	v_mul_f64_e32 v[39:40], s[28:29], v[52:53]
	global_load_b128 v[4:7], v[8:9], off
	v_fma_f64 v[37:38], s[28:29], v[50:51], -v[37:38]
	v_fma_f64 v[39:40], s[30:31], v[50:51], v[39:40]
	s_wait_loadcnt 0x0
	s_delay_alu instid0(VALU_DEP_2) | instskip(NEXT) | instid1(VALU_DEP_2)
	v_add_f64_e32 v[4:5], v[4:5], v[37:38]
	v_add_f64_e32 v[6:7], v[39:40], v[6:7]
	global_store_b128 v[8:9], v[4:7], off
.LBB109_60:                             ;   in Loop: Header=BB109_7 Depth=2
	s_wait_alu 0xfffe
	s_or_b32 exec_lo, exec_lo, s5
	s_and_b32 s5, s2, vcc_lo
	s_wait_alu 0xfffe
	s_and_saveexec_b32 s4, s5
	s_cbranch_execz .LBB109_62
; %bb.61:                               ;   in Loop: Header=BB109_7 Depth=2
	v_add_co_u32 v6, vcc_lo, v2, v28
	s_wait_alu 0xfffd
	v_add_co_ci_u32_e64 v7, null, v3, v29, vcc_lo
	v_mul_f64_e32 v[8:9], s[30:31], v[48:49]
	v_mul_f64_e32 v[37:38], s[28:29], v[48:49]
	global_load_b128 v[2:5], v[6:7], off
	v_fma_f64 v[8:9], s[28:29], v[46:47], -v[8:9]
	v_fma_f64 v[37:38], s[30:31], v[46:47], v[37:38]
	s_wait_loadcnt 0x0
	s_delay_alu instid0(VALU_DEP_2) | instskip(NEXT) | instid1(VALU_DEP_2)
	v_add_f64_e32 v[2:3], v[2:3], v[8:9]
	v_add_f64_e32 v[4:5], v[37:38], v[4:5]
	global_store_b128 v[6:7], v[2:5], off
.LBB109_62:                             ;   in Loop: Header=BB109_7 Depth=2
	s_wait_alu 0xfffe
	s_or_b32 exec_lo, exec_lo, s4
	v_add_nc_u32_e32 v4, 16, v73
	s_delay_alu instid0(VALU_DEP_1) | instskip(SKIP_3) | instid1(VALU_DEP_4)
	v_ashrrev_i32_e32 v5, 31, v4
	v_mul_lo_u32 v6, s25, v4
	v_mad_co_u64_u32 v[2:3], null, s24, v4, 0
	v_cmp_gt_i32_e32 vcc_lo, s38, v4
	v_mul_lo_u32 v5, s24, v5
	s_delay_alu instid0(VALU_DEP_1) | instskip(NEXT) | instid1(VALU_DEP_1)
	v_add3_u32 v3, v3, v5, v6
	v_lshlrev_b64_e32 v[2:3], 4, v[2:3]
	s_delay_alu instid0(VALU_DEP_1) | instskip(SKIP_1) | instid1(VALU_DEP_2)
	v_add_co_u32 v2, s4, s18, v2
	s_wait_alu 0xf1ff
	v_add_co_ci_u32_e64 v3, null, s19, v3, s4
	s_and_b32 s4, s1, vcc_lo
	s_wait_alu 0xfffe
	s_and_saveexec_b32 s5, s4
	s_cbranch_execz .LBB109_64
; %bb.63:                               ;   in Loop: Header=BB109_7 Depth=2
	v_add_co_u32 v8, s4, v2, v22
	s_wait_alu 0xf1ff
	v_add_co_ci_u32_e64 v9, null, v3, v23, s4
	v_mul_f64_e32 v[37:38], s[30:31], v[56:57]
	v_mul_f64_e32 v[39:40], s[28:29], v[56:57]
	global_load_b128 v[4:7], v[8:9], off
	v_fma_f64 v[37:38], s[28:29], v[54:55], -v[37:38]
	v_fma_f64 v[39:40], s[30:31], v[54:55], v[39:40]
	s_wait_loadcnt 0x0
	s_delay_alu instid0(VALU_DEP_2) | instskip(NEXT) | instid1(VALU_DEP_2)
	v_add_f64_e32 v[4:5], v[4:5], v[37:38]
	v_add_f64_e32 v[6:7], v[39:40], v[6:7]
	global_store_b128 v[8:9], v[4:7], off
.LBB109_64:                             ;   in Loop: Header=BB109_7 Depth=2
	s_wait_alu 0xfffe
	s_or_b32 exec_lo, exec_lo, s5
	s_and_b32 s5, s2, vcc_lo
	s_wait_alu 0xfffe
	s_and_saveexec_b32 s4, s5
	s_cbranch_execz .LBB109_6
; %bb.65:                               ;   in Loop: Header=BB109_7 Depth=2
	v_add_co_u32 v6, vcc_lo, v2, v28
	s_wait_alu 0xfffd
	v_add_co_ci_u32_e64 v7, null, v3, v29, vcc_lo
	v_mul_f64_e32 v[8:9], s[30:31], v[58:59]
	v_mul_f64_e32 v[37:38], s[28:29], v[58:59]
	global_load_b128 v[2:5], v[6:7], off
	v_fma_f64 v[8:9], s[28:29], v[60:61], -v[8:9]
	v_fma_f64 v[37:38], s[30:31], v[60:61], v[37:38]
	s_wait_loadcnt 0x0
	s_delay_alu instid0(VALU_DEP_2) | instskip(NEXT) | instid1(VALU_DEP_2)
	v_add_f64_e32 v[2:3], v[2:3], v[8:9]
	v_add_f64_e32 v[4:5], v[37:38], v[4:5]
	global_store_b128 v[6:7], v[2:5], off
	s_branch .LBB109_6
.LBB109_66:
	s_endpgm
	.section	.rodata,"a",@progbits
	.p2align	6, 0x0
	.amdhsa_kernel _ZL30rocblas_trmm_outofplace_kernelI19rocblas_complex_numIdELi32ELi2ELb1ELb0ELb0ELb0ES1_KS1_S1_Ev17rocblas_diagonal_iiT6_lPT7_lllS6_lllPT8_llli
		.amdhsa_group_segment_fixed_size 32768
		.amdhsa_private_segment_fixed_size 0
		.amdhsa_kernarg_size 400
		.amdhsa_user_sgpr_count 2
		.amdhsa_user_sgpr_dispatch_ptr 0
		.amdhsa_user_sgpr_queue_ptr 0
		.amdhsa_user_sgpr_kernarg_segment_ptr 1
		.amdhsa_user_sgpr_dispatch_id 0
		.amdhsa_user_sgpr_private_segment_size 0
		.amdhsa_wavefront_size32 1
		.amdhsa_uses_dynamic_stack 0
		.amdhsa_enable_private_segment 0
		.amdhsa_system_sgpr_workgroup_id_x 1
		.amdhsa_system_sgpr_workgroup_id_y 1
		.amdhsa_system_sgpr_workgroup_id_z 1
		.amdhsa_system_sgpr_workgroup_info 0
		.amdhsa_system_vgpr_workitem_id 1
		.amdhsa_next_free_vgpr 93
		.amdhsa_next_free_sgpr 58
		.amdhsa_reserve_vcc 1
		.amdhsa_float_round_mode_32 0
		.amdhsa_float_round_mode_16_64 0
		.amdhsa_float_denorm_mode_32 3
		.amdhsa_float_denorm_mode_16_64 3
		.amdhsa_fp16_overflow 0
		.amdhsa_workgroup_processor_mode 1
		.amdhsa_memory_ordered 1
		.amdhsa_forward_progress 1
		.amdhsa_inst_pref_size 76
		.amdhsa_round_robin_scheduling 0
		.amdhsa_exception_fp_ieee_invalid_op 0
		.amdhsa_exception_fp_denorm_src 0
		.amdhsa_exception_fp_ieee_div_zero 0
		.amdhsa_exception_fp_ieee_overflow 0
		.amdhsa_exception_fp_ieee_underflow 0
		.amdhsa_exception_fp_ieee_inexact 0
		.amdhsa_exception_int_div_zero 0
	.end_amdhsa_kernel
	.section	.text._ZL30rocblas_trmm_outofplace_kernelI19rocblas_complex_numIdELi32ELi2ELb1ELb0ELb0ELb0ES1_KS1_S1_Ev17rocblas_diagonal_iiT6_lPT7_lllS6_lllPT8_llli,"axG",@progbits,_ZL30rocblas_trmm_outofplace_kernelI19rocblas_complex_numIdELi32ELi2ELb1ELb0ELb0ELb0ES1_KS1_S1_Ev17rocblas_diagonal_iiT6_lPT7_lllS6_lllPT8_llli,comdat
.Lfunc_end109:
	.size	_ZL30rocblas_trmm_outofplace_kernelI19rocblas_complex_numIdELi32ELi2ELb1ELb0ELb0ELb0ES1_KS1_S1_Ev17rocblas_diagonal_iiT6_lPT7_lllS6_lllPT8_llli, .Lfunc_end109-_ZL30rocblas_trmm_outofplace_kernelI19rocblas_complex_numIdELi32ELi2ELb1ELb0ELb0ELb0ES1_KS1_S1_Ev17rocblas_diagonal_iiT6_lPT7_lllS6_lllPT8_llli
                                        ; -- End function
	.set _ZL30rocblas_trmm_outofplace_kernelI19rocblas_complex_numIdELi32ELi2ELb1ELb0ELb0ELb0ES1_KS1_S1_Ev17rocblas_diagonal_iiT6_lPT7_lllS6_lllPT8_llli.num_vgpr, 93
	.set _ZL30rocblas_trmm_outofplace_kernelI19rocblas_complex_numIdELi32ELi2ELb1ELb0ELb0ELb0ES1_KS1_S1_Ev17rocblas_diagonal_iiT6_lPT7_lllS6_lllPT8_llli.num_agpr, 0
	.set _ZL30rocblas_trmm_outofplace_kernelI19rocblas_complex_numIdELi32ELi2ELb1ELb0ELb0ELb0ES1_KS1_S1_Ev17rocblas_diagonal_iiT6_lPT7_lllS6_lllPT8_llli.numbered_sgpr, 58
	.set _ZL30rocblas_trmm_outofplace_kernelI19rocblas_complex_numIdELi32ELi2ELb1ELb0ELb0ELb0ES1_KS1_S1_Ev17rocblas_diagonal_iiT6_lPT7_lllS6_lllPT8_llli.num_named_barrier, 0
	.set _ZL30rocblas_trmm_outofplace_kernelI19rocblas_complex_numIdELi32ELi2ELb1ELb0ELb0ELb0ES1_KS1_S1_Ev17rocblas_diagonal_iiT6_lPT7_lllS6_lllPT8_llli.private_seg_size, 0
	.set _ZL30rocblas_trmm_outofplace_kernelI19rocblas_complex_numIdELi32ELi2ELb1ELb0ELb0ELb0ES1_KS1_S1_Ev17rocblas_diagonal_iiT6_lPT7_lllS6_lllPT8_llli.uses_vcc, 1
	.set _ZL30rocblas_trmm_outofplace_kernelI19rocblas_complex_numIdELi32ELi2ELb1ELb0ELb0ELb0ES1_KS1_S1_Ev17rocblas_diagonal_iiT6_lPT7_lllS6_lllPT8_llli.uses_flat_scratch, 0
	.set _ZL30rocblas_trmm_outofplace_kernelI19rocblas_complex_numIdELi32ELi2ELb1ELb0ELb0ELb0ES1_KS1_S1_Ev17rocblas_diagonal_iiT6_lPT7_lllS6_lllPT8_llli.has_dyn_sized_stack, 0
	.set _ZL30rocblas_trmm_outofplace_kernelI19rocblas_complex_numIdELi32ELi2ELb1ELb0ELb0ELb0ES1_KS1_S1_Ev17rocblas_diagonal_iiT6_lPT7_lllS6_lllPT8_llli.has_recursion, 0
	.set _ZL30rocblas_trmm_outofplace_kernelI19rocblas_complex_numIdELi32ELi2ELb1ELb0ELb0ELb0ES1_KS1_S1_Ev17rocblas_diagonal_iiT6_lPT7_lllS6_lllPT8_llli.has_indirect_call, 0
	.section	.AMDGPU.csdata,"",@progbits
; Kernel info:
; codeLenInByte = 9608
; TotalNumSgprs: 60
; NumVgprs: 93
; ScratchSize: 0
; MemoryBound: 0
; FloatMode: 240
; IeeeMode: 1
; LDSByteSize: 32768 bytes/workgroup (compile time only)
; SGPRBlocks: 0
; VGPRBlocks: 11
; NumSGPRsForWavesPerEU: 60
; NumVGPRsForWavesPerEU: 93
; Occupancy: 16
; WaveLimiterHint : 0
; COMPUTE_PGM_RSRC2:SCRATCH_EN: 0
; COMPUTE_PGM_RSRC2:USER_SGPR: 2
; COMPUTE_PGM_RSRC2:TRAP_HANDLER: 0
; COMPUTE_PGM_RSRC2:TGID_X_EN: 1
; COMPUTE_PGM_RSRC2:TGID_Y_EN: 1
; COMPUTE_PGM_RSRC2:TGID_Z_EN: 1
; COMPUTE_PGM_RSRC2:TIDIG_COMP_CNT: 1
	.section	.text._ZL30rocblas_trmm_outofplace_kernelI19rocblas_complex_numIdELi32ELi2ELb1ELb1ELb0ELb0EPKS1_S2_S1_Ev17rocblas_diagonal_iiT6_lPT7_lllS7_lllPT8_llli,"axG",@progbits,_ZL30rocblas_trmm_outofplace_kernelI19rocblas_complex_numIdELi32ELi2ELb1ELb1ELb0ELb0EPKS1_S2_S1_Ev17rocblas_diagonal_iiT6_lPT7_lllS7_lllPT8_llli,comdat
	.globl	_ZL30rocblas_trmm_outofplace_kernelI19rocblas_complex_numIdELi32ELi2ELb1ELb1ELb0ELb0EPKS1_S2_S1_Ev17rocblas_diagonal_iiT6_lPT7_lllS7_lllPT8_llli ; -- Begin function _ZL30rocblas_trmm_outofplace_kernelI19rocblas_complex_numIdELi32ELi2ELb1ELb1ELb0ELb0EPKS1_S2_S1_Ev17rocblas_diagonal_iiT6_lPT7_lllS7_lllPT8_llli
	.p2align	8
	.type	_ZL30rocblas_trmm_outofplace_kernelI19rocblas_complex_numIdELi32ELi2ELb1ELb1ELb0ELb0EPKS1_S2_S1_Ev17rocblas_diagonal_iiT6_lPT7_lllS7_lllPT8_llli,@function
_ZL30rocblas_trmm_outofplace_kernelI19rocblas_complex_numIdELi32ELi2ELb1ELb1ELb0ELb0EPKS1_S2_S1_Ev17rocblas_diagonal_iiT6_lPT7_lllS7_lllPT8_llli: ; @_ZL30rocblas_trmm_outofplace_kernelI19rocblas_complex_numIdELi32ELi2ELb1ELb1ELb0ELb0EPKS1_S2_S1_Ev17rocblas_diagonal_iiT6_lPT7_lllS7_lllPT8_llli
; %bb.0:
	s_load_b32 s11, s[0:1], 0x80
	s_lshr_b32 s34, ttmp7, 16
	s_wait_kmcnt 0x0
	s_cmp_ge_u32 s34, s11
	s_cbranch_scc1 .LBB110_68
; %bb.1:
	s_clause 0x1
	s_load_b96 s[8:10], s[0:1], 0x0
	s_load_b256 s[36:43], s[0:1], 0x50
	s_and_b32 s33, ttmp7, 0xffff
	v_bfe_u32 v66, v0, 10, 10
	v_and_b32_e32 v0, 0x3ff, v0
	s_clause 0x1
	s_load_b512 s[12:27], s[0:1], 0x10
	s_load_b128 s[28:31], s[0:1], 0x70
	s_add_nc_u64 s[44:45], s[0:1], 0x88
	s_mov_b32 s35, 0
	v_lshlrev_b32_e32 v1, 9, v66
	v_lshlrev_b32_e32 v67, 4, v0
	v_lshl_add_u32 v74, s33, 5, v66
	s_delay_alu instid0(VALU_DEP_3) | instskip(NEXT) | instid1(VALU_DEP_3)
	v_add_nc_u32_e32 v68, 0x4000, v1
	v_add_nc_u32_e32 v69, v67, v1
	s_delay_alu instid0(VALU_DEP_2)
	v_add_nc_u32_e32 v70, v68, v67
	s_wait_kmcnt 0x0
	s_add_co_i32 s2, s10, -1
	s_lshl_b64 s[0:1], s[42:43], 4
	s_ashr_i32 s3, s2, 31
	s_mov_b32 s42, s9
	s_lshr_b32 s3, s3, 27
	s_add_nc_u64 s[40:41], s[40:41], s[0:1]
	s_add_co_i32 s2, s2, s3
	s_mov_b32 s50, s10
	s_ashr_i32 s51, s2, 5
	s_delay_alu instid0(SALU_CYCLE_1) | instskip(SKIP_2) | instid1(SALU_CYCLE_1)
	s_cmp_le_i32 s33, s51
	s_cselect_b32 s52, -1, 0
	s_lshl_b32 s2, ttmp9, 5
	v_add_nc_u32_e32 v18, s2, v0
	v_add_nc_u32_e32 v16, s2, v66
	s_sub_co_i32 s53, s9, s2
	s_delay_alu instid0(SALU_CYCLE_1) | instskip(NEXT) | instid1(VALU_DEP_2)
	s_cmp_gt_i32 s53, 0
	v_ashrrev_i32_e32 v19, 31, v18
	s_delay_alu instid0(VALU_DEP_2) | instskip(SKIP_2) | instid1(VALU_DEP_4)
	v_ashrrev_i32_e32 v17, 31, v16
	v_add_co_u32 v22, vcc_lo, v18, 16
	v_mul_lo_u32 v7, s21, v16
	v_add_co_ci_u32_e64 v23, null, 0, v19, vcc_lo
	v_sub_co_u32 v24, vcc_lo, v18, v16
	v_lshlrev_b64_e32 v[0:1], 4, v[16:17]
	s_wait_alu 0xfffd
	v_sub_co_ci_u32_e64 v25, null, v19, v17, vcc_lo
	s_delay_alu instid0(VALU_DEP_3) | instskip(SKIP_2) | instid1(VALU_DEP_3)
	v_add_co_u32 v26, vcc_lo, v24, 16
	v_mul_lo_u32 v6, s20, v17
	s_wait_alu 0xfffd
	v_add_co_ci_u32_e64 v27, null, 0, v25, vcc_lo
	v_add_co_u32 v4, vcc_lo, 0x100, v0
	s_wait_alu 0xfffd
	v_add_co_ci_u32_e64 v5, null, 0, v1, vcc_lo
	v_mad_co_u64_u32 v[0:1], null, s20, v16, 0
	s_cselect_b32 s54, -1, 0
	s_cmp_eq_u32 s8, 0x84
	v_mul_lo_u32 v5, s20, v5
	s_cselect_b32 s55, -1, 0
	s_lshl_b64 s[4:5], s[18:19], 4
	v_add_co_u32 v28, vcc_lo, v24, -16
	v_add3_u32 v1, v1, v6, v7
	s_add_nc_u64 s[4:5], s[16:17], s[4:5]
	s_wait_alu 0xfffd
	v_add_co_ci_u32_e64 v29, null, -1, v25, vcc_lo
	v_mad_co_u64_u32 v[2:3], null, s20, v4, s[4:5]
	v_mul_lo_u32 v4, s21, v4
	v_lshlrev_b64_e32 v[0:1], 4, v[0:1]
	v_add_nc_u32_e32 v20, 16, v18
	s_ashr_i32 s43, s9, 31
	s_lshl_b64 s[6:7], s[26:27], 4
	v_cmp_le_i64_e64 s2, s[42:43], v[22:23]
	v_lshlrev_b64_e32 v[30:31], 4, v[18:19]
	v_add_co_u32 v0, vcc_lo, s4, v0
	v_add3_u32 v3, v4, v3, v5
	s_wait_alu 0xfffd
	v_add_co_ci_u32_e64 v1, null, s5, v1, vcc_lo
	v_add_co_u32 v32, vcc_lo, 0x100, v2
	s_wait_alu 0xfffd
	v_add_co_ci_u32_e64 v33, null, 0, v3, vcc_lo
	v_add_co_u32 v34, vcc_lo, 0x100, v0
	v_cmp_le_i32_e64 s0, s9, v18
	v_cmp_gt_i32_e64 s1, s9, v18
	v_cmp_gt_i32_e64 s3, s9, v20
	v_ashrrev_i32_e32 v21, 31, v20
	s_wait_alu 0xfffd
	v_add_co_ci_u32_e64 v35, null, 0, v1, vcc_lo
	v_dual_mov_b32 v0, 0 :: v_dual_mov_b32 v1, 0x3ff00000
	v_add_nc_u32_e32 v71, 0x100, v70
	v_add_nc_u32_e32 v72, 0x2000, v70
	;; [unrolled: 1-line block ×3, first 2 shown]
	s_add_nc_u64 s[6:7], s[24:25], s[6:7]
	s_ashr_i32 s56, s10, 31
	s_lshl_b64 s[46:47], s[20:21], 9
	s_add_nc_u64 s[48:49], s[42:43], -16
	s_add_nc_u64 s[16:17], s[6:7], 0x100
	s_lshl_b64 s[18:19], s[38:39], 4
	s_lshl_b64 s[20:21], s[36:37], 4
	;; [unrolled: 1-line block ×3, first 2 shown]
	s_branch .LBB110_4
.LBB110_2:                              ;   in Loop: Header=BB110_4 Depth=1
	s_add_co_i32 s34, s34, 0x10000
	s_wait_alu 0xfffe
	s_cmp_ge_u32 s34, s11
	s_cselect_b32 s4, -1, 0
.LBB110_3:                              ;   in Loop: Header=BB110_4 Depth=1
	s_wait_alu 0xfffe
	s_and_b32 vcc_lo, exec_lo, s4
	s_wait_alu 0xfffe
	s_cbranch_vccnz .LBB110_68
.LBB110_4:                              ; =>This Loop Header: Depth=1
                                        ;     Child Loop BB110_8 Depth 2
                                        ;       Child Loop BB110_11 Depth 3
	s_mul_u64 s[4:5], s[14:15], s[34:35]
	s_wait_alu 0xfffe
	s_lshl_b64 s[4:5], s[4:5], 4
	s_wait_alu 0xfffe
	s_add_nc_u64 s[4:5], s[12:13], s[4:5]
	global_load_b128 v[4:7], v0, s[4:5]
	s_wait_loadcnt 0x0
	v_cmp_eq_f64_e32 vcc_lo, 0, v[4:5]
	v_cmp_eq_f64_e64 s4, 0, v[6:7]
	s_wait_alu 0xfffe
	s_and_b32 s4, vcc_lo, s4
	s_wait_alu 0xfffe
	s_and_b32 vcc_lo, exec_lo, s4
	s_mov_b32 s4, -1
	s_wait_alu 0xfffe
	s_cbranch_vccnz .LBB110_3
; %bb.5:                                ;   in Loop: Header=BB110_4 Depth=1
	s_and_not1_b32 vcc_lo, exec_lo, s52
	s_wait_alu 0xfffe
	s_cbranch_vccnz .LBB110_2
; %bb.6:                                ;   in Loop: Header=BB110_4 Depth=1
	s_load_b32 s9, s[44:45], 0x4
	v_mad_co_u64_u32 v[36:37], null, s22, s34, v[32:33]
	v_mad_co_u64_u32 v[38:39], null, s22, s34, v[34:35]
	s_mul_i32 s8, s23, s34
	s_mul_u64 s[6:7], s[30:31], s[34:35]
	v_mov_b32_e32 v40, v74
	s_mul_u64 s[4:5], s[18:19], s[34:35]
	s_wait_alu 0xfffe
	v_add_nc_u32_e32 v37, s8, v37
	s_lshl_b64 s[6:7], s[6:7], 4
	v_add_nc_u32_e32 v39, s8, v39
	s_add_nc_u64 s[24:25], s[16:17], s[4:5]
	s_wait_alu 0xfffe
	s_add_nc_u64 s[26:27], s[40:41], s[6:7]
	s_mov_b32 s58, s33
	s_wait_kmcnt 0x0
	s_lshl_b32 s57, s9, 5
	s_branch .LBB110_8
.LBB110_7:                              ;   in Loop: Header=BB110_8 Depth=2
	s_wait_alu 0xfffe
	s_or_b32 exec_lo, exec_lo, s4
	v_add_nc_u32_e32 v40, s57, v40
	s_add_co_i32 s58, s9, s58
	s_wait_alu 0xfffe
	s_cmp_gt_i32 s58, s51
	s_cbranch_scc1 .LBB110_2
.LBB110_8:                              ;   Parent Loop BB110_4 Depth=1
                                        ; =>  This Loop Header: Depth=2
                                        ;       Child Loop BB110_11 Depth 3
	s_wait_alu 0xfffe
	v_lshl_add_u32 v75, s58, 5, v66
	s_and_not1_b32 vcc_lo, exec_lo, s54
	s_delay_alu instid0(VALU_DEP_1)
	v_ashrrev_i32_e32 v76, 31, v75
	s_wait_alu 0xfffe
	s_cbranch_vccnz .LBB110_59
; %bb.9:                                ;   in Loop: Header=BB110_8 Depth=2
	v_ashrrev_i32_e32 v41, 31, v40
	v_mad_co_u64_u32 v[42:43], null, s20, v40, s[24:25]
	v_mul_lo_u32 v8, s21, v40
	v_mov_b32_e32 v64, 0
	s_delay_alu instid0(VALU_DEP_4)
	v_lshlrev_b64_e32 v[2:3], 4, v[40:41]
	v_mul_lo_u32 v11, s20, v41
	v_mov_b32_e32 v58, 0
	v_mov_b32_e32 v50, 0
	v_dual_mov_b32 v62, 0 :: v_dual_mov_b32 v47, v39
	v_add_co_u32 v9, vcc_lo, 0x100, v2
	s_wait_alu 0xfffd
	v_add_co_ci_u32_e64 v10, null, 0, v3, vcc_lo
	v_sub_co_u32 v2, vcc_lo, s50, v75
	s_delay_alu instid0(VALU_DEP_3) | instskip(NEXT) | instid1(VALU_DEP_3)
	v_mul_lo_u32 v12, s37, v9
	v_mul_lo_u32 v10, s36, v10
	v_mad_co_u64_u32 v[44:45], null, s36, v9, s[24:25]
	s_wait_alu 0xfffd
	v_sub_co_ci_u32_e64 v3, null, s56, v76, vcc_lo
	v_dual_mov_b32 v65, 0 :: v_dual_mov_b32 v60, 0
	v_dual_mov_b32 v59, 0 :: v_dual_mov_b32 v52, 0
	s_delay_alu instid0(VALU_DEP_3)
	v_cmp_lt_i64_e64 s4, 16, v[2:3]
	v_dual_mov_b32 v51, 0 :: v_dual_mov_b32 v56, 0
	v_dual_mov_b32 v54, 0 :: v_dual_mov_b32 v49, v37
	;; [unrolled: 1-line block ×3, first 2 shown]
	v_add3_u32 v43, v8, v43, v11
	v_add3_u32 v45, v12, v45, v10
	v_mov_b32_e32 v61, 0
	v_mov_b32_e32 v53, 0
	;; [unrolled: 1-line block ×3, first 2 shown]
	v_dual_mov_b32 v55, 0 :: v_dual_mov_b32 v48, v36
	s_mov_b64 s[38:39], 0
	v_cmp_lt_i64_e32 vcc_lo, 0, v[2:3]
	s_branch .LBB110_11
.LBB110_10:                             ;   in Loop: Header=BB110_11 Depth=3
	s_wait_alu 0xfffe
	s_or_b32 exec_lo, exec_lo, s5
	s_wait_dscnt 0x0
	s_barrier_signal -1
	s_barrier_wait -1
	global_inv scope:SCOPE_SE
	ds_load_b128 v[77:80], v68
	ds_load_b128 v[81:84], v68 offset:16
	ds_load_b128 v[12:15], v68 offset:32
	;; [unrolled: 1-line block ×3, first 2 shown]
	ds_load_b128 v[85:88], v67
	v_add_co_u32 v42, s5, 0x200, v42
	s_wait_alu 0xf1ff
	v_add_co_ci_u32_e64 v43, null, 0, v43, s5
	v_add_co_u32 v44, s5, 0x200, v44
	s_wait_alu 0xf1ff
	v_add_co_ci_u32_e64 v45, null, 0, v45, s5
	;; [unrolled: 3-line block ×4, first 2 shown]
	s_add_nc_u64 s[38:39], s[38:39], 32
	s_wait_alu 0xfffe
	s_cmp_ge_i32 s38, s53
	s_wait_dscnt 0x0
	v_mul_f64_e32 v[2:3], v[79:80], v[87:88]
	v_mul_f64_e32 v[89:90], v[77:78], v[87:88]
	s_delay_alu instid0(VALU_DEP_2) | instskip(NEXT) | instid1(VALU_DEP_2)
	v_fma_f64 v[2:3], v[77:78], v[85:86], -v[2:3]
	v_fma_f64 v[89:90], v[79:80], v[85:86], v[89:90]
	s_delay_alu instid0(VALU_DEP_2) | instskip(NEXT) | instid1(VALU_DEP_2)
	v_add_f64_e32 v[2:3], v[54:55], v[2:3]
	v_add_f64_e32 v[89:90], v[89:90], v[56:57]
	ds_load_b128 v[54:57], v67 offset:256
	s_wait_dscnt 0x0
	v_mul_f64_e32 v[91:92], v[79:80], v[56:57]
	s_delay_alu instid0(VALU_DEP_1) | instskip(SKIP_1) | instid1(VALU_DEP_1)
	v_fma_f64 v[91:92], v[77:78], v[54:55], -v[91:92]
	v_mul_f64_e32 v[77:78], v[77:78], v[56:57]
	v_fma_f64 v[77:78], v[79:80], v[54:55], v[77:78]
	s_delay_alu instid0(VALU_DEP_3) | instskip(NEXT) | instid1(VALU_DEP_2)
	v_add_f64_e32 v[79:80], v[50:51], v[91:92]
	v_add_f64_e32 v[77:78], v[77:78], v[52:53]
	ds_load_b128 v[50:53], v68 offset:8192
	s_wait_dscnt 0x0
	v_mul_f64_e32 v[91:92], v[52:53], v[87:88]
	v_mul_f64_e32 v[87:88], v[50:51], v[87:88]
	s_delay_alu instid0(VALU_DEP_2) | instskip(NEXT) | instid1(VALU_DEP_2)
	v_fma_f64 v[91:92], v[50:51], v[85:86], -v[91:92]
	v_fma_f64 v[85:86], v[52:53], v[85:86], v[87:88]
	s_delay_alu instid0(VALU_DEP_2) | instskip(SKIP_1) | instid1(VALU_DEP_3)
	v_add_f64_e32 v[87:88], v[58:59], v[91:92]
	v_mul_f64_e32 v[58:59], v[52:53], v[56:57]
	v_add_f64_e32 v[85:86], v[85:86], v[60:61]
	s_delay_alu instid0(VALU_DEP_2) | instskip(SKIP_1) | instid1(VALU_DEP_2)
	v_fma_f64 v[58:59], v[50:51], v[54:55], -v[58:59]
	v_mul_f64_e32 v[50:51], v[50:51], v[56:57]
	v_add_f64_e32 v[64:65], v[64:65], v[58:59]
	s_delay_alu instid0(VALU_DEP_2) | instskip(NEXT) | instid1(VALU_DEP_1)
	v_fma_f64 v[50:51], v[52:53], v[54:55], v[50:51]
	v_add_f64_e32 v[62:63], v[50:51], v[62:63]
	ds_load_b128 v[50:53], v67 offset:512
	s_wait_dscnt 0x0
	v_mul_f64_e32 v[54:55], v[83:84], v[52:53]
	v_mul_f64_e32 v[56:57], v[81:82], v[52:53]
	s_delay_alu instid0(VALU_DEP_2) | instskip(NEXT) | instid1(VALU_DEP_2)
	v_fma_f64 v[54:55], v[81:82], v[50:51], -v[54:55]
	v_fma_f64 v[56:57], v[83:84], v[50:51], v[56:57]
	s_delay_alu instid0(VALU_DEP_2) | instskip(NEXT) | instid1(VALU_DEP_2)
	v_add_f64_e32 v[2:3], v[2:3], v[54:55]
	v_add_f64_e32 v[89:90], v[56:57], v[89:90]
	ds_load_b128 v[54:57], v67 offset:768
	s_wait_dscnt 0x0
	v_mul_f64_e32 v[58:59], v[83:84], v[56:57]
	v_mul_f64_e32 v[60:61], v[81:82], v[56:57]
	s_delay_alu instid0(VALU_DEP_2) | instskip(NEXT) | instid1(VALU_DEP_2)
	v_fma_f64 v[58:59], v[81:82], v[54:55], -v[58:59]
	v_fma_f64 v[60:61], v[83:84], v[54:55], v[60:61]
	s_delay_alu instid0(VALU_DEP_2) | instskip(NEXT) | instid1(VALU_DEP_2)
	v_add_f64_e32 v[79:80], v[79:80], v[58:59]
	v_add_f64_e32 v[77:78], v[60:61], v[77:78]
	ds_load_b128 v[58:61], v68 offset:8208
	s_wait_dscnt 0x0
	v_mul_f64_e32 v[81:82], v[60:61], v[52:53]
	v_mul_f64_e32 v[52:53], v[58:59], v[52:53]
	s_delay_alu instid0(VALU_DEP_2) | instskip(NEXT) | instid1(VALU_DEP_2)
	v_fma_f64 v[81:82], v[58:59], v[50:51], -v[81:82]
	v_fma_f64 v[50:51], v[60:61], v[50:51], v[52:53]
	v_mul_f64_e32 v[52:53], v[58:59], v[56:57]
	s_delay_alu instid0(VALU_DEP_3) | instskip(NEXT) | instid1(VALU_DEP_3)
	v_add_f64_e32 v[81:82], v[87:88], v[81:82]
	v_add_f64_e32 v[83:84], v[50:51], v[85:86]
	v_mul_f64_e32 v[50:51], v[60:61], v[56:57]
	s_delay_alu instid0(VALU_DEP_4) | instskip(NEXT) | instid1(VALU_DEP_2)
	v_fma_f64 v[52:53], v[60:61], v[54:55], v[52:53]
	v_fma_f64 v[50:51], v[58:59], v[54:55], -v[50:51]
	s_delay_alu instid0(VALU_DEP_2) | instskip(NEXT) | instid1(VALU_DEP_2)
	v_add_f64_e32 v[60:61], v[52:53], v[62:63]
	v_add_f64_e32 v[58:59], v[64:65], v[50:51]
	ds_load_b128 v[50:53], v67 offset:1024
	s_wait_dscnt 0x0
	v_mul_f64_e32 v[54:55], v[14:15], v[52:53]
	v_mul_f64_e32 v[56:57], v[12:13], v[52:53]
	s_delay_alu instid0(VALU_DEP_2) | instskip(NEXT) | instid1(VALU_DEP_2)
	v_fma_f64 v[54:55], v[12:13], v[50:51], -v[54:55]
	v_fma_f64 v[56:57], v[14:15], v[50:51], v[56:57]
	s_delay_alu instid0(VALU_DEP_2) | instskip(NEXT) | instid1(VALU_DEP_2)
	v_add_f64_e32 v[2:3], v[2:3], v[54:55]
	v_add_f64_e32 v[62:63], v[56:57], v[89:90]
	ds_load_b128 v[54:57], v67 offset:1280
	s_wait_dscnt 0x0
	v_mul_f64_e32 v[64:65], v[14:15], v[56:57]
	s_delay_alu instid0(VALU_DEP_1) | instskip(SKIP_1) | instid1(VALU_DEP_2)
	v_fma_f64 v[64:65], v[12:13], v[54:55], -v[64:65]
	v_mul_f64_e32 v[12:13], v[12:13], v[56:57]
	v_add_f64_e32 v[64:65], v[79:80], v[64:65]
	s_delay_alu instid0(VALU_DEP_2) | instskip(NEXT) | instid1(VALU_DEP_1)
	v_fma_f64 v[12:13], v[14:15], v[54:55], v[12:13]
	v_add_f64_e32 v[77:78], v[12:13], v[77:78]
	ds_load_b128 v[12:15], v68 offset:8224
	s_wait_dscnt 0x0
	v_mul_f64_e32 v[79:80], v[14:15], v[52:53]
	v_mul_f64_e32 v[52:53], v[12:13], v[52:53]
	s_delay_alu instid0(VALU_DEP_2) | instskip(NEXT) | instid1(VALU_DEP_2)
	v_fma_f64 v[79:80], v[12:13], v[50:51], -v[79:80]
	v_fma_f64 v[50:51], v[14:15], v[50:51], v[52:53]
	s_delay_alu instid0(VALU_DEP_2) | instskip(NEXT) | instid1(VALU_DEP_2)
	v_add_f64_e32 v[79:80], v[81:82], v[79:80]
	v_add_f64_e32 v[81:82], v[50:51], v[83:84]
	v_mul_f64_e32 v[50:51], v[14:15], v[56:57]
	s_delay_alu instid0(VALU_DEP_1) | instskip(SKIP_1) | instid1(VALU_DEP_1)
	v_fma_f64 v[50:51], v[12:13], v[54:55], -v[50:51]
	v_mul_f64_e32 v[12:13], v[12:13], v[56:57]
	v_fma_f64 v[12:13], v[14:15], v[54:55], v[12:13]
	s_delay_alu instid0(VALU_DEP_3) | instskip(NEXT) | instid1(VALU_DEP_2)
	v_add_f64_e32 v[54:55], v[58:59], v[50:51]
	v_add_f64_e32 v[56:57], v[12:13], v[60:61]
	ds_load_b128 v[12:15], v67 offset:1536
	s_wait_dscnt 0x0
	v_mul_f64_e32 v[50:51], v[10:11], v[14:15]
	v_mul_f64_e32 v[52:53], v[8:9], v[14:15]
	s_delay_alu instid0(VALU_DEP_2) | instskip(NEXT) | instid1(VALU_DEP_2)
	v_fma_f64 v[50:51], v[8:9], v[12:13], -v[50:51]
	v_fma_f64 v[52:53], v[10:11], v[12:13], v[52:53]
	s_delay_alu instid0(VALU_DEP_2) | instskip(NEXT) | instid1(VALU_DEP_2)
	v_add_f64_e32 v[2:3], v[2:3], v[50:51]
	v_add_f64_e32 v[58:59], v[52:53], v[62:63]
	ds_load_b128 v[50:53], v67 offset:1792
	s_wait_dscnt 0x0
	v_mul_f64_e32 v[60:61], v[10:11], v[52:53]
	s_delay_alu instid0(VALU_DEP_1) | instskip(SKIP_1) | instid1(VALU_DEP_2)
	v_fma_f64 v[60:61], v[8:9], v[50:51], -v[60:61]
	v_mul_f64_e32 v[8:9], v[8:9], v[52:53]
	v_add_f64_e32 v[60:61], v[64:65], v[60:61]
	s_delay_alu instid0(VALU_DEP_2) | instskip(NEXT) | instid1(VALU_DEP_1)
	v_fma_f64 v[8:9], v[10:11], v[50:51], v[8:9]
	v_add_f64_e32 v[62:63], v[8:9], v[77:78]
	ds_load_b128 v[8:11], v68 offset:8240
	s_wait_dscnt 0x0
	v_mul_f64_e32 v[64:65], v[10:11], v[14:15]
	v_mul_f64_e32 v[14:15], v[8:9], v[14:15]
	s_delay_alu instid0(VALU_DEP_2) | instskip(NEXT) | instid1(VALU_DEP_2)
	v_fma_f64 v[64:65], v[8:9], v[12:13], -v[64:65]
	v_fma_f64 v[12:13], v[10:11], v[12:13], v[14:15]
	s_delay_alu instid0(VALU_DEP_2) | instskip(NEXT) | instid1(VALU_DEP_2)
	v_add_f64_e32 v[64:65], v[79:80], v[64:65]
	v_add_f64_e32 v[77:78], v[12:13], v[81:82]
	v_mul_f64_e32 v[12:13], v[10:11], v[52:53]
	s_delay_alu instid0(VALU_DEP_1) | instskip(SKIP_1) | instid1(VALU_DEP_2)
	v_fma_f64 v[12:13], v[8:9], v[50:51], -v[12:13]
	v_mul_f64_e32 v[8:9], v[8:9], v[52:53]
	v_add_f64_e32 v[54:55], v[54:55], v[12:13]
	s_delay_alu instid0(VALU_DEP_2) | instskip(NEXT) | instid1(VALU_DEP_1)
	v_fma_f64 v[8:9], v[10:11], v[50:51], v[8:9]
	v_add_f64_e32 v[56:57], v[8:9], v[56:57]
	ds_load_b128 v[8:11], v68 offset:64
	ds_load_b128 v[12:15], v67 offset:2048
	s_wait_dscnt 0x0
	v_mul_f64_e32 v[50:51], v[10:11], v[14:15]
	v_mul_f64_e32 v[52:53], v[8:9], v[14:15]
	s_delay_alu instid0(VALU_DEP_2) | instskip(NEXT) | instid1(VALU_DEP_2)
	v_fma_f64 v[50:51], v[8:9], v[12:13], -v[50:51]
	v_fma_f64 v[52:53], v[10:11], v[12:13], v[52:53]
	s_delay_alu instid0(VALU_DEP_2) | instskip(NEXT) | instid1(VALU_DEP_2)
	v_add_f64_e32 v[2:3], v[2:3], v[50:51]
	v_add_f64_e32 v[58:59], v[52:53], v[58:59]
	ds_load_b128 v[50:53], v67 offset:2304
	s_wait_dscnt 0x0
	v_mul_f64_e32 v[79:80], v[10:11], v[52:53]
	s_delay_alu instid0(VALU_DEP_1) | instskip(SKIP_1) | instid1(VALU_DEP_2)
	v_fma_f64 v[79:80], v[8:9], v[50:51], -v[79:80]
	v_mul_f64_e32 v[8:9], v[8:9], v[52:53]
	v_add_f64_e32 v[60:61], v[60:61], v[79:80]
	s_delay_alu instid0(VALU_DEP_2) | instskip(NEXT) | instid1(VALU_DEP_1)
	v_fma_f64 v[8:9], v[10:11], v[50:51], v[8:9]
	v_add_f64_e32 v[62:63], v[8:9], v[62:63]
	ds_load_b128 v[8:11], v68 offset:8256
	s_wait_dscnt 0x0
	v_mul_f64_e32 v[79:80], v[10:11], v[14:15]
	v_mul_f64_e32 v[14:15], v[8:9], v[14:15]
	s_delay_alu instid0(VALU_DEP_2) | instskip(NEXT) | instid1(VALU_DEP_2)
	v_fma_f64 v[79:80], v[8:9], v[12:13], -v[79:80]
	v_fma_f64 v[12:13], v[10:11], v[12:13], v[14:15]
	s_delay_alu instid0(VALU_DEP_2) | instskip(NEXT) | instid1(VALU_DEP_2)
	v_add_f64_e32 v[64:65], v[64:65], v[79:80]
	v_add_f64_e32 v[77:78], v[12:13], v[77:78]
	v_mul_f64_e32 v[12:13], v[10:11], v[52:53]
	s_delay_alu instid0(VALU_DEP_1) | instskip(SKIP_1) | instid1(VALU_DEP_2)
	v_fma_f64 v[12:13], v[8:9], v[50:51], -v[12:13]
	v_mul_f64_e32 v[8:9], v[8:9], v[52:53]
	v_add_f64_e32 v[54:55], v[54:55], v[12:13]
	s_delay_alu instid0(VALU_DEP_2) | instskip(NEXT) | instid1(VALU_DEP_1)
	v_fma_f64 v[8:9], v[10:11], v[50:51], v[8:9]
	v_add_f64_e32 v[56:57], v[8:9], v[56:57]
	ds_load_b128 v[8:11], v68 offset:80
	;; [unrolled: 39-line block ×19, first 2 shown]
	ds_load_b128 v[12:15], v67 offset:11264
	ds_load_b128 v[54:57], v68 offset:8544
	s_wait_dscnt 0x1
	v_mul_f64_e32 v[50:51], v[10:11], v[14:15]
	v_mul_f64_e32 v[52:53], v[8:9], v[14:15]
	s_delay_alu instid0(VALU_DEP_2) | instskip(NEXT) | instid1(VALU_DEP_2)
	v_fma_f64 v[50:51], v[8:9], v[12:13], -v[50:51]
	v_fma_f64 v[52:53], v[10:11], v[12:13], v[52:53]
	s_delay_alu instid0(VALU_DEP_2) | instskip(NEXT) | instid1(VALU_DEP_2)
	v_add_f64_e32 v[83:84], v[2:3], v[50:51]
	v_add_f64_e32 v[58:59], v[52:53], v[58:59]
	ds_load_b128 v[50:53], v67 offset:11520
	s_wait_dscnt 0x0
	v_mul_f64_e32 v[2:3], v[10:11], v[52:53]
	s_delay_alu instid0(VALU_DEP_1) | instskip(SKIP_1) | instid1(VALU_DEP_2)
	v_fma_f64 v[2:3], v[8:9], v[50:51], -v[2:3]
	v_mul_f64_e32 v[8:9], v[8:9], v[52:53]
	v_add_f64_e32 v[85:86], v[60:61], v[2:3]
	s_delay_alu instid0(VALU_DEP_2) | instskip(SKIP_1) | instid1(VALU_DEP_2)
	v_fma_f64 v[8:9], v[10:11], v[50:51], v[8:9]
	v_mul_f64_e32 v[2:3], v[56:57], v[14:15]
	v_add_f64_e32 v[62:63], v[8:9], v[62:63]
	v_mul_f64_e32 v[8:9], v[54:55], v[14:15]
	s_delay_alu instid0(VALU_DEP_3) | instskip(NEXT) | instid1(VALU_DEP_2)
	v_fma_f64 v[2:3], v[54:55], v[12:13], -v[2:3]
	v_fma_f64 v[8:9], v[56:57], v[12:13], v[8:9]
	s_delay_alu instid0(VALU_DEP_2) | instskip(SKIP_1) | instid1(VALU_DEP_3)
	v_add_f64_e32 v[10:11], v[64:65], v[2:3]
	v_mul_f64_e32 v[2:3], v[56:57], v[52:53]
	v_add_f64_e32 v[12:13], v[8:9], v[77:78]
	v_mul_f64_e32 v[8:9], v[54:55], v[52:53]
	s_delay_alu instid0(VALU_DEP_3) | instskip(NEXT) | instid1(VALU_DEP_2)
	v_fma_f64 v[2:3], v[54:55], v[50:51], -v[2:3]
	v_fma_f64 v[8:9], v[56:57], v[50:51], v[8:9]
	ds_load_b128 v[50:53], v68 offset:368
	ds_load_b128 v[54:57], v67 offset:11776
	v_add_f64_e32 v[2:3], v[79:80], v[2:3]
	s_wait_dscnt 0x0
	v_mul_f64_e32 v[60:61], v[50:51], v[56:57]
	v_mul_f64_e32 v[14:15], v[52:53], v[56:57]
	v_add_f64_e32 v[8:9], v[8:9], v[81:82]
	s_delay_alu instid0(VALU_DEP_3) | instskip(NEXT) | instid1(VALU_DEP_3)
	v_fma_f64 v[60:61], v[52:53], v[54:55], v[60:61]
	v_fma_f64 v[14:15], v[50:51], v[54:55], -v[14:15]
	s_delay_alu instid0(VALU_DEP_2) | instskip(SKIP_4) | instid1(VALU_DEP_1)
	v_add_f64_e32 v[79:80], v[60:61], v[58:59]
	ds_load_b128 v[58:61], v67 offset:12032
	v_add_f64_e32 v[77:78], v[83:84], v[14:15]
	s_wait_dscnt 0x0
	v_mul_f64_e32 v[14:15], v[52:53], v[60:61]
	v_fma_f64 v[14:15], v[50:51], v[58:59], -v[14:15]
	v_mul_f64_e32 v[50:51], v[50:51], v[60:61]
	s_delay_alu instid0(VALU_DEP_2) | instskip(NEXT) | instid1(VALU_DEP_2)
	v_add_f64_e32 v[14:15], v[85:86], v[14:15]
	v_fma_f64 v[50:51], v[52:53], v[58:59], v[50:51]
	s_delay_alu instid0(VALU_DEP_1) | instskip(SKIP_4) | instid1(VALU_DEP_2)
	v_add_f64_e32 v[50:51], v[50:51], v[62:63]
	ds_load_b128 v[62:65], v68 offset:8560
	s_wait_dscnt 0x0
	v_mul_f64_e32 v[52:53], v[64:65], v[56:57]
	v_mul_f64_e32 v[56:57], v[62:63], v[56:57]
	v_fma_f64 v[52:53], v[62:63], v[54:55], -v[52:53]
	s_delay_alu instid0(VALU_DEP_2) | instskip(NEXT) | instid1(VALU_DEP_2)
	v_fma_f64 v[54:55], v[64:65], v[54:55], v[56:57]
	v_add_f64_e32 v[81:82], v[10:11], v[52:53]
	v_mul_f64_e32 v[10:11], v[64:65], v[60:61]
	v_mul_f64_e32 v[52:53], v[62:63], v[60:61]
	s_delay_alu instid0(VALU_DEP_4) | instskip(NEXT) | instid1(VALU_DEP_3)
	v_add_f64_e32 v[12:13], v[54:55], v[12:13]
	v_fma_f64 v[10:11], v[62:63], v[58:59], -v[10:11]
	s_delay_alu instid0(VALU_DEP_3) | instskip(NEXT) | instid1(VALU_DEP_2)
	v_fma_f64 v[52:53], v[64:65], v[58:59], v[52:53]
	v_add_f64_e32 v[2:3], v[2:3], v[10:11]
	s_delay_alu instid0(VALU_DEP_2)
	v_add_f64_e32 v[60:61], v[52:53], v[8:9]
	ds_load_b128 v[8:11], v68 offset:384
	ds_load_b128 v[52:55], v67 offset:12288
	s_wait_dscnt 0x0
	v_mul_f64_e32 v[56:57], v[10:11], v[54:55]
	v_mul_f64_e32 v[58:59], v[8:9], v[54:55]
	s_delay_alu instid0(VALU_DEP_2) | instskip(NEXT) | instid1(VALU_DEP_2)
	v_fma_f64 v[56:57], v[8:9], v[52:53], -v[56:57]
	v_fma_f64 v[58:59], v[10:11], v[52:53], v[58:59]
	s_delay_alu instid0(VALU_DEP_2) | instskip(NEXT) | instid1(VALU_DEP_2)
	v_add_f64_e32 v[62:63], v[77:78], v[56:57]
	v_add_f64_e32 v[64:65], v[58:59], v[79:80]
	ds_load_b128 v[56:59], v67 offset:12544
	s_wait_dscnt 0x0
	v_mul_f64_e32 v[77:78], v[10:11], v[58:59]
	s_delay_alu instid0(VALU_DEP_1) | instskip(SKIP_1) | instid1(VALU_DEP_2)
	v_fma_f64 v[77:78], v[8:9], v[56:57], -v[77:78]
	v_mul_f64_e32 v[8:9], v[8:9], v[58:59]
	v_add_f64_e32 v[77:78], v[14:15], v[77:78]
	s_delay_alu instid0(VALU_DEP_2) | instskip(NEXT) | instid1(VALU_DEP_1)
	v_fma_f64 v[8:9], v[10:11], v[56:57], v[8:9]
	v_add_f64_e32 v[79:80], v[8:9], v[50:51]
	ds_load_b128 v[8:11], v68 offset:8576
	s_wait_dscnt 0x0
	v_mul_f64_e32 v[14:15], v[10:11], v[54:55]
	v_mul_f64_e32 v[50:51], v[8:9], v[54:55]
	s_delay_alu instid0(VALU_DEP_2) | instskip(NEXT) | instid1(VALU_DEP_2)
	v_fma_f64 v[14:15], v[8:9], v[52:53], -v[14:15]
	v_fma_f64 v[50:51], v[10:11], v[52:53], v[50:51]
	s_delay_alu instid0(VALU_DEP_2) | instskip(NEXT) | instid1(VALU_DEP_2)
	v_add_f64_e32 v[54:55], v[81:82], v[14:15]
	v_add_f64_e32 v[81:82], v[50:51], v[12:13]
	v_mul_f64_e32 v[12:13], v[10:11], v[58:59]
	s_delay_alu instid0(VALU_DEP_1) | instskip(SKIP_1) | instid1(VALU_DEP_2)
	v_fma_f64 v[12:13], v[8:9], v[56:57], -v[12:13]
	v_mul_f64_e32 v[8:9], v[8:9], v[58:59]
	v_add_f64_e32 v[2:3], v[2:3], v[12:13]
	s_delay_alu instid0(VALU_DEP_2) | instskip(NEXT) | instid1(VALU_DEP_1)
	v_fma_f64 v[8:9], v[10:11], v[56:57], v[8:9]
	v_add_f64_e32 v[56:57], v[8:9], v[60:61]
	ds_load_b128 v[8:11], v68 offset:400
	ds_load_b128 v[12:15], v67 offset:12800
	s_wait_dscnt 0x0
	v_mul_f64_e32 v[50:51], v[10:11], v[14:15]
	v_mul_f64_e32 v[52:53], v[8:9], v[14:15]
	s_delay_alu instid0(VALU_DEP_2) | instskip(NEXT) | instid1(VALU_DEP_2)
	v_fma_f64 v[50:51], v[8:9], v[12:13], -v[50:51]
	v_fma_f64 v[52:53], v[10:11], v[12:13], v[52:53]
	s_delay_alu instid0(VALU_DEP_2) | instskip(NEXT) | instid1(VALU_DEP_2)
	v_add_f64_e32 v[58:59], v[62:63], v[50:51]
	v_add_f64_e32 v[60:61], v[52:53], v[64:65]
	ds_load_b128 v[50:53], v67 offset:13056
	s_wait_dscnt 0x0
	v_mul_f64_e32 v[62:63], v[10:11], v[52:53]
	s_delay_alu instid0(VALU_DEP_1) | instskip(SKIP_1) | instid1(VALU_DEP_2)
	v_fma_f64 v[62:63], v[8:9], v[50:51], -v[62:63]
	v_mul_f64_e32 v[8:9], v[8:9], v[52:53]
	v_add_f64_e32 v[62:63], v[77:78], v[62:63]
	s_delay_alu instid0(VALU_DEP_2) | instskip(NEXT) | instid1(VALU_DEP_1)
	v_fma_f64 v[8:9], v[10:11], v[50:51], v[8:9]
	v_add_f64_e32 v[64:65], v[8:9], v[79:80]
	ds_load_b128 v[8:11], v68 offset:8592
	s_wait_dscnt 0x0
	v_mul_f64_e32 v[77:78], v[10:11], v[14:15]
	v_mul_f64_e32 v[14:15], v[8:9], v[14:15]
	s_delay_alu instid0(VALU_DEP_2) | instskip(NEXT) | instid1(VALU_DEP_2)
	v_fma_f64 v[77:78], v[8:9], v[12:13], -v[77:78]
	v_fma_f64 v[12:13], v[10:11], v[12:13], v[14:15]
	s_delay_alu instid0(VALU_DEP_2) | instskip(NEXT) | instid1(VALU_DEP_2)
	v_add_f64_e32 v[54:55], v[54:55], v[77:78]
	v_add_f64_e32 v[77:78], v[12:13], v[81:82]
	v_mul_f64_e32 v[12:13], v[10:11], v[52:53]
	s_delay_alu instid0(VALU_DEP_1) | instskip(SKIP_1) | instid1(VALU_DEP_2)
	v_fma_f64 v[12:13], v[8:9], v[50:51], -v[12:13]
	v_mul_f64_e32 v[8:9], v[8:9], v[52:53]
	v_add_f64_e32 v[2:3], v[2:3], v[12:13]
	s_delay_alu instid0(VALU_DEP_2) | instskip(NEXT) | instid1(VALU_DEP_1)
	v_fma_f64 v[8:9], v[10:11], v[50:51], v[8:9]
	;; [unrolled: 39-line block ×6, first 2 shown]
	v_add_f64_e32 v[56:57], v[8:9], v[56:57]
	ds_load_b128 v[8:11], v68 offset:480
	ds_load_b128 v[12:15], v67 offset:15360
	s_wait_dscnt 0x0
	v_mul_f64_e32 v[50:51], v[10:11], v[14:15]
	v_mul_f64_e32 v[52:53], v[8:9], v[14:15]
	s_delay_alu instid0(VALU_DEP_2) | instskip(NEXT) | instid1(VALU_DEP_2)
	v_fma_f64 v[50:51], v[8:9], v[12:13], -v[50:51]
	v_fma_f64 v[52:53], v[10:11], v[12:13], v[52:53]
	s_delay_alu instid0(VALU_DEP_2) | instskip(NEXT) | instid1(VALU_DEP_2)
	v_add_f64_e32 v[79:80], v[58:59], v[50:51]
	v_add_f64_e32 v[81:82], v[52:53], v[60:61]
	ds_load_b128 v[50:53], v67 offset:15616
	s_wait_dscnt 0x0
	v_mul_f64_e32 v[58:59], v[10:11], v[52:53]
	s_delay_alu instid0(VALU_DEP_1) | instskip(SKIP_1) | instid1(VALU_DEP_2)
	v_fma_f64 v[58:59], v[8:9], v[50:51], -v[58:59]
	v_mul_f64_e32 v[8:9], v[8:9], v[52:53]
	v_add_f64_e32 v[83:84], v[62:63], v[58:59]
	s_delay_alu instid0(VALU_DEP_2) | instskip(NEXT) | instid1(VALU_DEP_1)
	v_fma_f64 v[8:9], v[10:11], v[50:51], v[8:9]
	v_add_f64_e32 v[85:86], v[8:9], v[64:65]
	ds_load_b128 v[8:11], v68 offset:8672
	s_wait_dscnt 0x0
	v_mul_f64_e32 v[58:59], v[10:11], v[14:15]
	v_mul_f64_e32 v[14:15], v[8:9], v[14:15]
	s_delay_alu instid0(VALU_DEP_2) | instskip(NEXT) | instid1(VALU_DEP_2)
	v_fma_f64 v[58:59], v[8:9], v[12:13], -v[58:59]
	v_fma_f64 v[12:13], v[10:11], v[12:13], v[14:15]
	s_delay_alu instid0(VALU_DEP_2) | instskip(NEXT) | instid1(VALU_DEP_2)
	v_add_f64_e32 v[87:88], v[54:55], v[58:59]
	v_add_f64_e32 v[77:78], v[12:13], v[77:78]
	v_mul_f64_e32 v[12:13], v[10:11], v[52:53]
	s_delay_alu instid0(VALU_DEP_1) | instskip(SKIP_1) | instid1(VALU_DEP_2)
	v_fma_f64 v[12:13], v[8:9], v[50:51], -v[12:13]
	v_mul_f64_e32 v[8:9], v[8:9], v[52:53]
	v_add_f64_e32 v[2:3], v[2:3], v[12:13]
	s_delay_alu instid0(VALU_DEP_2)
	v_fma_f64 v[8:9], v[10:11], v[50:51], v[8:9]
	ds_load_b128 v[10:13], v68 offset:496
	ds_load_b128 v[58:61], v67 offset:15872
	ds_load_b128 v[62:65], v67 offset:16128
	s_wait_dscnt 0x1
	v_mul_f64_e32 v[14:15], v[12:13], v[60:61]
	v_mul_f64_e32 v[50:51], v[10:11], v[60:61]
	v_add_f64_e32 v[8:9], v[8:9], v[56:57]
	s_delay_alu instid0(VALU_DEP_3) | instskip(NEXT) | instid1(VALU_DEP_3)
	v_fma_f64 v[14:15], v[10:11], v[58:59], -v[14:15]
	v_fma_f64 v[50:51], v[12:13], v[58:59], v[50:51]
	s_delay_alu instid0(VALU_DEP_2) | instskip(SKIP_2) | instid1(VALU_DEP_3)
	v_add_f64_e32 v[54:55], v[79:80], v[14:15]
	s_wait_dscnt 0x0
	v_mul_f64_e32 v[14:15], v[12:13], v[64:65]
	v_add_f64_e32 v[56:57], v[50:51], v[81:82]
	s_delay_alu instid0(VALU_DEP_2) | instskip(SKIP_1) | instid1(VALU_DEP_2)
	v_fma_f64 v[14:15], v[10:11], v[62:63], -v[14:15]
	v_mul_f64_e32 v[10:11], v[10:11], v[64:65]
	v_add_f64_e32 v[50:51], v[83:84], v[14:15]
	s_delay_alu instid0(VALU_DEP_2)
	v_fma_f64 v[10:11], v[12:13], v[62:63], v[10:11]
	ds_load_b128 v[12:15], v68 offset:8688
	s_wait_loadcnt_dscnt 0x0
	s_barrier_signal -1
	s_barrier_wait -1
	global_inv scope:SCOPE_SE
	v_add_f64_e32 v[52:53], v[10:11], v[85:86]
	v_mul_f64_e32 v[10:11], v[14:15], v[60:61]
	v_mul_f64_e32 v[60:61], v[12:13], v[60:61]
	s_delay_alu instid0(VALU_DEP_2) | instskip(NEXT) | instid1(VALU_DEP_2)
	v_fma_f64 v[10:11], v[12:13], v[58:59], -v[10:11]
	v_fma_f64 v[60:61], v[14:15], v[58:59], v[60:61]
	s_delay_alu instid0(VALU_DEP_2) | instskip(SKIP_1) | instid1(VALU_DEP_3)
	v_add_f64_e32 v[58:59], v[87:88], v[10:11]
	v_mul_f64_e32 v[10:11], v[14:15], v[64:65]
	v_add_f64_e32 v[60:61], v[60:61], v[77:78]
	s_delay_alu instid0(VALU_DEP_2) | instskip(SKIP_1) | instid1(VALU_DEP_2)
	v_fma_f64 v[10:11], v[12:13], v[62:63], -v[10:11]
	v_mul_f64_e32 v[12:13], v[12:13], v[64:65]
	v_add_f64_e32 v[64:65], v[2:3], v[10:11]
	s_delay_alu instid0(VALU_DEP_2) | instskip(NEXT) | instid1(VALU_DEP_1)
	v_fma_f64 v[12:13], v[14:15], v[62:63], v[12:13]
	v_add_f64_e32 v[62:63], v[12:13], v[8:9]
	s_cbranch_scc1 .LBB110_60
.LBB110_11:                             ;   Parent Loop BB110_4 Depth=1
                                        ;     Parent Loop BB110_8 Depth=2
                                        ; =>    This Inner Loop Header: Depth=3
	s_wait_alu 0xfffe
	v_add_co_u32 v8, s5, v16, s38
	s_wait_alu 0xf1ff
	v_add_co_ci_u32_e64 v9, null, s39, v17, s5
	v_cmp_eq_u64_e64 s7, s[38:39], v[24:25]
	s_delay_alu instid0(VALU_DEP_2)
	v_cmp_le_i64_e64 s6, s[42:43], v[8:9]
	v_cmp_lt_i64_e64 s5, v[8:9], v[18:19]
	s_and_b32 s60, s55, s7
	v_add_co_u32 v10, s7, v46, v30
	s_wait_alu 0xf1ff
	v_add_co_ci_u32_e64 v11, null, v47, v31, s7
	s_or_b32 s8, s6, s5
	s_wait_alu 0xfffe
	s_or_b32 s7, s8, s60
	s_wait_alu 0xfffe
	s_nor_b32 s7, s0, s7
	s_wait_alu 0xfffe
	s_and_saveexec_b32 s8, s7
	s_wait_alu 0xfffe
	s_xor_b32 s7, exec_lo, s8
	s_cbranch_execz .LBB110_13
; %bb.12:                               ;   in Loop: Header=BB110_11 Depth=3
	global_load_b128 v[12:15], v[10:11], off offset:-256
	s_wait_loadcnt 0x0
	ds_store_2addr_b64 v69, v[12:13], v[14:15] offset1:1
.LBB110_13:                             ;   in Loop: Header=BB110_11 Depth=3
	s_wait_alu 0xfffe
	s_or_saveexec_b32 s7, s7
	s_xor_b32 s59, s60, -1
	s_wait_alu 0xfffe
	s_xor_b32 exec_lo, exec_lo, s7
	s_cbranch_execz .LBB110_19
; %bb.14:                               ;   in Loop: Header=BB110_11 Depth=3
	s_and_saveexec_b32 s8, s59
	s_wait_alu 0xfffe
	s_xor_b32 s8, exec_lo, s8
; %bb.15:                               ;   in Loop: Header=BB110_11 Depth=3
	v_dual_mov_b32 v12, v0 :: v_dual_mov_b32 v13, v0
	v_dual_mov_b32 v14, v0 :: v_dual_mov_b32 v15, v0
	ds_store_b128 v69, v[12:15]
; %bb.16:                               ;   in Loop: Header=BB110_11 Depth=3
	s_wait_alu 0xfffe
	s_and_not1_saveexec_b32 s8, s8
; %bb.17:                               ;   in Loop: Header=BB110_11 Depth=3
	v_dual_mov_b32 v2, v0 :: v_dual_mov_b32 v3, v0
	ds_store_b128 v69, v[0:3]
; %bb.18:                               ;   in Loop: Header=BB110_11 Depth=3
	s_wait_alu 0xfffe
	s_or_b32 exec_lo, exec_lo, s8
.LBB110_19:                             ;   in Loop: Header=BB110_11 Depth=3
	s_delay_alu instid0(SALU_CYCLE_1)
	s_or_b32 exec_lo, exec_lo, s7
	v_cmp_eq_u64_e64 s7, s[38:39], v[26:27]
	v_cmp_gt_i64_e64 s8, v[22:23], v[8:9]
	s_and_b32 s7, s55, s7
	s_or_b32 s6, s6, s8
	s_wait_alu 0xfffe
	s_or_b32 s6, s6, s7
	s_wait_alu 0xfffe
	s_nor_b32 s6, s2, s6
	s_wait_alu 0xfffe
	s_and_saveexec_b32 s8, s6
	s_wait_alu 0xfffe
	s_xor_b32 s6, exec_lo, s8
	s_cbranch_execz .LBB110_21
; %bb.20:                               ;   in Loop: Header=BB110_11 Depth=3
	global_load_b128 v[10:13], v[10:11], off
	v_add_nc_u32_e32 v2, 0x100, v69
	s_wait_loadcnt 0x0
	ds_store_2addr_b64 v2, v[10:11], v[12:13] offset1:1
.LBB110_21:                             ;   in Loop: Header=BB110_11 Depth=3
	s_wait_alu 0xfffe
	s_and_not1_saveexec_b32 s6, s6
	s_cbranch_execz .LBB110_27
; %bb.22:                               ;   in Loop: Header=BB110_11 Depth=3
	s_xor_b32 s7, s7, -1
	s_wait_alu 0xfffe
	s_and_saveexec_b32 s8, s7
	s_wait_alu 0xfffe
	s_xor_b32 s7, exec_lo, s8
; %bb.23:                               ;   in Loop: Header=BB110_11 Depth=3
	v_dual_mov_b32 v10, v0 :: v_dual_mov_b32 v11, v0
	v_dual_mov_b32 v12, v0 :: v_dual_mov_b32 v13, v0
	ds_store_b128 v69, v[10:13] offset:256
; %bb.24:                               ;   in Loop: Header=BB110_11 Depth=3
	s_wait_alu 0xfffe
	s_and_not1_saveexec_b32 s7, s7
; %bb.25:                               ;   in Loop: Header=BB110_11 Depth=3
	v_dual_mov_b32 v2, v0 :: v_dual_mov_b32 v3, v0
	ds_store_b128 v69, v[0:3] offset:256
; %bb.26:                               ;   in Loop: Header=BB110_11 Depth=3
	s_wait_alu 0xfffe
	s_or_b32 exec_lo, exec_lo, s7
.LBB110_27:                             ;   in Loop: Header=BB110_11 Depth=3
	s_wait_alu 0xfffe
	s_or_b32 exec_lo, exec_lo, s6
	v_add_co_u32 v2, s6, v8, 16
	s_wait_alu 0xf1ff
	v_add_co_ci_u32_e64 v3, null, 0, v9, s6
	v_cmp_eq_u64_e64 s7, s[38:39], v[28:29]
	s_delay_alu instid0(VALU_DEP_2)
	v_cmp_le_i64_e64 s6, s[42:43], v[2:3]
	v_cmp_lt_i64_e64 s8, v[2:3], v[18:19]
	s_and_b32 s61, s55, s7
	v_add_co_u32 v8, s7, v48, v30
	s_wait_alu 0xf1ff
	v_add_co_ci_u32_e64 v9, null, v49, v31, s7
	s_or_b32 s8, s6, s8
	s_wait_alu 0xfffe
	s_or_b32 s7, s8, s61
	s_wait_alu 0xfffe
	s_nor_b32 s7, s0, s7
	s_wait_alu 0xfffe
	s_and_saveexec_b32 s8, s7
	s_wait_alu 0xfffe
	s_xor_b32 s7, exec_lo, s8
	s_cbranch_execz .LBB110_29
; %bb.28:                               ;   in Loop: Header=BB110_11 Depth=3
	global_load_b128 v[10:13], v[8:9], off offset:-256
	v_add_nc_u32_e32 v2, 0x2000, v69
	s_wait_loadcnt 0x0
	ds_store_2addr_b64 v2, v[10:11], v[12:13] offset1:1
.LBB110_29:                             ;   in Loop: Header=BB110_11 Depth=3
	s_wait_alu 0xfffe
	s_and_not1_saveexec_b32 s7, s7
	s_cbranch_execz .LBB110_35
; %bb.30:                               ;   in Loop: Header=BB110_11 Depth=3
	s_xor_b32 s8, s61, -1
	s_wait_alu 0xfffe
	s_and_saveexec_b32 s61, s8
	s_delay_alu instid0(SALU_CYCLE_1)
	s_xor_b32 s8, exec_lo, s61
; %bb.31:                               ;   in Loop: Header=BB110_11 Depth=3
	v_dual_mov_b32 v10, v0 :: v_dual_mov_b32 v11, v0
	v_dual_mov_b32 v12, v0 :: v_dual_mov_b32 v13, v0
	ds_store_b128 v69, v[10:13] offset:8192
; %bb.32:                               ;   in Loop: Header=BB110_11 Depth=3
	s_wait_alu 0xfffe
	s_and_not1_saveexec_b32 s8, s8
; %bb.33:                               ;   in Loop: Header=BB110_11 Depth=3
	v_dual_mov_b32 v2, v0 :: v_dual_mov_b32 v3, v0
	ds_store_b128 v69, v[0:3] offset:8192
; %bb.34:                               ;   in Loop: Header=BB110_11 Depth=3
	s_wait_alu 0xfffe
	s_or_b32 exec_lo, exec_lo, s8
.LBB110_35:                             ;   in Loop: Header=BB110_11 Depth=3
	s_wait_alu 0xfffe
	s_or_b32 exec_lo, exec_lo, s7
	s_or_b32 s5, s6, s5
	s_wait_alu 0xfffe
	s_or_b32 s5, s5, s60
	s_wait_alu 0xfffe
	s_nor_b32 s5, s2, s5
	s_wait_alu 0xfffe
	s_and_saveexec_b32 s6, s5
	s_wait_alu 0xfffe
	s_xor_b32 s5, exec_lo, s6
	s_cbranch_execz .LBB110_37
; %bb.36:                               ;   in Loop: Header=BB110_11 Depth=3
	global_load_b128 v[8:11], v[8:9], off
	v_add_nc_u32_e32 v2, 0x2100, v69
	s_wait_loadcnt 0x0
	ds_store_2addr_b64 v2, v[8:9], v[10:11] offset1:1
.LBB110_37:                             ;   in Loop: Header=BB110_11 Depth=3
	s_wait_alu 0xfffe
	s_and_not1_saveexec_b32 s5, s5
	s_cbranch_execz .LBB110_43
; %bb.38:                               ;   in Loop: Header=BB110_11 Depth=3
	s_and_saveexec_b32 s6, s59
	s_wait_alu 0xfffe
	s_xor_b32 s6, exec_lo, s6
; %bb.39:                               ;   in Loop: Header=BB110_11 Depth=3
	v_dual_mov_b32 v8, v0 :: v_dual_mov_b32 v9, v0
	v_dual_mov_b32 v10, v0 :: v_dual_mov_b32 v11, v0
	ds_store_b128 v69, v[8:11] offset:8448
; %bb.40:                               ;   in Loop: Header=BB110_11 Depth=3
	s_wait_alu 0xfffe
	s_and_not1_saveexec_b32 s6, s6
; %bb.41:                               ;   in Loop: Header=BB110_11 Depth=3
	v_dual_mov_b32 v2, v0 :: v_dual_mov_b32 v3, v0
	ds_store_b128 v69, v[0:3] offset:8448
; %bb.42:                               ;   in Loop: Header=BB110_11 Depth=3
	s_wait_alu 0xfffe
	s_or_b32 exec_lo, exec_lo, s6
.LBB110_43:                             ;   in Loop: Header=BB110_11 Depth=3
	s_wait_alu 0xfffe
	s_or_b32 exec_lo, exec_lo, s5
	v_add_co_u32 v2, s5, v18, s38
	s_wait_alu 0xf1ff
	v_add_co_ci_u32_e64 v3, null, s39, v19, s5
	s_delay_alu instid0(VALU_DEP_1)
	v_cmp_gt_i64_e64 s5, s[42:43], v[2:3]
	s_and_b32 s6, vcc_lo, s5
	s_wait_alu 0xfffe
	s_xor_b32 s6, s6, -1
	s_wait_alu 0xfffe
	s_and_saveexec_b32 s7, s6
	s_wait_alu 0xfffe
	s_xor_b32 s6, exec_lo, s7
; %bb.44:                               ;   in Loop: Header=BB110_11 Depth=3
	v_dual_mov_b32 v8, v0 :: v_dual_mov_b32 v9, v0
	v_dual_mov_b32 v10, v0 :: v_dual_mov_b32 v11, v0
	ds_store_b128 v70, v[8:11]
; %bb.45:                               ;   in Loop: Header=BB110_11 Depth=3
	s_wait_alu 0xfffe
	s_or_saveexec_b32 s7, s6
	v_add_co_u32 v8, s6, v42, v30
	s_wait_alu 0xf1ff
	v_add_co_ci_u32_e64 v9, null, v43, v31, s6
	s_wait_alu 0xfffe
	s_xor_b32 exec_lo, exec_lo, s7
	s_cbranch_execz .LBB110_47
; %bb.46:                               ;   in Loop: Header=BB110_11 Depth=3
	global_load_b128 v[10:13], v[8:9], off offset:-256
	s_wait_loadcnt 0x0
	ds_store_2addr_b64 v70, v[10:11], v[12:13] offset1:1
.LBB110_47:                             ;   in Loop: Header=BB110_11 Depth=3
	s_or_b32 exec_lo, exec_lo, s7
	v_cmp_gt_i64_e64 s6, s[48:49], v[2:3]
	s_and_b32 s7, vcc_lo, s6
	s_wait_alu 0xfffe
	s_xor_b32 s7, s7, -1
	s_wait_alu 0xfffe
	s_and_saveexec_b32 s8, s7
	s_wait_alu 0xfffe
	s_xor_b32 s7, exec_lo, s8
; %bb.48:                               ;   in Loop: Header=BB110_11 Depth=3
	v_dual_mov_b32 v8, v0 :: v_dual_mov_b32 v9, v0
	v_dual_mov_b32 v10, v0 :: v_dual_mov_b32 v11, v0
	ds_store_b128 v70, v[8:11] offset:256
                                        ; implicit-def: $vgpr8_vgpr9
; %bb.49:                               ;   in Loop: Header=BB110_11 Depth=3
	s_wait_alu 0xfffe
	s_and_not1_saveexec_b32 s7, s7
	s_cbranch_execz .LBB110_51
; %bb.50:                               ;   in Loop: Header=BB110_11 Depth=3
	global_load_b128 v[8:11], v[8:9], off
	s_wait_loadcnt 0x0
	ds_store_2addr_b64 v71, v[8:9], v[10:11] offset1:1
.LBB110_51:                             ;   in Loop: Header=BB110_11 Depth=3
	s_wait_alu 0xfffe
	s_or_b32 exec_lo, exec_lo, s7
	s_and_b32 s5, s4, s5
	s_wait_alu 0xfffe
	s_xor_b32 s5, s5, -1
	s_wait_alu 0xfffe
	s_and_saveexec_b32 s7, s5
	s_wait_alu 0xfffe
	s_xor_b32 s5, exec_lo, s7
; %bb.52:                               ;   in Loop: Header=BB110_11 Depth=3
	v_dual_mov_b32 v8, v0 :: v_dual_mov_b32 v9, v0
	v_dual_mov_b32 v10, v0 :: v_dual_mov_b32 v11, v0
	ds_store_b128 v70, v[8:11] offset:8192
; %bb.53:                               ;   in Loop: Header=BB110_11 Depth=3
	s_wait_alu 0xfffe
	s_or_saveexec_b32 s7, s5
	v_add_co_u32 v2, s5, v44, v30
	s_wait_alu 0xf1ff
	v_add_co_ci_u32_e64 v3, null, v45, v31, s5
	s_wait_alu 0xfffe
	s_xor_b32 exec_lo, exec_lo, s7
	s_cbranch_execz .LBB110_55
; %bb.54:                               ;   in Loop: Header=BB110_11 Depth=3
	global_load_b128 v[8:11], v[2:3], off offset:-256
	s_wait_loadcnt 0x0
	ds_store_2addr_b64 v72, v[8:9], v[10:11] offset1:1
.LBB110_55:                             ;   in Loop: Header=BB110_11 Depth=3
	s_or_b32 exec_lo, exec_lo, s7
	s_and_b32 s5, s4, s6
	s_wait_alu 0xfffe
	s_xor_b32 s5, s5, -1
	s_wait_alu 0xfffe
	s_and_saveexec_b32 s6, s5
	s_wait_alu 0xfffe
	s_xor_b32 s5, exec_lo, s6
; %bb.56:                               ;   in Loop: Header=BB110_11 Depth=3
	v_dual_mov_b32 v8, v0 :: v_dual_mov_b32 v9, v0
	v_dual_mov_b32 v10, v0 :: v_dual_mov_b32 v11, v0
                                        ; implicit-def: $vgpr2_vgpr3
	ds_store_b128 v70, v[8:11] offset:8448
; %bb.57:                               ;   in Loop: Header=BB110_11 Depth=3
	s_wait_alu 0xfffe
	s_and_not1_saveexec_b32 s5, s5
	s_cbranch_execz .LBB110_10
; %bb.58:                               ;   in Loop: Header=BB110_11 Depth=3
	global_load_b128 v[8:11], v[2:3], off
	s_wait_loadcnt 0x0
	ds_store_2addr_b64 v73, v[8:9], v[10:11] offset1:1
	s_branch .LBB110_10
.LBB110_59:                             ;   in Loop: Header=BB110_8 Depth=2
	v_mov_b32_e32 v54, 0
	v_mov_b32_e32 v50, 0
	;; [unrolled: 1-line block ×3, first 2 shown]
	v_dual_mov_b32 v64, 0 :: v_dual_mov_b32 v55, 0
	v_dual_mov_b32 v56, 0 :: v_dual_mov_b32 v51, 0
	;; [unrolled: 1-line block ×5, first 2 shown]
	v_mov_b32_e32 v53, 0
	v_mov_b32_e32 v61, 0
	;; [unrolled: 1-line block ×3, first 2 shown]
.LBB110_60:                             ;   in Loop: Header=BB110_8 Depth=2
	v_mul_lo_u32 v8, s29, v75
	v_mul_lo_u32 v9, s28, v76
	v_mad_co_u64_u32 v[2:3], null, s28, v75, 0
	v_cmp_gt_i32_e32 vcc_lo, s10, v75
	s_delay_alu instid0(VALU_DEP_2) | instskip(NEXT) | instid1(VALU_DEP_1)
	v_add3_u32 v3, v3, v9, v8
	v_lshlrev_b64_e32 v[2:3], 4, v[2:3]
	s_delay_alu instid0(VALU_DEP_1) | instskip(SKIP_1) | instid1(VALU_DEP_2)
	v_add_co_u32 v2, s4, s26, v2
	s_wait_alu 0xf1ff
	v_add_co_ci_u32_e64 v3, null, s27, v3, s4
	s_and_b32 s4, s1, vcc_lo
	s_wait_alu 0xfffe
	s_and_saveexec_b32 s5, s4
	s_cbranch_execz .LBB110_62
; %bb.61:                               ;   in Loop: Header=BB110_8 Depth=2
	v_add_co_u32 v12, s4, v2, v30
	s_wait_alu 0xf1ff
	v_add_co_ci_u32_e64 v13, null, v3, v31, s4
	v_mul_f64_e32 v[14:15], v[6:7], v[56:57]
	v_mul_f64_e32 v[41:42], v[4:5], v[56:57]
	global_load_b128 v[8:11], v[12:13], off
	v_fma_f64 v[14:15], v[4:5], v[54:55], -v[14:15]
	v_fma_f64 v[41:42], v[6:7], v[54:55], v[41:42]
	s_wait_loadcnt 0x0
	s_delay_alu instid0(VALU_DEP_2) | instskip(NEXT) | instid1(VALU_DEP_2)
	v_add_f64_e32 v[8:9], v[8:9], v[14:15]
	v_add_f64_e32 v[10:11], v[41:42], v[10:11]
	global_store_b128 v[12:13], v[8:11], off
.LBB110_62:                             ;   in Loop: Header=BB110_8 Depth=2
	s_wait_alu 0xfffe
	s_or_b32 exec_lo, exec_lo, s5
	s_and_b32 s5, s3, vcc_lo
	s_wait_alu 0xfffe
	s_and_saveexec_b32 s4, s5
	s_cbranch_execz .LBB110_64
; %bb.63:                               ;   in Loop: Header=BB110_8 Depth=2
	v_lshlrev_b64_e32 v[8:9], 4, v[20:21]
	v_mul_f64_e32 v[12:13], v[6:7], v[52:53]
	v_mul_f64_e32 v[14:15], v[4:5], v[52:53]
	s_delay_alu instid0(VALU_DEP_3) | instskip(SKIP_1) | instid1(VALU_DEP_4)
	v_add_co_u32 v2, vcc_lo, v2, v8
	s_wait_alu 0xfffd
	v_add_co_ci_u32_e64 v3, null, v3, v9, vcc_lo
	global_load_b128 v[8:11], v[2:3], off
	v_fma_f64 v[12:13], v[4:5], v[50:51], -v[12:13]
	v_fma_f64 v[14:15], v[6:7], v[50:51], v[14:15]
	s_wait_loadcnt 0x0
	s_delay_alu instid0(VALU_DEP_2) | instskip(NEXT) | instid1(VALU_DEP_2)
	v_add_f64_e32 v[8:9], v[8:9], v[12:13]
	v_add_f64_e32 v[10:11], v[14:15], v[10:11]
	global_store_b128 v[2:3], v[8:11], off
.LBB110_64:                             ;   in Loop: Header=BB110_8 Depth=2
	s_wait_alu 0xfffe
	s_or_b32 exec_lo, exec_lo, s4
	v_add_nc_u32_e32 v8, 16, v75
	s_delay_alu instid0(VALU_DEP_1) | instskip(SKIP_3) | instid1(VALU_DEP_4)
	v_ashrrev_i32_e32 v9, 31, v8
	v_mul_lo_u32 v10, s29, v8
	v_mad_co_u64_u32 v[2:3], null, s28, v8, 0
	v_cmp_gt_i32_e32 vcc_lo, s10, v8
	v_mul_lo_u32 v9, s28, v9
	s_delay_alu instid0(VALU_DEP_1) | instskip(NEXT) | instid1(VALU_DEP_1)
	v_add3_u32 v3, v3, v9, v10
	v_lshlrev_b64_e32 v[2:3], 4, v[2:3]
	s_delay_alu instid0(VALU_DEP_1) | instskip(SKIP_1) | instid1(VALU_DEP_2)
	v_add_co_u32 v2, s4, s26, v2
	s_wait_alu 0xf1ff
	v_add_co_ci_u32_e64 v3, null, s27, v3, s4
	s_and_b32 s4, s1, vcc_lo
	s_wait_alu 0xfffe
	s_and_saveexec_b32 s5, s4
	s_cbranch_execz .LBB110_66
; %bb.65:                               ;   in Loop: Header=BB110_8 Depth=2
	v_add_co_u32 v12, s4, v2, v30
	s_wait_alu 0xf1ff
	v_add_co_ci_u32_e64 v13, null, v3, v31, s4
	v_mul_f64_e32 v[14:15], v[6:7], v[60:61]
	v_mul_f64_e32 v[41:42], v[4:5], v[60:61]
	global_load_b128 v[8:11], v[12:13], off
	v_fma_f64 v[14:15], v[4:5], v[58:59], -v[14:15]
	v_fma_f64 v[41:42], v[6:7], v[58:59], v[41:42]
	s_wait_loadcnt 0x0
	s_delay_alu instid0(VALU_DEP_2) | instskip(NEXT) | instid1(VALU_DEP_2)
	v_add_f64_e32 v[8:9], v[8:9], v[14:15]
	v_add_f64_e32 v[10:11], v[41:42], v[10:11]
	global_store_b128 v[12:13], v[8:11], off
.LBB110_66:                             ;   in Loop: Header=BB110_8 Depth=2
	s_wait_alu 0xfffe
	s_or_b32 exec_lo, exec_lo, s5
	s_and_b32 s5, s3, vcc_lo
	s_wait_alu 0xfffe
	s_and_saveexec_b32 s4, s5
	s_cbranch_execz .LBB110_7
; %bb.67:                               ;   in Loop: Header=BB110_8 Depth=2
	v_lshlrev_b64_e32 v[8:9], 4, v[20:21]
	v_mul_f64_e32 v[12:13], v[6:7], v[62:63]
	v_mul_f64_e32 v[14:15], v[4:5], v[62:63]
	s_delay_alu instid0(VALU_DEP_3) | instskip(SKIP_1) | instid1(VALU_DEP_4)
	v_add_co_u32 v2, vcc_lo, v2, v8
	s_wait_alu 0xfffd
	v_add_co_ci_u32_e64 v3, null, v3, v9, vcc_lo
	global_load_b128 v[8:11], v[2:3], off
	v_fma_f64 v[12:13], v[4:5], v[64:65], -v[12:13]
	v_fma_f64 v[14:15], v[6:7], v[64:65], v[14:15]
	s_wait_loadcnt 0x0
	s_delay_alu instid0(VALU_DEP_2) | instskip(NEXT) | instid1(VALU_DEP_2)
	v_add_f64_e32 v[8:9], v[8:9], v[12:13]
	v_add_f64_e32 v[10:11], v[14:15], v[10:11]
	global_store_b128 v[2:3], v[8:11], off
	s_branch .LBB110_7
.LBB110_68:
	s_endpgm
	.section	.rodata,"a",@progbits
	.p2align	6, 0x0
	.amdhsa_kernel _ZL30rocblas_trmm_outofplace_kernelI19rocblas_complex_numIdELi32ELi2ELb1ELb1ELb0ELb0EPKS1_S2_S1_Ev17rocblas_diagonal_iiT6_lPT7_lllS7_lllPT8_llli
		.amdhsa_group_segment_fixed_size 32768
		.amdhsa_private_segment_fixed_size 0
		.amdhsa_kernarg_size 392
		.amdhsa_user_sgpr_count 2
		.amdhsa_user_sgpr_dispatch_ptr 0
		.amdhsa_user_sgpr_queue_ptr 0
		.amdhsa_user_sgpr_kernarg_segment_ptr 1
		.amdhsa_user_sgpr_dispatch_id 0
		.amdhsa_user_sgpr_private_segment_size 0
		.amdhsa_wavefront_size32 1
		.amdhsa_uses_dynamic_stack 0
		.amdhsa_enable_private_segment 0
		.amdhsa_system_sgpr_workgroup_id_x 1
		.amdhsa_system_sgpr_workgroup_id_y 1
		.amdhsa_system_sgpr_workgroup_id_z 1
		.amdhsa_system_sgpr_workgroup_info 0
		.amdhsa_system_vgpr_workitem_id 1
		.amdhsa_next_free_vgpr 93
		.amdhsa_next_free_sgpr 62
		.amdhsa_reserve_vcc 1
		.amdhsa_float_round_mode_32 0
		.amdhsa_float_round_mode_16_64 0
		.amdhsa_float_denorm_mode_32 3
		.amdhsa_float_denorm_mode_16_64 3
		.amdhsa_fp16_overflow 0
		.amdhsa_workgroup_processor_mode 1
		.amdhsa_memory_ordered 1
		.amdhsa_forward_progress 1
		.amdhsa_inst_pref_size 77
		.amdhsa_round_robin_scheduling 0
		.amdhsa_exception_fp_ieee_invalid_op 0
		.amdhsa_exception_fp_denorm_src 0
		.amdhsa_exception_fp_ieee_div_zero 0
		.amdhsa_exception_fp_ieee_overflow 0
		.amdhsa_exception_fp_ieee_underflow 0
		.amdhsa_exception_fp_ieee_inexact 0
		.amdhsa_exception_int_div_zero 0
	.end_amdhsa_kernel
	.section	.text._ZL30rocblas_trmm_outofplace_kernelI19rocblas_complex_numIdELi32ELi2ELb1ELb1ELb0ELb0EPKS1_S2_S1_Ev17rocblas_diagonal_iiT6_lPT7_lllS7_lllPT8_llli,"axG",@progbits,_ZL30rocblas_trmm_outofplace_kernelI19rocblas_complex_numIdELi32ELi2ELb1ELb1ELb0ELb0EPKS1_S2_S1_Ev17rocblas_diagonal_iiT6_lPT7_lllS7_lllPT8_llli,comdat
.Lfunc_end110:
	.size	_ZL30rocblas_trmm_outofplace_kernelI19rocblas_complex_numIdELi32ELi2ELb1ELb1ELb0ELb0EPKS1_S2_S1_Ev17rocblas_diagonal_iiT6_lPT7_lllS7_lllPT8_llli, .Lfunc_end110-_ZL30rocblas_trmm_outofplace_kernelI19rocblas_complex_numIdELi32ELi2ELb1ELb1ELb0ELb0EPKS1_S2_S1_Ev17rocblas_diagonal_iiT6_lPT7_lllS7_lllPT8_llli
                                        ; -- End function
	.set _ZL30rocblas_trmm_outofplace_kernelI19rocblas_complex_numIdELi32ELi2ELb1ELb1ELb0ELb0EPKS1_S2_S1_Ev17rocblas_diagonal_iiT6_lPT7_lllS7_lllPT8_llli.num_vgpr, 93
	.set _ZL30rocblas_trmm_outofplace_kernelI19rocblas_complex_numIdELi32ELi2ELb1ELb1ELb0ELb0EPKS1_S2_S1_Ev17rocblas_diagonal_iiT6_lPT7_lllS7_lllPT8_llli.num_agpr, 0
	.set _ZL30rocblas_trmm_outofplace_kernelI19rocblas_complex_numIdELi32ELi2ELb1ELb1ELb0ELb0EPKS1_S2_S1_Ev17rocblas_diagonal_iiT6_lPT7_lllS7_lllPT8_llli.numbered_sgpr, 62
	.set _ZL30rocblas_trmm_outofplace_kernelI19rocblas_complex_numIdELi32ELi2ELb1ELb1ELb0ELb0EPKS1_S2_S1_Ev17rocblas_diagonal_iiT6_lPT7_lllS7_lllPT8_llli.num_named_barrier, 0
	.set _ZL30rocblas_trmm_outofplace_kernelI19rocblas_complex_numIdELi32ELi2ELb1ELb1ELb0ELb0EPKS1_S2_S1_Ev17rocblas_diagonal_iiT6_lPT7_lllS7_lllPT8_llli.private_seg_size, 0
	.set _ZL30rocblas_trmm_outofplace_kernelI19rocblas_complex_numIdELi32ELi2ELb1ELb1ELb0ELb0EPKS1_S2_S1_Ev17rocblas_diagonal_iiT6_lPT7_lllS7_lllPT8_llli.uses_vcc, 1
	.set _ZL30rocblas_trmm_outofplace_kernelI19rocblas_complex_numIdELi32ELi2ELb1ELb1ELb0ELb0EPKS1_S2_S1_Ev17rocblas_diagonal_iiT6_lPT7_lllS7_lllPT8_llli.uses_flat_scratch, 0
	.set _ZL30rocblas_trmm_outofplace_kernelI19rocblas_complex_numIdELi32ELi2ELb1ELb1ELb0ELb0EPKS1_S2_S1_Ev17rocblas_diagonal_iiT6_lPT7_lllS7_lllPT8_llli.has_dyn_sized_stack, 0
	.set _ZL30rocblas_trmm_outofplace_kernelI19rocblas_complex_numIdELi32ELi2ELb1ELb1ELb0ELb0EPKS1_S2_S1_Ev17rocblas_diagonal_iiT6_lPT7_lllS7_lllPT8_llli.has_recursion, 0
	.set _ZL30rocblas_trmm_outofplace_kernelI19rocblas_complex_numIdELi32ELi2ELb1ELb1ELb0ELb0EPKS1_S2_S1_Ev17rocblas_diagonal_iiT6_lPT7_lllS7_lllPT8_llli.has_indirect_call, 0
	.section	.AMDGPU.csdata,"",@progbits
; Kernel info:
; codeLenInByte = 9752
; TotalNumSgprs: 64
; NumVgprs: 93
; ScratchSize: 0
; MemoryBound: 0
; FloatMode: 240
; IeeeMode: 1
; LDSByteSize: 32768 bytes/workgroup (compile time only)
; SGPRBlocks: 0
; VGPRBlocks: 11
; NumSGPRsForWavesPerEU: 64
; NumVGPRsForWavesPerEU: 93
; Occupancy: 16
; WaveLimiterHint : 0
; COMPUTE_PGM_RSRC2:SCRATCH_EN: 0
; COMPUTE_PGM_RSRC2:USER_SGPR: 2
; COMPUTE_PGM_RSRC2:TRAP_HANDLER: 0
; COMPUTE_PGM_RSRC2:TGID_X_EN: 1
; COMPUTE_PGM_RSRC2:TGID_Y_EN: 1
; COMPUTE_PGM_RSRC2:TGID_Z_EN: 1
; COMPUTE_PGM_RSRC2:TIDIG_COMP_CNT: 1
	.section	.text._ZL30rocblas_trmm_outofplace_kernelI19rocblas_complex_numIdELi32ELi2ELb1ELb1ELb0ELb0ES1_KS1_S1_Ev17rocblas_diagonal_iiT6_lPT7_lllS6_lllPT8_llli,"axG",@progbits,_ZL30rocblas_trmm_outofplace_kernelI19rocblas_complex_numIdELi32ELi2ELb1ELb1ELb0ELb0ES1_KS1_S1_Ev17rocblas_diagonal_iiT6_lPT7_lllS6_lllPT8_llli,comdat
	.globl	_ZL30rocblas_trmm_outofplace_kernelI19rocblas_complex_numIdELi32ELi2ELb1ELb1ELb0ELb0ES1_KS1_S1_Ev17rocblas_diagonal_iiT6_lPT7_lllS6_lllPT8_llli ; -- Begin function _ZL30rocblas_trmm_outofplace_kernelI19rocblas_complex_numIdELi32ELi2ELb1ELb1ELb0ELb0ES1_KS1_S1_Ev17rocblas_diagonal_iiT6_lPT7_lllS6_lllPT8_llli
	.p2align	8
	.type	_ZL30rocblas_trmm_outofplace_kernelI19rocblas_complex_numIdELi32ELi2ELb1ELb1ELb0ELb0ES1_KS1_S1_Ev17rocblas_diagonal_iiT6_lPT7_lllS6_lllPT8_llli,@function
_ZL30rocblas_trmm_outofplace_kernelI19rocblas_complex_numIdELi32ELi2ELb1ELb1ELb0ELb0ES1_KS1_S1_Ev17rocblas_diagonal_iiT6_lPT7_lllS6_lllPT8_llli: ; @_ZL30rocblas_trmm_outofplace_kernelI19rocblas_complex_numIdELi32ELi2ELb1ELb1ELb0ELb0ES1_KS1_S1_Ev17rocblas_diagonal_iiT6_lPT7_lllS6_lllPT8_llli
; %bb.0:
	s_load_b32 s33, s[0:1], 0x88
	s_lshr_b32 s34, ttmp7, 16
	s_wait_kmcnt 0x0
	s_cmp_ge_u32 s34, s33
	s_cbranch_scc1 .LBB111_67
; %bb.1:
	s_load_b128 s[28:31], s[0:1], 0x10
	s_wait_kmcnt 0x0
	v_cmp_eq_f64_e64 s2, s[28:29], 0
	v_cmp_eq_f64_e64 s3, s[30:31], 0
	s_and_b32 s2, s2, s3
	s_delay_alu instid0(SALU_CYCLE_1)
	s_and_b32 vcc_lo, exec_lo, s2
	s_cbranch_vccnz .LBB111_67
; %bb.2:
	s_clause 0x1
	s_load_b96 s[36:38], s[0:1], 0x0
	s_load_b512 s[4:19], s[0:1], 0x28
	s_add_nc_u64 s[40:41], s[0:1], 0x90
	s_load_b256 s[20:27], s[0:1], 0x68
	s_and_b32 s39, ttmp7, 0xffff
	v_bfe_u32 v58, v0, 10, 10
	v_and_b32_e32 v0, 0x3ff, v0
	s_mov_b32 s35, 0
	s_delay_alu instid0(VALU_DEP_2) | instskip(NEXT) | instid1(VALU_DEP_2)
	v_lshlrev_b32_e32 v1, 9, v58
	v_lshlrev_b32_e32 v59, 4, v0
	v_lshl_add_u32 v69, s39, 5, v58
	s_delay_alu instid0(VALU_DEP_3) | instskip(NEXT) | instid1(VALU_DEP_3)
	v_add_nc_u32_e32 v60, 0x4000, v1
	v_add_nc_u32_e32 v61, v59, v1
	s_delay_alu instid0(VALU_DEP_2)
	v_add_nc_u32_e32 v62, v60, v59
	s_wait_kmcnt 0x0
	s_add_co_i32 s0, s38, -1
	s_mov_b32 s42, s37
	s_ashr_i32 s1, s0, 31
	v_add_nc_u32_e32 v63, 0x100, v61
	s_lshr_b32 s1, s1, 27
	v_add_nc_u32_e32 v64, 0x2000, v61
	s_add_co_i32 s0, s0, s1
	v_add_nc_u32_e32 v65, 0x2100, v61
	s_ashr_i32 s50, s0, 5
	s_mov_b32 s51, s38
	s_cmp_le_i32 s39, s50
	s_cselect_b32 s52, -1, 0
	s_lshl_b32 s0, ttmp9, 5
	s_delay_alu instid0(SALU_CYCLE_1) | instskip(SKIP_2) | instid1(SALU_CYCLE_1)
	v_add_nc_u32_e32 v6, s0, v0
	v_add_nc_u32_e32 v4, s0, v58
	s_sub_co_i32 s53, s37, s0
	s_cmp_gt_i32 s53, 0
	s_delay_alu instid0(VALU_DEP_2) | instskip(NEXT) | instid1(VALU_DEP_2)
	v_ashrrev_i32_e32 v7, 31, v6
	v_ashrrev_i32_e32 v5, 31, v4
	v_add_co_u32 v10, vcc_lo, v6, 16
	v_mul_lo_u32 v19, s9, v4
	s_delay_alu instid0(VALU_DEP_4) | instskip(SKIP_4) | instid1(VALU_DEP_3)
	v_add_co_ci_u32_e64 v11, null, 0, v7, vcc_lo
	v_sub_co_u32 v12, vcc_lo, v6, v4
	v_lshlrev_b64_e32 v[0:1], 4, v[4:5]
	s_wait_alu 0xfffd
	v_sub_co_ci_u32_e64 v13, null, v7, v5, vcc_lo
	v_add_co_u32 v14, vcc_lo, v12, 16
	v_mul_lo_u32 v18, s8, v5
	s_wait_alu 0xfffd
	s_delay_alu instid0(VALU_DEP_3)
	v_add_co_ci_u32_e64 v15, null, 0, v13, vcc_lo
	v_add_co_u32 v16, vcc_lo, 0x100, v0
	s_wait_alu 0xfffd
	v_add_co_ci_u32_e64 v17, null, 0, v1, vcc_lo
	v_mad_co_u64_u32 v[0:1], null, s8, v4, 0
	s_cselect_b32 s54, -1, 0
	s_cmp_eq_u32 s36, 0x84
	v_mul_lo_u32 v20, s8, v17
	s_cselect_b32 s55, -1, 0
	s_lshl_b64 s[6:7], s[6:7], 4
	v_mul_lo_u32 v21, s9, v16
	v_add3_u32 v1, v1, v18, v19
	s_add_nc_u64 s[4:5], s[4:5], s[6:7]
	v_add_nc_u32_e32 v8, 16, v6
	v_mad_co_u64_u32 v[2:3], null, s8, v16, s[4:5]
	s_delay_alu instid0(VALU_DEP_3)
	v_lshlrev_b64_e32 v[0:1], 4, v[0:1]
	v_add_co_u32 v16, vcc_lo, v12, -16
	s_wait_alu 0xfffd
	v_add_co_ci_u32_e64 v17, null, -1, v13, vcc_lo
	s_ashr_i32 s43, s37, 31
	v_add3_u32 v3, v21, v3, v20
	v_add_co_u32 v0, vcc_lo, s4, v0
	s_wait_alu 0xfffd
	v_add_co_ci_u32_e64 v1, null, s5, v1, vcc_lo
	v_add_co_u32 v20, vcc_lo, 0x100, v2
	s_lshl_b64 s[2:3], s[22:23], 4
	s_wait_alu 0xfffd
	v_add_co_ci_u32_e64 v21, null, 0, v3, vcc_lo
	v_add_co_u32 v22, vcc_lo, 0x100, v0
	v_cmp_le_i64_e64 s1, s[42:43], v[10:11]
	s_lshl_b64 s[14:15], s[14:15], 4
	v_lshlrev_b64_e32 v[18:19], 4, v[6:7]
	v_cmp_le_i32_e64 s0, s37, v6
	s_add_nc_u64 s[20:21], s[20:21], s[2:3]
	v_cmp_gt_i32_e64 s2, s37, v6
	v_cmp_gt_i32_e64 s3, s37, v8
	v_ashrrev_i32_e32 v9, 31, v8
	s_wait_alu 0xfffd
	v_add_co_ci_u32_e64 v23, null, 0, v1, vcc_lo
	v_dual_mov_b32 v0, 0 :: v_dual_mov_b32 v1, 0x3ff00000
	v_add_nc_u32_e32 v66, 0x100, v62
	v_add_nc_u32_e32 v67, 0x2000, v62
	;; [unrolled: 1-line block ×3, first 2 shown]
	s_add_nc_u64 s[6:7], s[12:13], s[14:15]
	s_ashr_i32 s56, s38, 31
	s_lshl_b64 s[22:23], s[8:9], 9
	s_add_nc_u64 s[44:45], s[42:43], -16
	s_add_nc_u64 s[12:13], s[6:7], 0x100
	s_lshl_b64 s[14:15], s[18:19], 4
	s_lshl_b64 s[18:19], s[16:17], 4
	;; [unrolled: 1-line block ×3, first 2 shown]
	s_branch .LBB111_4
.LBB111_3:                              ;   in Loop: Header=BB111_4 Depth=1
	s_add_co_i32 s34, s34, 0x10000
	s_wait_alu 0xfffe
	s_cmp_ge_u32 s34, s33
	s_cbranch_scc1 .LBB111_67
.LBB111_4:                              ; =>This Loop Header: Depth=1
                                        ;     Child Loop BB111_7 Depth 2
                                        ;       Child Loop BB111_10 Depth 3
	s_and_not1_b32 vcc_lo, exec_lo, s52
	s_wait_alu 0xfffe
	s_cbranch_vccnz .LBB111_3
; %bb.5:                                ;   in Loop: Header=BB111_4 Depth=1
	s_load_b32 s9, s[40:41], 0x4
	v_mad_co_u64_u32 v[24:25], null, s10, s34, v[20:21]
	v_mad_co_u64_u32 v[26:27], null, s10, s34, v[22:23]
	s_mul_i32 s8, s11, s34
	s_mul_u64 s[6:7], s[26:27], s[34:35]
	v_mov_b32_e32 v28, v69
	s_mul_u64 s[4:5], s[14:15], s[34:35]
	s_wait_alu 0xfffe
	v_add_nc_u32_e32 v25, s8, v25
	s_lshl_b64 s[6:7], s[6:7], 4
	v_add_nc_u32_e32 v27, s8, v27
	s_add_nc_u64 s[36:37], s[12:13], s[4:5]
	s_wait_alu 0xfffe
	s_add_nc_u64 s[46:47], s[20:21], s[6:7]
	s_mov_b32 s58, s39
	s_wait_kmcnt 0x0
	s_lshl_b32 s57, s9, 5
	s_branch .LBB111_7
.LBB111_6:                              ;   in Loop: Header=BB111_7 Depth=2
	s_wait_alu 0xfffe
	s_or_b32 exec_lo, exec_lo, s4
	v_add_nc_u32_e32 v28, s57, v28
	s_add_co_i32 s58, s9, s58
	s_wait_alu 0xfffe
	s_cmp_gt_i32 s58, s50
	s_cbranch_scc1 .LBB111_3
.LBB111_7:                              ;   Parent Loop BB111_4 Depth=1
                                        ; =>  This Loop Header: Depth=2
                                        ;       Child Loop BB111_10 Depth 3
	s_wait_alu 0xfffe
	v_lshl_add_u32 v70, s58, 5, v58
	s_and_not1_b32 vcc_lo, exec_lo, s54
	s_delay_alu instid0(VALU_DEP_1)
	v_ashrrev_i32_e32 v71, 31, v70
	s_wait_alu 0xfffe
	s_cbranch_vccnz .LBB111_58
; %bb.8:                                ;   in Loop: Header=BB111_7 Depth=2
	v_ashrrev_i32_e32 v29, 31, v28
	v_mad_co_u64_u32 v[30:31], null, s18, v28, s[36:37]
	v_mul_lo_u32 v36, s19, v28
	v_mov_b32_e32 v52, 0
	s_delay_alu instid0(VALU_DEP_4)
	v_lshlrev_b64_e32 v[2:3], 4, v[28:29]
	v_mul_lo_u32 v29, s18, v29
	v_mov_b32_e32 v42, 0
	v_dual_mov_b32 v50, 0 :: v_dual_mov_b32 v35, v27
	v_dual_mov_b32 v53, 0 :: v_dual_mov_b32 v44, 0
	v_add_co_u32 v32, vcc_lo, 0x100, v2
	s_wait_alu 0xfffd
	v_add_co_ci_u32_e64 v33, null, 0, v3, vcc_lo
	v_sub_co_u32 v2, vcc_lo, s51, v70
	s_delay_alu instid0(VALU_DEP_3) | instskip(NEXT) | instid1(VALU_DEP_3)
	v_mul_lo_u32 v38, s17, v32
	v_mul_lo_u32 v37, s16, v33
	v_mad_co_u64_u32 v[32:33], null, s16, v32, s[36:37]
	s_wait_alu 0xfffd
	v_sub_co_ci_u32_e64 v3, null, s56, v71, vcc_lo
	v_add3_u32 v31, v36, v31, v29
	v_dual_mov_b32 v43, 0 :: v_dual_mov_b32 v40, 0
	s_delay_alu instid0(VALU_DEP_3)
	v_cmp_lt_i64_e64 s4, 16, v[2:3]
	v_add3_u32 v33, v38, v33, v37
	v_mov_b32_e32 v38, 0
	v_dual_mov_b32 v39, 0 :: v_dual_mov_b32 v48, 0
	v_dual_mov_b32 v46, 0 :: v_dual_mov_b32 v37, v25
	;; [unrolled: 1-line block ×3, first 2 shown]
	v_mov_b32_e32 v45, 0
	v_mov_b32_e32 v41, 0
	v_mov_b32_e32 v49, 0
	v_dual_mov_b32 v47, 0 :: v_dual_mov_b32 v36, v24
	s_mov_b64 s[48:49], 0
	v_cmp_lt_i64_e32 vcc_lo, 0, v[2:3]
	s_branch .LBB111_10
.LBB111_9:                              ;   in Loop: Header=BB111_10 Depth=3
	s_wait_alu 0xfffe
	s_or_b32 exec_lo, exec_lo, s5
	s_wait_dscnt 0x0
	s_barrier_signal -1
	s_barrier_wait -1
	global_inv scope:SCOPE_SE
	ds_load_b128 v[54:57], v60
	ds_load_b128 v[72:75], v60 offset:16
	ds_load_b128 v[76:79], v60 offset:32
	;; [unrolled: 1-line block ×3, first 2 shown]
	ds_load_b128 v[84:87], v59
	v_add_co_u32 v30, s5, 0x200, v30
	s_wait_alu 0xf1ff
	v_add_co_ci_u32_e64 v31, null, 0, v31, s5
	v_add_co_u32 v32, s5, 0x200, v32
	s_wait_alu 0xf1ff
	v_add_co_ci_u32_e64 v33, null, 0, v33, s5
	v_add_co_u32 v36, s5, v36, s22
	s_wait_alu 0xf1ff
	v_add_co_ci_u32_e64 v37, null, s23, v37, s5
	v_add_co_u32 v34, s5, v34, s22
	s_wait_alu 0xf1ff
	v_add_co_ci_u32_e64 v35, null, s23, v35, s5
	s_add_nc_u64 s[48:49], s[48:49], 32
	s_wait_alu 0xfffe
	s_cmp_ge_i32 s48, s53
	s_wait_dscnt 0x0
	v_mul_f64_e32 v[2:3], v[56:57], v[86:87]
	v_mul_f64_e32 v[88:89], v[54:55], v[86:87]
	s_delay_alu instid0(VALU_DEP_2) | instskip(NEXT) | instid1(VALU_DEP_2)
	v_fma_f64 v[2:3], v[54:55], v[84:85], -v[2:3]
	v_fma_f64 v[88:89], v[56:57], v[84:85], v[88:89]
	s_delay_alu instid0(VALU_DEP_2) | instskip(NEXT) | instid1(VALU_DEP_2)
	v_add_f64_e32 v[2:3], v[46:47], v[2:3]
	v_add_f64_e32 v[88:89], v[88:89], v[48:49]
	ds_load_b128 v[46:49], v59 offset:256
	s_wait_dscnt 0x0
	v_mul_f64_e32 v[90:91], v[56:57], v[48:49]
	s_delay_alu instid0(VALU_DEP_1) | instskip(SKIP_1) | instid1(VALU_DEP_1)
	v_fma_f64 v[90:91], v[54:55], v[46:47], -v[90:91]
	v_mul_f64_e32 v[54:55], v[54:55], v[48:49]
	v_fma_f64 v[54:55], v[56:57], v[46:47], v[54:55]
	s_delay_alu instid0(VALU_DEP_3) | instskip(NEXT) | instid1(VALU_DEP_2)
	v_add_f64_e32 v[56:57], v[38:39], v[90:91]
	v_add_f64_e32 v[54:55], v[54:55], v[40:41]
	ds_load_b128 v[38:41], v60 offset:8192
	s_wait_dscnt 0x0
	v_mul_f64_e32 v[90:91], v[40:41], v[86:87]
	v_mul_f64_e32 v[86:87], v[38:39], v[86:87]
	s_delay_alu instid0(VALU_DEP_2) | instskip(NEXT) | instid1(VALU_DEP_2)
	v_fma_f64 v[90:91], v[38:39], v[84:85], -v[90:91]
	v_fma_f64 v[84:85], v[40:41], v[84:85], v[86:87]
	s_delay_alu instid0(VALU_DEP_2) | instskip(SKIP_1) | instid1(VALU_DEP_3)
	v_add_f64_e32 v[86:87], v[42:43], v[90:91]
	v_mul_f64_e32 v[42:43], v[40:41], v[48:49]
	v_add_f64_e32 v[84:85], v[84:85], v[44:45]
	s_delay_alu instid0(VALU_DEP_2) | instskip(SKIP_1) | instid1(VALU_DEP_2)
	v_fma_f64 v[42:43], v[38:39], v[46:47], -v[42:43]
	v_mul_f64_e32 v[38:39], v[38:39], v[48:49]
	v_add_f64_e32 v[52:53], v[52:53], v[42:43]
	s_delay_alu instid0(VALU_DEP_2) | instskip(NEXT) | instid1(VALU_DEP_1)
	v_fma_f64 v[38:39], v[40:41], v[46:47], v[38:39]
	v_add_f64_e32 v[50:51], v[38:39], v[50:51]
	ds_load_b128 v[38:41], v59 offset:512
	s_wait_dscnt 0x0
	v_mul_f64_e32 v[42:43], v[74:75], v[40:41]
	v_mul_f64_e32 v[44:45], v[72:73], v[40:41]
	s_delay_alu instid0(VALU_DEP_2) | instskip(NEXT) | instid1(VALU_DEP_2)
	v_fma_f64 v[42:43], v[72:73], v[38:39], -v[42:43]
	v_fma_f64 v[44:45], v[74:75], v[38:39], v[44:45]
	s_delay_alu instid0(VALU_DEP_2) | instskip(NEXT) | instid1(VALU_DEP_2)
	v_add_f64_e32 v[2:3], v[2:3], v[42:43]
	v_add_f64_e32 v[88:89], v[44:45], v[88:89]
	ds_load_b128 v[42:45], v59 offset:768
	s_wait_dscnt 0x0
	v_mul_f64_e32 v[46:47], v[74:75], v[44:45]
	v_mul_f64_e32 v[48:49], v[72:73], v[44:45]
	s_delay_alu instid0(VALU_DEP_2) | instskip(NEXT) | instid1(VALU_DEP_2)
	v_fma_f64 v[46:47], v[72:73], v[42:43], -v[46:47]
	v_fma_f64 v[48:49], v[74:75], v[42:43], v[48:49]
	s_delay_alu instid0(VALU_DEP_2) | instskip(NEXT) | instid1(VALU_DEP_2)
	v_add_f64_e32 v[56:57], v[56:57], v[46:47]
	v_add_f64_e32 v[54:55], v[48:49], v[54:55]
	ds_load_b128 v[46:49], v60 offset:8208
	s_wait_dscnt 0x0
	v_mul_f64_e32 v[72:73], v[48:49], v[40:41]
	v_mul_f64_e32 v[40:41], v[46:47], v[40:41]
	s_delay_alu instid0(VALU_DEP_2) | instskip(NEXT) | instid1(VALU_DEP_2)
	v_fma_f64 v[72:73], v[46:47], v[38:39], -v[72:73]
	v_fma_f64 v[38:39], v[48:49], v[38:39], v[40:41]
	v_mul_f64_e32 v[40:41], v[46:47], v[44:45]
	s_delay_alu instid0(VALU_DEP_3) | instskip(NEXT) | instid1(VALU_DEP_3)
	v_add_f64_e32 v[72:73], v[86:87], v[72:73]
	v_add_f64_e32 v[74:75], v[38:39], v[84:85]
	v_mul_f64_e32 v[38:39], v[48:49], v[44:45]
	s_delay_alu instid0(VALU_DEP_4) | instskip(NEXT) | instid1(VALU_DEP_2)
	v_fma_f64 v[40:41], v[48:49], v[42:43], v[40:41]
	v_fma_f64 v[38:39], v[46:47], v[42:43], -v[38:39]
	s_delay_alu instid0(VALU_DEP_2) | instskip(NEXT) | instid1(VALU_DEP_2)
	v_add_f64_e32 v[50:51], v[40:41], v[50:51]
	v_add_f64_e32 v[52:53], v[52:53], v[38:39]
	ds_load_b128 v[38:41], v59 offset:1024
	s_wait_dscnt 0x0
	v_mul_f64_e32 v[42:43], v[78:79], v[40:41]
	v_mul_f64_e32 v[44:45], v[76:77], v[40:41]
	s_delay_alu instid0(VALU_DEP_2) | instskip(NEXT) | instid1(VALU_DEP_2)
	v_fma_f64 v[42:43], v[76:77], v[38:39], -v[42:43]
	v_fma_f64 v[44:45], v[78:79], v[38:39], v[44:45]
	s_delay_alu instid0(VALU_DEP_2) | instskip(NEXT) | instid1(VALU_DEP_2)
	v_add_f64_e32 v[2:3], v[2:3], v[42:43]
	v_add_f64_e32 v[84:85], v[44:45], v[88:89]
	ds_load_b128 v[42:45], v59 offset:1280
	s_wait_dscnt 0x0
	v_mul_f64_e32 v[46:47], v[78:79], v[44:45]
	v_mul_f64_e32 v[48:49], v[76:77], v[44:45]
	s_delay_alu instid0(VALU_DEP_2) | instskip(NEXT) | instid1(VALU_DEP_2)
	v_fma_f64 v[46:47], v[76:77], v[42:43], -v[46:47]
	v_fma_f64 v[48:49], v[78:79], v[42:43], v[48:49]
	s_delay_alu instid0(VALU_DEP_2) | instskip(NEXT) | instid1(VALU_DEP_2)
	v_add_f64_e32 v[56:57], v[56:57], v[46:47]
	v_add_f64_e32 v[54:55], v[48:49], v[54:55]
	ds_load_b128 v[46:49], v60 offset:8224
	s_wait_dscnt 0x0
	v_mul_f64_e32 v[76:77], v[48:49], v[40:41]
	v_mul_f64_e32 v[40:41], v[46:47], v[40:41]
	s_delay_alu instid0(VALU_DEP_2) | instskip(NEXT) | instid1(VALU_DEP_2)
	v_fma_f64 v[76:77], v[46:47], v[38:39], -v[76:77]
	v_fma_f64 v[38:39], v[48:49], v[38:39], v[40:41]
	v_mul_f64_e32 v[40:41], v[46:47], v[44:45]
	s_delay_alu instid0(VALU_DEP_3) | instskip(NEXT) | instid1(VALU_DEP_3)
	v_add_f64_e32 v[72:73], v[72:73], v[76:77]
	v_add_f64_e32 v[74:75], v[38:39], v[74:75]
	v_mul_f64_e32 v[38:39], v[48:49], v[44:45]
	s_delay_alu instid0(VALU_DEP_4) | instskip(NEXT) | instid1(VALU_DEP_2)
	v_fma_f64 v[40:41], v[48:49], v[42:43], v[40:41]
	v_fma_f64 v[38:39], v[46:47], v[42:43], -v[38:39]
	s_delay_alu instid0(VALU_DEP_2) | instskip(NEXT) | instid1(VALU_DEP_2)
	v_add_f64_e32 v[50:51], v[40:41], v[50:51]
	;; [unrolled: 38-line block ×3, first 2 shown]
	v_add_f64_e32 v[52:53], v[52:53], v[38:39]
	ds_load_b128 v[38:41], v60 offset:64
	ds_load_b128 v[42:45], v59 offset:2048
	s_wait_dscnt 0x0
	v_mul_f64_e32 v[46:47], v[40:41], v[44:45]
	v_mul_f64_e32 v[48:49], v[38:39], v[44:45]
	s_delay_alu instid0(VALU_DEP_2) | instskip(NEXT) | instid1(VALU_DEP_2)
	v_fma_f64 v[46:47], v[38:39], v[42:43], -v[46:47]
	v_fma_f64 v[48:49], v[40:41], v[42:43], v[48:49]
	s_delay_alu instid0(VALU_DEP_2) | instskip(NEXT) | instid1(VALU_DEP_2)
	v_add_f64_e32 v[2:3], v[2:3], v[46:47]
	v_add_f64_e32 v[76:77], v[48:49], v[76:77]
	ds_load_b128 v[46:49], v59 offset:2304
	s_wait_dscnt 0x0
	v_mul_f64_e32 v[78:79], v[40:41], v[48:49]
	s_delay_alu instid0(VALU_DEP_1) | instskip(SKIP_1) | instid1(VALU_DEP_2)
	v_fma_f64 v[78:79], v[38:39], v[46:47], -v[78:79]
	v_mul_f64_e32 v[38:39], v[38:39], v[48:49]
	v_add_f64_e32 v[56:57], v[56:57], v[78:79]
	s_delay_alu instid0(VALU_DEP_2) | instskip(NEXT) | instid1(VALU_DEP_1)
	v_fma_f64 v[38:39], v[40:41], v[46:47], v[38:39]
	v_add_f64_e32 v[54:55], v[38:39], v[54:55]
	ds_load_b128 v[38:41], v60 offset:8256
	s_wait_dscnt 0x0
	v_mul_f64_e32 v[78:79], v[40:41], v[44:45]
	v_mul_f64_e32 v[44:45], v[38:39], v[44:45]
	s_delay_alu instid0(VALU_DEP_2) | instskip(NEXT) | instid1(VALU_DEP_2)
	v_fma_f64 v[78:79], v[38:39], v[42:43], -v[78:79]
	v_fma_f64 v[42:43], v[40:41], v[42:43], v[44:45]
	s_delay_alu instid0(VALU_DEP_2) | instskip(NEXT) | instid1(VALU_DEP_2)
	v_add_f64_e32 v[72:73], v[72:73], v[78:79]
	v_add_f64_e32 v[74:75], v[42:43], v[74:75]
	v_mul_f64_e32 v[42:43], v[40:41], v[48:49]
	s_delay_alu instid0(VALU_DEP_1) | instskip(SKIP_1) | instid1(VALU_DEP_2)
	v_fma_f64 v[42:43], v[38:39], v[46:47], -v[42:43]
	v_mul_f64_e32 v[38:39], v[38:39], v[48:49]
	v_add_f64_e32 v[52:53], v[52:53], v[42:43]
	s_delay_alu instid0(VALU_DEP_2) | instskip(NEXT) | instid1(VALU_DEP_1)
	v_fma_f64 v[38:39], v[40:41], v[46:47], v[38:39]
	v_add_f64_e32 v[50:51], v[38:39], v[50:51]
	ds_load_b128 v[38:41], v60 offset:80
	ds_load_b128 v[42:45], v59 offset:2560
	s_wait_dscnt 0x0
	v_mul_f64_e32 v[46:47], v[40:41], v[44:45]
	v_mul_f64_e32 v[48:49], v[38:39], v[44:45]
	s_delay_alu instid0(VALU_DEP_2) | instskip(NEXT) | instid1(VALU_DEP_2)
	v_fma_f64 v[46:47], v[38:39], v[42:43], -v[46:47]
	v_fma_f64 v[48:49], v[40:41], v[42:43], v[48:49]
	s_delay_alu instid0(VALU_DEP_2) | instskip(NEXT) | instid1(VALU_DEP_2)
	v_add_f64_e32 v[2:3], v[2:3], v[46:47]
	v_add_f64_e32 v[76:77], v[48:49], v[76:77]
	ds_load_b128 v[46:49], v59 offset:2816
	s_wait_dscnt 0x0
	v_mul_f64_e32 v[78:79], v[40:41], v[48:49]
	s_delay_alu instid0(VALU_DEP_1) | instskip(SKIP_1) | instid1(VALU_DEP_2)
	v_fma_f64 v[78:79], v[38:39], v[46:47], -v[78:79]
	v_mul_f64_e32 v[38:39], v[38:39], v[48:49]
	v_add_f64_e32 v[56:57], v[56:57], v[78:79]
	s_delay_alu instid0(VALU_DEP_2) | instskip(NEXT) | instid1(VALU_DEP_1)
	v_fma_f64 v[38:39], v[40:41], v[46:47], v[38:39]
	v_add_f64_e32 v[54:55], v[38:39], v[54:55]
	ds_load_b128 v[38:41], v60 offset:8272
	s_wait_dscnt 0x0
	v_mul_f64_e32 v[78:79], v[40:41], v[44:45]
	v_mul_f64_e32 v[44:45], v[38:39], v[44:45]
	s_delay_alu instid0(VALU_DEP_2) | instskip(NEXT) | instid1(VALU_DEP_2)
	v_fma_f64 v[78:79], v[38:39], v[42:43], -v[78:79]
	v_fma_f64 v[42:43], v[40:41], v[42:43], v[44:45]
	s_delay_alu instid0(VALU_DEP_2) | instskip(NEXT) | instid1(VALU_DEP_2)
	v_add_f64_e32 v[72:73], v[72:73], v[78:79]
	v_add_f64_e32 v[74:75], v[42:43], v[74:75]
	v_mul_f64_e32 v[42:43], v[40:41], v[48:49]
	s_delay_alu instid0(VALU_DEP_1) | instskip(SKIP_1) | instid1(VALU_DEP_2)
	v_fma_f64 v[42:43], v[38:39], v[46:47], -v[42:43]
	v_mul_f64_e32 v[38:39], v[38:39], v[48:49]
	v_add_f64_e32 v[52:53], v[52:53], v[42:43]
	s_delay_alu instid0(VALU_DEP_2) | instskip(NEXT) | instid1(VALU_DEP_1)
	v_fma_f64 v[38:39], v[40:41], v[46:47], v[38:39]
	;; [unrolled: 39-line block ×26, first 2 shown]
	v_add_f64_e32 v[50:51], v[38:39], v[50:51]
	ds_load_b128 v[38:41], v60 offset:480
	ds_load_b128 v[42:45], v59 offset:15360
	s_wait_dscnt 0x0
	v_mul_f64_e32 v[46:47], v[40:41], v[44:45]
	v_mul_f64_e32 v[48:49], v[38:39], v[44:45]
	s_delay_alu instid0(VALU_DEP_2) | instskip(NEXT) | instid1(VALU_DEP_2)
	v_fma_f64 v[46:47], v[38:39], v[42:43], -v[46:47]
	v_fma_f64 v[48:49], v[40:41], v[42:43], v[48:49]
	s_delay_alu instid0(VALU_DEP_2) | instskip(NEXT) | instid1(VALU_DEP_2)
	v_add_f64_e32 v[78:79], v[2:3], v[46:47]
	v_add_f64_e32 v[76:77], v[48:49], v[76:77]
	ds_load_b128 v[46:49], v59 offset:15616
	s_wait_dscnt 0x0
	v_mul_f64_e32 v[2:3], v[40:41], v[48:49]
	s_delay_alu instid0(VALU_DEP_1) | instskip(SKIP_1) | instid1(VALU_DEP_2)
	v_fma_f64 v[2:3], v[38:39], v[46:47], -v[2:3]
	v_mul_f64_e32 v[38:39], v[38:39], v[48:49]
	v_add_f64_e32 v[56:57], v[56:57], v[2:3]
	s_delay_alu instid0(VALU_DEP_2) | instskip(NEXT) | instid1(VALU_DEP_1)
	v_fma_f64 v[38:39], v[40:41], v[46:47], v[38:39]
	v_add_f64_e32 v[80:81], v[38:39], v[54:55]
	ds_load_b128 v[38:41], v60 offset:8672
	s_wait_dscnt 0x0
	v_mul_f64_e32 v[2:3], v[40:41], v[44:45]
	v_mul_f64_e32 v[44:45], v[38:39], v[44:45]
	s_delay_alu instid0(VALU_DEP_2) | instskip(NEXT) | instid1(VALU_DEP_2)
	v_fma_f64 v[2:3], v[38:39], v[42:43], -v[2:3]
	v_fma_f64 v[42:43], v[40:41], v[42:43], v[44:45]
	s_delay_alu instid0(VALU_DEP_2) | instskip(SKIP_1) | instid1(VALU_DEP_3)
	v_add_f64_e32 v[82:83], v[72:73], v[2:3]
	v_mul_f64_e32 v[2:3], v[40:41], v[48:49]
	v_add_f64_e32 v[84:85], v[42:43], v[74:75]
	s_delay_alu instid0(VALU_DEP_2) | instskip(SKIP_1) | instid1(VALU_DEP_2)
	v_fma_f64 v[2:3], v[38:39], v[46:47], -v[2:3]
	v_mul_f64_e32 v[38:39], v[38:39], v[48:49]
	v_add_f64_e32 v[2:3], v[52:53], v[2:3]
	s_delay_alu instid0(VALU_DEP_2) | instskip(NEXT) | instid1(VALU_DEP_1)
	v_fma_f64 v[38:39], v[40:41], v[46:47], v[38:39]
	v_add_f64_e32 v[50:51], v[38:39], v[50:51]
	ds_load_b128 v[38:41], v60 offset:496
	ds_load_b128 v[42:45], v59 offset:15872
	;; [unrolled: 1-line block ×3, first 2 shown]
	s_wait_dscnt 0x1
	v_mul_f64_e32 v[46:47], v[40:41], v[44:45]
	s_wait_dscnt 0x0
	v_mul_f64_e32 v[72:73], v[40:41], v[54:55]
	v_mul_f64_e32 v[48:49], v[38:39], v[44:45]
	s_delay_alu instid0(VALU_DEP_3) | instskip(NEXT) | instid1(VALU_DEP_3)
	v_fma_f64 v[46:47], v[38:39], v[42:43], -v[46:47]
	v_fma_f64 v[72:73], v[38:39], v[52:53], -v[72:73]
	v_mul_f64_e32 v[38:39], v[38:39], v[54:55]
	s_delay_alu instid0(VALU_DEP_4) | instskip(NEXT) | instid1(VALU_DEP_4)
	v_fma_f64 v[48:49], v[40:41], v[42:43], v[48:49]
	v_add_f64_e32 v[46:47], v[78:79], v[46:47]
	s_delay_alu instid0(VALU_DEP_3)
	v_fma_f64 v[40:41], v[40:41], v[52:53], v[38:39]
	v_add_f64_e32 v[38:39], v[56:57], v[72:73]
	ds_load_b128 v[72:75], v60 offset:8688
	v_add_f64_e32 v[48:49], v[48:49], v[76:77]
	s_wait_loadcnt_dscnt 0x0
	s_barrier_signal -1
	s_barrier_wait -1
	global_inv scope:SCOPE_SE
	v_mul_f64_e32 v[56:57], v[74:75], v[44:45]
	v_mul_f64_e32 v[44:45], v[72:73], v[44:45]
	v_add_f64_e32 v[40:41], v[40:41], v[80:81]
	s_delay_alu instid0(VALU_DEP_3) | instskip(NEXT) | instid1(VALU_DEP_3)
	v_fma_f64 v[56:57], v[72:73], v[42:43], -v[56:57]
	v_fma_f64 v[44:45], v[74:75], v[42:43], v[44:45]
	s_delay_alu instid0(VALU_DEP_2) | instskip(SKIP_2) | instid1(VALU_DEP_4)
	v_add_f64_e32 v[42:43], v[82:83], v[56:57]
	v_mul_f64_e32 v[56:57], v[74:75], v[54:55]
	v_mul_f64_e32 v[54:55], v[72:73], v[54:55]
	v_add_f64_e32 v[44:45], v[44:45], v[84:85]
	s_delay_alu instid0(VALU_DEP_3) | instskip(NEXT) | instid1(VALU_DEP_3)
	v_fma_f64 v[56:57], v[72:73], v[52:53], -v[56:57]
	v_fma_f64 v[54:55], v[74:75], v[52:53], v[54:55]
	s_delay_alu instid0(VALU_DEP_2) | instskip(NEXT) | instid1(VALU_DEP_2)
	v_add_f64_e32 v[52:53], v[2:3], v[56:57]
	v_add_f64_e32 v[50:51], v[54:55], v[50:51]
	s_cbranch_scc1 .LBB111_59
.LBB111_10:                             ;   Parent Loop BB111_4 Depth=1
                                        ;     Parent Loop BB111_7 Depth=2
                                        ; =>    This Inner Loop Header: Depth=3
	s_wait_alu 0xfffe
	v_add_co_u32 v54, s5, v4, s48
	s_wait_alu 0xf1ff
	v_add_co_ci_u32_e64 v55, null, s49, v5, s5
	v_cmp_eq_u64_e64 s7, s[48:49], v[12:13]
	s_delay_alu instid0(VALU_DEP_2)
	v_cmp_le_i64_e64 s6, s[42:43], v[54:55]
	v_cmp_lt_i64_e64 s5, v[54:55], v[6:7]
	s_and_b32 s60, s55, s7
	v_add_co_u32 v56, s7, v34, v18
	s_wait_alu 0xf1ff
	v_add_co_ci_u32_e64 v57, null, v35, v19, s7
	s_or_b32 s8, s6, s5
	s_wait_alu 0xfffe
	s_or_b32 s7, s8, s60
	s_wait_alu 0xfffe
	s_nor_b32 s7, s0, s7
	s_wait_alu 0xfffe
	s_and_saveexec_b32 s8, s7
	s_wait_alu 0xfffe
	s_xor_b32 s7, exec_lo, s8
	s_cbranch_execz .LBB111_12
; %bb.11:                               ;   in Loop: Header=BB111_10 Depth=3
	global_load_b128 v[72:75], v[56:57], off offset:-256
	s_wait_loadcnt 0x0
	ds_store_2addr_b64 v61, v[72:73], v[74:75] offset1:1
.LBB111_12:                             ;   in Loop: Header=BB111_10 Depth=3
	s_wait_alu 0xfffe
	s_or_saveexec_b32 s7, s7
	s_xor_b32 s59, s60, -1
	s_wait_alu 0xfffe
	s_xor_b32 exec_lo, exec_lo, s7
	s_cbranch_execz .LBB111_18
; %bb.13:                               ;   in Loop: Header=BB111_10 Depth=3
	s_and_saveexec_b32 s8, s59
	s_wait_alu 0xfffe
	s_xor_b32 s8, exec_lo, s8
; %bb.14:                               ;   in Loop: Header=BB111_10 Depth=3
	v_dual_mov_b32 v72, v0 :: v_dual_mov_b32 v73, v0
	v_dual_mov_b32 v74, v0 :: v_dual_mov_b32 v75, v0
	ds_store_b128 v61, v[72:75]
; %bb.15:                               ;   in Loop: Header=BB111_10 Depth=3
	s_wait_alu 0xfffe
	s_and_not1_saveexec_b32 s8, s8
; %bb.16:                               ;   in Loop: Header=BB111_10 Depth=3
	v_dual_mov_b32 v2, v0 :: v_dual_mov_b32 v3, v0
	ds_store_b128 v61, v[0:3]
; %bb.17:                               ;   in Loop: Header=BB111_10 Depth=3
	s_wait_alu 0xfffe
	s_or_b32 exec_lo, exec_lo, s8
.LBB111_18:                             ;   in Loop: Header=BB111_10 Depth=3
	s_delay_alu instid0(SALU_CYCLE_1)
	s_or_b32 exec_lo, exec_lo, s7
	v_cmp_eq_u64_e64 s7, s[48:49], v[14:15]
	v_cmp_gt_i64_e64 s8, v[10:11], v[54:55]
	s_and_b32 s7, s55, s7
	s_or_b32 s6, s6, s8
	s_wait_alu 0xfffe
	s_or_b32 s6, s6, s7
	s_wait_alu 0xfffe
	s_nor_b32 s6, s1, s6
	s_wait_alu 0xfffe
	s_and_saveexec_b32 s8, s6
	s_wait_alu 0xfffe
	s_xor_b32 s6, exec_lo, s8
	s_cbranch_execz .LBB111_20
; %bb.19:                               ;   in Loop: Header=BB111_10 Depth=3
	global_load_b128 v[72:75], v[56:57], off
	s_wait_loadcnt 0x0
	ds_store_2addr_b64 v63, v[72:73], v[74:75] offset1:1
.LBB111_20:                             ;   in Loop: Header=BB111_10 Depth=3
	s_wait_alu 0xfffe
	s_and_not1_saveexec_b32 s6, s6
	s_cbranch_execz .LBB111_26
; %bb.21:                               ;   in Loop: Header=BB111_10 Depth=3
	s_xor_b32 s7, s7, -1
	s_wait_alu 0xfffe
	s_and_saveexec_b32 s8, s7
	s_wait_alu 0xfffe
	s_xor_b32 s7, exec_lo, s8
; %bb.22:                               ;   in Loop: Header=BB111_10 Depth=3
	v_dual_mov_b32 v72, v0 :: v_dual_mov_b32 v73, v0
	v_dual_mov_b32 v74, v0 :: v_dual_mov_b32 v75, v0
	ds_store_b128 v61, v[72:75] offset:256
; %bb.23:                               ;   in Loop: Header=BB111_10 Depth=3
	s_wait_alu 0xfffe
	s_and_not1_saveexec_b32 s7, s7
; %bb.24:                               ;   in Loop: Header=BB111_10 Depth=3
	v_dual_mov_b32 v2, v0 :: v_dual_mov_b32 v3, v0
	ds_store_b128 v61, v[0:3] offset:256
; %bb.25:                               ;   in Loop: Header=BB111_10 Depth=3
	s_wait_alu 0xfffe
	s_or_b32 exec_lo, exec_lo, s7
.LBB111_26:                             ;   in Loop: Header=BB111_10 Depth=3
	s_wait_alu 0xfffe
	s_or_b32 exec_lo, exec_lo, s6
	v_add_co_u32 v2, s6, v54, 16
	s_wait_alu 0xf1ff
	v_add_co_ci_u32_e64 v3, null, 0, v55, s6
	v_cmp_eq_u64_e64 s7, s[48:49], v[16:17]
	s_delay_alu instid0(VALU_DEP_2)
	v_cmp_le_i64_e64 s6, s[42:43], v[2:3]
	v_cmp_lt_i64_e64 s8, v[2:3], v[6:7]
	s_and_b32 s61, s55, s7
	v_add_co_u32 v54, s7, v36, v18
	s_wait_alu 0xf1ff
	v_add_co_ci_u32_e64 v55, null, v37, v19, s7
	s_or_b32 s8, s6, s8
	s_wait_alu 0xfffe
	s_or_b32 s7, s8, s61
	s_wait_alu 0xfffe
	s_nor_b32 s7, s0, s7
	s_wait_alu 0xfffe
	s_and_saveexec_b32 s8, s7
	s_wait_alu 0xfffe
	s_xor_b32 s7, exec_lo, s8
	s_cbranch_execz .LBB111_28
; %bb.27:                               ;   in Loop: Header=BB111_10 Depth=3
	global_load_b128 v[72:75], v[54:55], off offset:-256
	s_wait_loadcnt 0x0
	ds_store_2addr_b64 v64, v[72:73], v[74:75] offset1:1
.LBB111_28:                             ;   in Loop: Header=BB111_10 Depth=3
	s_wait_alu 0xfffe
	s_and_not1_saveexec_b32 s7, s7
	s_cbranch_execz .LBB111_34
; %bb.29:                               ;   in Loop: Header=BB111_10 Depth=3
	s_xor_b32 s8, s61, -1
	s_wait_alu 0xfffe
	s_and_saveexec_b32 s61, s8
	s_delay_alu instid0(SALU_CYCLE_1)
	s_xor_b32 s8, exec_lo, s61
; %bb.30:                               ;   in Loop: Header=BB111_10 Depth=3
	v_dual_mov_b32 v72, v0 :: v_dual_mov_b32 v73, v0
	v_dual_mov_b32 v74, v0 :: v_dual_mov_b32 v75, v0
	ds_store_b128 v61, v[72:75] offset:8192
; %bb.31:                               ;   in Loop: Header=BB111_10 Depth=3
	s_wait_alu 0xfffe
	s_and_not1_saveexec_b32 s8, s8
; %bb.32:                               ;   in Loop: Header=BB111_10 Depth=3
	v_dual_mov_b32 v2, v0 :: v_dual_mov_b32 v3, v0
	ds_store_b128 v61, v[0:3] offset:8192
; %bb.33:                               ;   in Loop: Header=BB111_10 Depth=3
	s_wait_alu 0xfffe
	s_or_b32 exec_lo, exec_lo, s8
.LBB111_34:                             ;   in Loop: Header=BB111_10 Depth=3
	s_wait_alu 0xfffe
	s_or_b32 exec_lo, exec_lo, s7
	s_or_b32 s5, s6, s5
	s_wait_alu 0xfffe
	s_or_b32 s5, s5, s60
	s_wait_alu 0xfffe
	s_nor_b32 s5, s1, s5
	s_wait_alu 0xfffe
	s_and_saveexec_b32 s6, s5
	s_wait_alu 0xfffe
	s_xor_b32 s5, exec_lo, s6
	s_cbranch_execz .LBB111_36
; %bb.35:                               ;   in Loop: Header=BB111_10 Depth=3
	global_load_b128 v[54:57], v[54:55], off
	s_wait_loadcnt 0x0
	ds_store_2addr_b64 v65, v[54:55], v[56:57] offset1:1
.LBB111_36:                             ;   in Loop: Header=BB111_10 Depth=3
	s_wait_alu 0xfffe
	s_and_not1_saveexec_b32 s5, s5
	s_cbranch_execz .LBB111_42
; %bb.37:                               ;   in Loop: Header=BB111_10 Depth=3
	s_and_saveexec_b32 s6, s59
	s_wait_alu 0xfffe
	s_xor_b32 s6, exec_lo, s6
; %bb.38:                               ;   in Loop: Header=BB111_10 Depth=3
	v_dual_mov_b32 v54, v0 :: v_dual_mov_b32 v55, v0
	v_dual_mov_b32 v56, v0 :: v_dual_mov_b32 v57, v0
	ds_store_b128 v61, v[54:57] offset:8448
; %bb.39:                               ;   in Loop: Header=BB111_10 Depth=3
	s_wait_alu 0xfffe
	s_and_not1_saveexec_b32 s6, s6
; %bb.40:                               ;   in Loop: Header=BB111_10 Depth=3
	v_dual_mov_b32 v2, v0 :: v_dual_mov_b32 v3, v0
	ds_store_b128 v61, v[0:3] offset:8448
; %bb.41:                               ;   in Loop: Header=BB111_10 Depth=3
	s_wait_alu 0xfffe
	s_or_b32 exec_lo, exec_lo, s6
.LBB111_42:                             ;   in Loop: Header=BB111_10 Depth=3
	s_wait_alu 0xfffe
	s_or_b32 exec_lo, exec_lo, s5
	v_add_co_u32 v2, s5, v6, s48
	s_wait_alu 0xf1ff
	v_add_co_ci_u32_e64 v3, null, s49, v7, s5
	s_delay_alu instid0(VALU_DEP_1)
	v_cmp_gt_i64_e64 s5, s[42:43], v[2:3]
	s_and_b32 s6, vcc_lo, s5
	s_wait_alu 0xfffe
	s_xor_b32 s6, s6, -1
	s_wait_alu 0xfffe
	s_and_saveexec_b32 s7, s6
	s_wait_alu 0xfffe
	s_xor_b32 s6, exec_lo, s7
; %bb.43:                               ;   in Loop: Header=BB111_10 Depth=3
	v_dual_mov_b32 v54, v0 :: v_dual_mov_b32 v55, v0
	v_dual_mov_b32 v56, v0 :: v_dual_mov_b32 v57, v0
	ds_store_b128 v62, v[54:57]
; %bb.44:                               ;   in Loop: Header=BB111_10 Depth=3
	s_wait_alu 0xfffe
	s_or_saveexec_b32 s7, s6
	v_add_co_u32 v54, s6, v30, v18
	s_wait_alu 0xf1ff
	v_add_co_ci_u32_e64 v55, null, v31, v19, s6
	s_wait_alu 0xfffe
	s_xor_b32 exec_lo, exec_lo, s7
	s_cbranch_execz .LBB111_46
; %bb.45:                               ;   in Loop: Header=BB111_10 Depth=3
	global_load_b128 v[72:75], v[54:55], off offset:-256
	s_wait_loadcnt 0x0
	ds_store_2addr_b64 v62, v[72:73], v[74:75] offset1:1
.LBB111_46:                             ;   in Loop: Header=BB111_10 Depth=3
	s_or_b32 exec_lo, exec_lo, s7
	v_cmp_gt_i64_e64 s6, s[44:45], v[2:3]
	s_and_b32 s7, vcc_lo, s6
	s_wait_alu 0xfffe
	s_xor_b32 s7, s7, -1
	s_wait_alu 0xfffe
	s_and_saveexec_b32 s8, s7
	s_wait_alu 0xfffe
	s_xor_b32 s7, exec_lo, s8
; %bb.47:                               ;   in Loop: Header=BB111_10 Depth=3
	v_dual_mov_b32 v54, v0 :: v_dual_mov_b32 v55, v0
	v_dual_mov_b32 v56, v0 :: v_dual_mov_b32 v57, v0
	ds_store_b128 v62, v[54:57] offset:256
                                        ; implicit-def: $vgpr54_vgpr55
; %bb.48:                               ;   in Loop: Header=BB111_10 Depth=3
	s_wait_alu 0xfffe
	s_and_not1_saveexec_b32 s7, s7
	s_cbranch_execz .LBB111_50
; %bb.49:                               ;   in Loop: Header=BB111_10 Depth=3
	global_load_b128 v[54:57], v[54:55], off
	s_wait_loadcnt 0x0
	ds_store_2addr_b64 v66, v[54:55], v[56:57] offset1:1
.LBB111_50:                             ;   in Loop: Header=BB111_10 Depth=3
	s_wait_alu 0xfffe
	s_or_b32 exec_lo, exec_lo, s7
	s_and_b32 s5, s4, s5
	s_wait_alu 0xfffe
	s_xor_b32 s5, s5, -1
	s_wait_alu 0xfffe
	s_and_saveexec_b32 s7, s5
	s_wait_alu 0xfffe
	s_xor_b32 s5, exec_lo, s7
; %bb.51:                               ;   in Loop: Header=BB111_10 Depth=3
	v_dual_mov_b32 v54, v0 :: v_dual_mov_b32 v55, v0
	v_dual_mov_b32 v56, v0 :: v_dual_mov_b32 v57, v0
	ds_store_b128 v62, v[54:57] offset:8192
; %bb.52:                               ;   in Loop: Header=BB111_10 Depth=3
	s_wait_alu 0xfffe
	s_or_saveexec_b32 s7, s5
	v_add_co_u32 v2, s5, v32, v18
	s_wait_alu 0xf1ff
	v_add_co_ci_u32_e64 v3, null, v33, v19, s5
	s_wait_alu 0xfffe
	s_xor_b32 exec_lo, exec_lo, s7
	s_cbranch_execz .LBB111_54
; %bb.53:                               ;   in Loop: Header=BB111_10 Depth=3
	global_load_b128 v[54:57], v[2:3], off offset:-256
	s_wait_loadcnt 0x0
	ds_store_2addr_b64 v67, v[54:55], v[56:57] offset1:1
.LBB111_54:                             ;   in Loop: Header=BB111_10 Depth=3
	s_or_b32 exec_lo, exec_lo, s7
	s_and_b32 s5, s4, s6
	s_wait_alu 0xfffe
	s_xor_b32 s5, s5, -1
	s_wait_alu 0xfffe
	s_and_saveexec_b32 s6, s5
	s_wait_alu 0xfffe
	s_xor_b32 s5, exec_lo, s6
; %bb.55:                               ;   in Loop: Header=BB111_10 Depth=3
	v_dual_mov_b32 v54, v0 :: v_dual_mov_b32 v55, v0
	v_dual_mov_b32 v56, v0 :: v_dual_mov_b32 v57, v0
                                        ; implicit-def: $vgpr2_vgpr3
	ds_store_b128 v62, v[54:57] offset:8448
; %bb.56:                               ;   in Loop: Header=BB111_10 Depth=3
	s_wait_alu 0xfffe
	s_and_not1_saveexec_b32 s5, s5
	s_cbranch_execz .LBB111_9
; %bb.57:                               ;   in Loop: Header=BB111_10 Depth=3
	global_load_b128 v[54:57], v[2:3], off
	s_wait_loadcnt 0x0
	ds_store_2addr_b64 v68, v[54:55], v[56:57] offset1:1
	s_branch .LBB111_9
.LBB111_58:                             ;   in Loop: Header=BB111_7 Depth=2
	v_mov_b32_e32 v46, 0
	v_mov_b32_e32 v38, 0
	;; [unrolled: 1-line block ×3, first 2 shown]
	v_dual_mov_b32 v52, 0 :: v_dual_mov_b32 v47, 0
	v_dual_mov_b32 v48, 0 :: v_dual_mov_b32 v39, 0
	;; [unrolled: 1-line block ×5, first 2 shown]
	v_mov_b32_e32 v41, 0
	v_mov_b32_e32 v45, 0
	;; [unrolled: 1-line block ×3, first 2 shown]
.LBB111_59:                             ;   in Loop: Header=BB111_7 Depth=2
	v_mul_lo_u32 v29, s25, v70
	v_mul_lo_u32 v30, s24, v71
	v_mad_co_u64_u32 v[2:3], null, s24, v70, 0
	v_cmp_gt_i32_e32 vcc_lo, s38, v70
	s_delay_alu instid0(VALU_DEP_2) | instskip(NEXT) | instid1(VALU_DEP_1)
	v_add3_u32 v3, v3, v30, v29
	v_lshlrev_b64_e32 v[2:3], 4, v[2:3]
	s_delay_alu instid0(VALU_DEP_1) | instskip(SKIP_1) | instid1(VALU_DEP_2)
	v_add_co_u32 v2, s4, s46, v2
	s_wait_alu 0xf1ff
	v_add_co_ci_u32_e64 v3, null, s47, v3, s4
	s_and_b32 s4, s2, vcc_lo
	s_wait_alu 0xfffe
	s_and_saveexec_b32 s5, s4
	s_cbranch_execz .LBB111_61
; %bb.60:                               ;   in Loop: Header=BB111_7 Depth=2
	v_add_co_u32 v33, s4, v2, v18
	s_wait_alu 0xf1ff
	v_add_co_ci_u32_e64 v34, null, v3, v19, s4
	v_mul_f64_e32 v[35:36], s[30:31], v[48:49]
	v_mul_f64_e32 v[48:49], s[28:29], v[48:49]
	global_load_b128 v[29:32], v[33:34], off
	v_fma_f64 v[35:36], s[28:29], v[46:47], -v[35:36]
	v_fma_f64 v[46:47], s[30:31], v[46:47], v[48:49]
	s_wait_loadcnt 0x0
	s_delay_alu instid0(VALU_DEP_2) | instskip(NEXT) | instid1(VALU_DEP_2)
	v_add_f64_e32 v[29:30], v[29:30], v[35:36]
	v_add_f64_e32 v[31:32], v[46:47], v[31:32]
	global_store_b128 v[33:34], v[29:32], off
.LBB111_61:                             ;   in Loop: Header=BB111_7 Depth=2
	s_wait_alu 0xfffe
	s_or_b32 exec_lo, exec_lo, s5
	s_and_b32 s5, s3, vcc_lo
	s_wait_alu 0xfffe
	s_and_saveexec_b32 s4, s5
	s_cbranch_execz .LBB111_63
; %bb.62:                               ;   in Loop: Header=BB111_7 Depth=2
	v_lshlrev_b64_e32 v[29:30], 4, v[8:9]
	v_mul_f64_e32 v[33:34], s[30:31], v[40:41]
	v_mul_f64_e32 v[35:36], s[28:29], v[40:41]
	s_delay_alu instid0(VALU_DEP_3) | instskip(SKIP_1) | instid1(VALU_DEP_4)
	v_add_co_u32 v2, vcc_lo, v2, v29
	s_wait_alu 0xfffd
	v_add_co_ci_u32_e64 v3, null, v3, v30, vcc_lo
	global_load_b128 v[29:32], v[2:3], off
	v_fma_f64 v[33:34], s[28:29], v[38:39], -v[33:34]
	v_fma_f64 v[35:36], s[30:31], v[38:39], v[35:36]
	s_wait_loadcnt 0x0
	s_delay_alu instid0(VALU_DEP_2) | instskip(NEXT) | instid1(VALU_DEP_2)
	v_add_f64_e32 v[29:30], v[29:30], v[33:34]
	v_add_f64_e32 v[31:32], v[35:36], v[31:32]
	global_store_b128 v[2:3], v[29:32], off
.LBB111_63:                             ;   in Loop: Header=BB111_7 Depth=2
	s_wait_alu 0xfffe
	s_or_b32 exec_lo, exec_lo, s4
	v_add_nc_u32_e32 v29, 16, v70
	s_delay_alu instid0(VALU_DEP_1) | instskip(SKIP_3) | instid1(VALU_DEP_4)
	v_ashrrev_i32_e32 v30, 31, v29
	v_mul_lo_u32 v31, s25, v29
	v_mad_co_u64_u32 v[2:3], null, s24, v29, 0
	v_cmp_gt_i32_e32 vcc_lo, s38, v29
	v_mul_lo_u32 v30, s24, v30
	s_delay_alu instid0(VALU_DEP_1) | instskip(NEXT) | instid1(VALU_DEP_1)
	v_add3_u32 v3, v3, v30, v31
	v_lshlrev_b64_e32 v[2:3], 4, v[2:3]
	s_delay_alu instid0(VALU_DEP_1) | instskip(SKIP_1) | instid1(VALU_DEP_2)
	v_add_co_u32 v2, s4, s46, v2
	s_wait_alu 0xf1ff
	v_add_co_ci_u32_e64 v3, null, s47, v3, s4
	s_and_b32 s4, s2, vcc_lo
	s_wait_alu 0xfffe
	s_and_saveexec_b32 s5, s4
	s_cbranch_execz .LBB111_65
; %bb.64:                               ;   in Loop: Header=BB111_7 Depth=2
	v_add_co_u32 v33, s4, v2, v18
	s_wait_alu 0xf1ff
	v_add_co_ci_u32_e64 v34, null, v3, v19, s4
	v_mul_f64_e32 v[35:36], s[30:31], v[44:45]
	v_mul_f64_e32 v[37:38], s[28:29], v[44:45]
	global_load_b128 v[29:32], v[33:34], off
	v_fma_f64 v[35:36], s[28:29], v[42:43], -v[35:36]
	v_fma_f64 v[37:38], s[30:31], v[42:43], v[37:38]
	s_wait_loadcnt 0x0
	s_delay_alu instid0(VALU_DEP_2) | instskip(NEXT) | instid1(VALU_DEP_2)
	v_add_f64_e32 v[29:30], v[29:30], v[35:36]
	v_add_f64_e32 v[31:32], v[37:38], v[31:32]
	global_store_b128 v[33:34], v[29:32], off
.LBB111_65:                             ;   in Loop: Header=BB111_7 Depth=2
	s_wait_alu 0xfffe
	s_or_b32 exec_lo, exec_lo, s5
	s_and_b32 s5, s3, vcc_lo
	s_wait_alu 0xfffe
	s_and_saveexec_b32 s4, s5
	s_cbranch_execz .LBB111_6
; %bb.66:                               ;   in Loop: Header=BB111_7 Depth=2
	v_lshlrev_b64_e32 v[29:30], 4, v[8:9]
	v_mul_f64_e32 v[33:34], s[30:31], v[50:51]
	v_mul_f64_e32 v[35:36], s[28:29], v[50:51]
	s_delay_alu instid0(VALU_DEP_3) | instskip(SKIP_1) | instid1(VALU_DEP_4)
	v_add_co_u32 v2, vcc_lo, v2, v29
	s_wait_alu 0xfffd
	v_add_co_ci_u32_e64 v3, null, v3, v30, vcc_lo
	global_load_b128 v[29:32], v[2:3], off
	v_fma_f64 v[33:34], s[28:29], v[52:53], -v[33:34]
	v_fma_f64 v[35:36], s[30:31], v[52:53], v[35:36]
	s_wait_loadcnt 0x0
	s_delay_alu instid0(VALU_DEP_2) | instskip(NEXT) | instid1(VALU_DEP_2)
	v_add_f64_e32 v[29:30], v[29:30], v[33:34]
	v_add_f64_e32 v[31:32], v[35:36], v[31:32]
	global_store_b128 v[2:3], v[29:32], off
	s_branch .LBB111_6
.LBB111_67:
	s_endpgm
	.section	.rodata,"a",@progbits
	.p2align	6, 0x0
	.amdhsa_kernel _ZL30rocblas_trmm_outofplace_kernelI19rocblas_complex_numIdELi32ELi2ELb1ELb1ELb0ELb0ES1_KS1_S1_Ev17rocblas_diagonal_iiT6_lPT7_lllS6_lllPT8_llli
		.amdhsa_group_segment_fixed_size 32768
		.amdhsa_private_segment_fixed_size 0
		.amdhsa_kernarg_size 400
		.amdhsa_user_sgpr_count 2
		.amdhsa_user_sgpr_dispatch_ptr 0
		.amdhsa_user_sgpr_queue_ptr 0
		.amdhsa_user_sgpr_kernarg_segment_ptr 1
		.amdhsa_user_sgpr_dispatch_id 0
		.amdhsa_user_sgpr_private_segment_size 0
		.amdhsa_wavefront_size32 1
		.amdhsa_uses_dynamic_stack 0
		.amdhsa_enable_private_segment 0
		.amdhsa_system_sgpr_workgroup_id_x 1
		.amdhsa_system_sgpr_workgroup_id_y 1
		.amdhsa_system_sgpr_workgroup_id_z 1
		.amdhsa_system_sgpr_workgroup_info 0
		.amdhsa_system_vgpr_workitem_id 1
		.amdhsa_next_free_vgpr 92
		.amdhsa_next_free_sgpr 62
		.amdhsa_reserve_vcc 1
		.amdhsa_float_round_mode_32 0
		.amdhsa_float_round_mode_16_64 0
		.amdhsa_float_denorm_mode_32 3
		.amdhsa_float_denorm_mode_16_64 3
		.amdhsa_fp16_overflow 0
		.amdhsa_workgroup_processor_mode 1
		.amdhsa_memory_ordered 1
		.amdhsa_forward_progress 1
		.amdhsa_inst_pref_size 76
		.amdhsa_round_robin_scheduling 0
		.amdhsa_exception_fp_ieee_invalid_op 0
		.amdhsa_exception_fp_denorm_src 0
		.amdhsa_exception_fp_ieee_div_zero 0
		.amdhsa_exception_fp_ieee_overflow 0
		.amdhsa_exception_fp_ieee_underflow 0
		.amdhsa_exception_fp_ieee_inexact 0
		.amdhsa_exception_int_div_zero 0
	.end_amdhsa_kernel
	.section	.text._ZL30rocblas_trmm_outofplace_kernelI19rocblas_complex_numIdELi32ELi2ELb1ELb1ELb0ELb0ES1_KS1_S1_Ev17rocblas_diagonal_iiT6_lPT7_lllS6_lllPT8_llli,"axG",@progbits,_ZL30rocblas_trmm_outofplace_kernelI19rocblas_complex_numIdELi32ELi2ELb1ELb1ELb0ELb0ES1_KS1_S1_Ev17rocblas_diagonal_iiT6_lPT7_lllS6_lllPT8_llli,comdat
.Lfunc_end111:
	.size	_ZL30rocblas_trmm_outofplace_kernelI19rocblas_complex_numIdELi32ELi2ELb1ELb1ELb0ELb0ES1_KS1_S1_Ev17rocblas_diagonal_iiT6_lPT7_lllS6_lllPT8_llli, .Lfunc_end111-_ZL30rocblas_trmm_outofplace_kernelI19rocblas_complex_numIdELi32ELi2ELb1ELb1ELb0ELb0ES1_KS1_S1_Ev17rocblas_diagonal_iiT6_lPT7_lllS6_lllPT8_llli
                                        ; -- End function
	.set _ZL30rocblas_trmm_outofplace_kernelI19rocblas_complex_numIdELi32ELi2ELb1ELb1ELb0ELb0ES1_KS1_S1_Ev17rocblas_diagonal_iiT6_lPT7_lllS6_lllPT8_llli.num_vgpr, 92
	.set _ZL30rocblas_trmm_outofplace_kernelI19rocblas_complex_numIdELi32ELi2ELb1ELb1ELb0ELb0ES1_KS1_S1_Ev17rocblas_diagonal_iiT6_lPT7_lllS6_lllPT8_llli.num_agpr, 0
	.set _ZL30rocblas_trmm_outofplace_kernelI19rocblas_complex_numIdELi32ELi2ELb1ELb1ELb0ELb0ES1_KS1_S1_Ev17rocblas_diagonal_iiT6_lPT7_lllS6_lllPT8_llli.numbered_sgpr, 62
	.set _ZL30rocblas_trmm_outofplace_kernelI19rocblas_complex_numIdELi32ELi2ELb1ELb1ELb0ELb0ES1_KS1_S1_Ev17rocblas_diagonal_iiT6_lPT7_lllS6_lllPT8_llli.num_named_barrier, 0
	.set _ZL30rocblas_trmm_outofplace_kernelI19rocblas_complex_numIdELi32ELi2ELb1ELb1ELb0ELb0ES1_KS1_S1_Ev17rocblas_diagonal_iiT6_lPT7_lllS6_lllPT8_llli.private_seg_size, 0
	.set _ZL30rocblas_trmm_outofplace_kernelI19rocblas_complex_numIdELi32ELi2ELb1ELb1ELb0ELb0ES1_KS1_S1_Ev17rocblas_diagonal_iiT6_lPT7_lllS6_lllPT8_llli.uses_vcc, 1
	.set _ZL30rocblas_trmm_outofplace_kernelI19rocblas_complex_numIdELi32ELi2ELb1ELb1ELb0ELb0ES1_KS1_S1_Ev17rocblas_diagonal_iiT6_lPT7_lllS6_lllPT8_llli.uses_flat_scratch, 0
	.set _ZL30rocblas_trmm_outofplace_kernelI19rocblas_complex_numIdELi32ELi2ELb1ELb1ELb0ELb0ES1_KS1_S1_Ev17rocblas_diagonal_iiT6_lPT7_lllS6_lllPT8_llli.has_dyn_sized_stack, 0
	.set _ZL30rocblas_trmm_outofplace_kernelI19rocblas_complex_numIdELi32ELi2ELb1ELb1ELb0ELb0ES1_KS1_S1_Ev17rocblas_diagonal_iiT6_lPT7_lllS6_lllPT8_llli.has_recursion, 0
	.set _ZL30rocblas_trmm_outofplace_kernelI19rocblas_complex_numIdELi32ELi2ELb1ELb1ELb0ELb0ES1_KS1_S1_Ev17rocblas_diagonal_iiT6_lPT7_lllS6_lllPT8_llli.has_indirect_call, 0
	.section	.AMDGPU.csdata,"",@progbits
; Kernel info:
; codeLenInByte = 9704
; TotalNumSgprs: 64
; NumVgprs: 92
; ScratchSize: 0
; MemoryBound: 0
; FloatMode: 240
; IeeeMode: 1
; LDSByteSize: 32768 bytes/workgroup (compile time only)
; SGPRBlocks: 0
; VGPRBlocks: 11
; NumSGPRsForWavesPerEU: 64
; NumVGPRsForWavesPerEU: 92
; Occupancy: 16
; WaveLimiterHint : 0
; COMPUTE_PGM_RSRC2:SCRATCH_EN: 0
; COMPUTE_PGM_RSRC2:USER_SGPR: 2
; COMPUTE_PGM_RSRC2:TRAP_HANDLER: 0
; COMPUTE_PGM_RSRC2:TGID_X_EN: 1
; COMPUTE_PGM_RSRC2:TGID_Y_EN: 1
; COMPUTE_PGM_RSRC2:TGID_Z_EN: 1
; COMPUTE_PGM_RSRC2:TIDIG_COMP_CNT: 1
	.section	.text._ZL30rocblas_trmm_outofplace_kernelI19rocblas_complex_numIdELi32ELi2ELb1ELb0ELb1ELb0EPKS1_S2_S1_Ev17rocblas_diagonal_iiT6_lPT7_lllS7_lllPT8_llli,"axG",@progbits,_ZL30rocblas_trmm_outofplace_kernelI19rocblas_complex_numIdELi32ELi2ELb1ELb0ELb1ELb0EPKS1_S2_S1_Ev17rocblas_diagonal_iiT6_lPT7_lllS7_lllPT8_llli,comdat
	.globl	_ZL30rocblas_trmm_outofplace_kernelI19rocblas_complex_numIdELi32ELi2ELb1ELb0ELb1ELb0EPKS1_S2_S1_Ev17rocblas_diagonal_iiT6_lPT7_lllS7_lllPT8_llli ; -- Begin function _ZL30rocblas_trmm_outofplace_kernelI19rocblas_complex_numIdELi32ELi2ELb1ELb0ELb1ELb0EPKS1_S2_S1_Ev17rocblas_diagonal_iiT6_lPT7_lllS7_lllPT8_llli
	.p2align	8
	.type	_ZL30rocblas_trmm_outofplace_kernelI19rocblas_complex_numIdELi32ELi2ELb1ELb0ELb1ELb0EPKS1_S2_S1_Ev17rocblas_diagonal_iiT6_lPT7_lllS7_lllPT8_llli,@function
_ZL30rocblas_trmm_outofplace_kernelI19rocblas_complex_numIdELi32ELi2ELb1ELb0ELb1ELb0EPKS1_S2_S1_Ev17rocblas_diagonal_iiT6_lPT7_lllS7_lllPT8_llli: ; @_ZL30rocblas_trmm_outofplace_kernelI19rocblas_complex_numIdELi32ELi2ELb1ELb0ELb1ELb0EPKS1_S2_S1_Ev17rocblas_diagonal_iiT6_lPT7_lllS7_lllPT8_llli
; %bb.0:
	s_load_b32 s11, s[0:1], 0x80
	s_lshr_b32 s34, ttmp7, 16
	s_wait_kmcnt 0x0
	s_cmp_ge_u32 s34, s11
	s_cbranch_scc1 .LBB112_68
; %bb.1:
	s_clause 0x3
	s_load_b96 s[8:10], s[0:1], 0x0
	s_load_b256 s[36:43], s[0:1], 0x50
	s_load_b512 s[12:27], s[0:1], 0x10
	s_load_b128 s[28:31], s[0:1], 0x70
	s_and_b32 s33, ttmp7, 0xffff
	v_bfe_u32 v66, v0, 10, 10
	v_and_b32_e32 v0, 0x3ff, v0
	s_add_nc_u64 s[44:45], s[0:1], 0x88
	s_mov_b32 s35, 0
	s_delay_alu instid0(VALU_DEP_2) | instskip(NEXT) | instid1(VALU_DEP_2)
	v_lshlrev_b32_e32 v1, 9, v66
	v_lshlrev_b32_e32 v67, 4, v0
	v_lshl_add_u32 v74, s33, 5, v66
	s_delay_alu instid0(VALU_DEP_3) | instskip(NEXT) | instid1(VALU_DEP_3)
	v_add_nc_u32_e32 v68, 0x4000, v1
	v_add_nc_u32_e32 v69, v67, v1
	s_delay_alu instid0(VALU_DEP_2)
	v_add_nc_u32_e32 v70, v68, v67
	s_wait_kmcnt 0x0
	s_add_co_i32 s2, s10, -1
	s_lshl_b64 s[0:1], s[42:43], 4
	s_ashr_i32 s3, s2, 31
	s_mov_b32 s42, s9
	s_lshr_b32 s3, s3, 27
	s_add_nc_u64 s[40:41], s[40:41], s[0:1]
	s_add_co_i32 s2, s2, s3
	s_mov_b32 s48, s10
	s_ashr_i32 s49, s2, 5
	s_delay_alu instid0(SALU_CYCLE_1) | instskip(SKIP_2) | instid1(SALU_CYCLE_1)
	s_cmp_le_i32 s33, s49
	s_cselect_b32 s50, -1, 0
	s_lshl_b32 s2, ttmp9, 5
	v_add_nc_u32_e32 v18, s2, v0
	v_add_nc_u32_e32 v16, s2, v66
	s_sub_co_i32 s51, s9, s2
	s_delay_alu instid0(SALU_CYCLE_1) | instskip(NEXT) | instid1(VALU_DEP_2)
	s_cmp_gt_i32 s51, 0
	v_ashrrev_i32_e32 v19, 31, v18
	s_delay_alu instid0(VALU_DEP_2) | instskip(SKIP_2) | instid1(VALU_DEP_4)
	v_ashrrev_i32_e32 v17, 31, v16
	v_add_co_u32 v22, vcc_lo, v18, 16
	v_mul_lo_u32 v3, s21, v18
	v_mul_lo_u32 v2, s20, v19
	v_mad_co_u64_u32 v[0:1], null, s20, v18, 0
	v_add_co_ci_u32_e64 v23, null, 0, v19, vcc_lo
	v_sub_co_u32 v24, vcc_lo, v18, v16
	s_wait_alu 0xfffd
	v_sub_co_ci_u32_e64 v25, null, v19, v17, vcc_lo
	s_cselect_b32 s52, -1, 0
	s_cmp_eq_u32 s8, 0x84
	v_lshlrev_b64_e32 v[28:29], 4, v[18:19]
	s_cselect_b32 s53, -1, 0
	v_add_co_u32 v26, vcc_lo, v24, 16
	s_lshl_b64 s[4:5], s[26:27], 4
	v_add3_u32 v1, v1, v2, v3
	s_wait_alu 0xfffd
	v_add_co_ci_u32_e64 v27, null, 0, v25, vcc_lo
	v_add_co_u32 v30, vcc_lo, v24, -16
	s_add_nc_u64 s[4:5], s[24:25], s[4:5]
	s_wait_alu 0xfffd
	v_add_co_ci_u32_e64 v31, null, -1, v25, vcc_lo
	v_add_co_u32 v4, vcc_lo, s4, v28
	s_wait_alu 0xfffd
	v_add_co_ci_u32_e64 v5, null, s5, v29, vcc_lo
	v_add_co_u32 v6, vcc_lo, 0x100, v28
	v_lshlrev_b64_e32 v[0:1], 4, v[0:1]
	s_wait_alu 0xfffd
	v_add_co_ci_u32_e64 v7, null, 0, v29, vcc_lo
	v_add_co_u32 v32, vcc_lo, 0x100, v4
	s_lshl_b64 s[4:5], s[18:19], 4
	v_lshlrev_b64_e32 v[2:3], 4, v[16:17]
	s_wait_alu 0xfffd
	v_add_co_ci_u32_e64 v33, null, 0, v5, vcc_lo
	s_wait_alu 0xfffe
	v_add_co_u32 v0, vcc_lo, v0, s4
	v_mul_lo_u32 v7, s20, v7
	v_mul_lo_u32 v8, s21, v6
	v_mad_co_u64_u32 v[4:5], null, s20, v6, s[4:5]
	s_wait_alu 0xfffd
	v_add_co_ci_u32_e64 v1, null, s5, v1, vcc_lo
	v_add_co_u32 v0, vcc_lo, v0, v2
	v_add_nc_u32_e32 v20, 16, v18
	s_wait_alu 0xfffd
	s_delay_alu instid0(VALU_DEP_3) | instskip(SKIP_3) | instid1(VALU_DEP_3)
	v_add_co_ci_u32_e64 v1, null, v1, v3, vcc_lo
	v_add3_u32 v5, v8, v5, v7
	v_add_co_u32 v0, vcc_lo, s16, v0
	s_wait_alu 0xfffd
	v_add_co_ci_u32_e64 v1, null, s17, v1, vcc_lo
	v_add_co_u32 v2, vcc_lo, v4, v2
	s_wait_alu 0xfffd
	v_add_co_ci_u32_e64 v3, null, v5, v3, vcc_lo
	v_add_co_u32 v34, vcc_lo, 0x100, v0
	s_ashr_i32 s43, s9, 31
	s_wait_alu 0xfffd
	v_add_co_ci_u32_e64 v35, null, 0, v1, vcc_lo
	v_add_co_u32 v36, vcc_lo, s16, v2
	v_cmp_le_i64_e64 s3, s[42:43], v[22:23]
	v_cmp_le_i32_e64 s0, s9, v18
	v_cmp_gt_i32_e64 s1, s9, v18
	v_cmp_gt_i32_e64 s2, s9, v20
	v_ashrrev_i32_e32 v21, 31, v20
	s_wait_alu 0xfffd
	v_add_co_ci_u32_e64 v37, null, s17, v3, vcc_lo
	v_dual_mov_b32 v0, 0 :: v_dual_mov_b32 v1, 0x3ff00000
	v_add_nc_u32_e32 v71, 0x100, v70
	v_add_nc_u32_e32 v72, 0x2000, v70
	;; [unrolled: 1-line block ×3, first 2 shown]
	s_ashr_i32 s54, s10, 31
	s_add_nc_u64 s[46:47], s[42:43], -16
	s_lshl_b64 s[16:17], s[38:39], 4
	s_lshl_b64 s[18:19], s[36:37], 4
	;; [unrolled: 1-line block ×3, first 2 shown]
	s_branch .LBB112_4
.LBB112_2:                              ;   in Loop: Header=BB112_4 Depth=1
	s_add_co_i32 s34, s34, 0x10000
	s_wait_alu 0xfffe
	s_cmp_ge_u32 s34, s11
	s_cselect_b32 s4, -1, 0
.LBB112_3:                              ;   in Loop: Header=BB112_4 Depth=1
	s_wait_alu 0xfffe
	s_and_b32 vcc_lo, exec_lo, s4
	s_wait_alu 0xfffe
	s_cbranch_vccnz .LBB112_68
.LBB112_4:                              ; =>This Loop Header: Depth=1
                                        ;     Child Loop BB112_8 Depth 2
                                        ;       Child Loop BB112_11 Depth 3
	s_mul_u64 s[4:5], s[14:15], s[34:35]
	s_wait_alu 0xfffe
	s_lshl_b64 s[4:5], s[4:5], 4
	s_wait_alu 0xfffe
	s_add_nc_u64 s[4:5], s[12:13], s[4:5]
	global_load_b128 v[4:7], v0, s[4:5]
	s_wait_loadcnt 0x0
	v_cmp_eq_f64_e32 vcc_lo, 0, v[4:5]
	v_cmp_eq_f64_e64 s4, 0, v[6:7]
	s_wait_alu 0xfffe
	s_and_b32 s4, vcc_lo, s4
	s_wait_alu 0xfffe
	s_and_b32 vcc_lo, exec_lo, s4
	s_mov_b32 s4, -1
	s_wait_alu 0xfffe
	s_cbranch_vccnz .LBB112_3
; %bb.5:                                ;   in Loop: Header=BB112_4 Depth=1
	s_and_not1_b32 vcc_lo, exec_lo, s50
	s_wait_alu 0xfffe
	s_cbranch_vccnz .LBB112_2
; %bb.6:                                ;   in Loop: Header=BB112_4 Depth=1
	v_mad_co_u64_u32 v[38:39], null, s16, s34, v[32:33]
	s_load_b32 s9, s[44:45], 0x4
	v_mad_co_u64_u32 v[40:41], null, s20, s34, v[34:35]
	s_mul_i32 s6, s21, s34
	v_mad_co_u64_u32 v[42:43], null, s20, s34, v[36:37]
	v_mov_b32_e32 v2, v39
	s_mul_u64 s[4:5], s[30:31], s[34:35]
	s_wait_alu 0xfffe
	v_dual_mov_b32 v44, v74 :: v_dual_add_nc_u32 v41, s6, v41
	s_lshl_b64 s[4:5], s[4:5], 4
	v_mad_co_u64_u32 v[2:3], null, s17, s34, v[2:3]
	s_delay_alu instid0(VALU_DEP_4) | instskip(SKIP_3) | instid1(VALU_DEP_2)
	v_add_nc_u32_e32 v43, s6, v43
	s_wait_alu 0xfffe
	s_add_nc_u64 s[22:23], s[40:41], s[4:5]
	s_mov_b32 s39, s33
	v_mov_b32_e32 v39, v2
	s_wait_kmcnt 0x0
	s_lshl_b32 s38, s9, 5
	s_branch .LBB112_8
.LBB112_7:                              ;   in Loop: Header=BB112_8 Depth=2
	s_wait_alu 0xfffe
	s_or_b32 exec_lo, exec_lo, s4
	v_add_nc_u32_e32 v44, s38, v44
	s_add_co_i32 s39, s9, s39
	s_wait_alu 0xfffe
	s_cmp_gt_i32 s39, s49
	s_cbranch_scc1 .LBB112_2
.LBB112_8:                              ;   Parent Loop BB112_4 Depth=1
                                        ; =>  This Loop Header: Depth=2
                                        ;       Child Loop BB112_11 Depth 3
	s_wait_alu 0xfffe
	v_lshl_add_u32 v75, s39, 5, v66
	s_and_not1_b32 vcc_lo, exec_lo, s52
	s_delay_alu instid0(VALU_DEP_1)
	v_ashrrev_i32_e32 v76, 31, v75
	s_wait_alu 0xfffe
	s_cbranch_vccnz .LBB112_59
; %bb.9:                                ;   in Loop: Header=BB112_8 Depth=2
	v_ashrrev_i32_e32 v45, 31, v44
	v_mad_co_u64_u32 v[46:47], null, s18, v44, v[38:39]
	v_mul_lo_u32 v8, s19, v44
	v_mov_b32_e32 v62, 0
	s_delay_alu instid0(VALU_DEP_4)
	v_lshlrev_b64_e32 v[2:3], 4, v[44:45]
	v_mul_lo_u32 v9, s18, v45
	v_mov_b32_e32 v60, 0
	v_mov_b32_e32 v52, 0
	v_dual_mov_b32 v56, 0 :: v_dual_mov_b32 v63, 0
	v_mov_b32_e32 v64, 0
	v_add_co_u32 v10, vcc_lo, 0x100, v2
	s_wait_alu 0xfffd
	v_add_co_ci_u32_e64 v11, null, 0, v3, vcc_lo
	v_sub_co_u32 v2, vcc_lo, s48, v75
	v_add3_u32 v47, v8, v47, v9
	s_delay_alu instid0(VALU_DEP_3)
	v_mul_lo_u32 v8, s36, v11
	v_mul_lo_u32 v9, s37, v10
	v_mad_co_u64_u32 v[48:49], null, s36, v10, v[38:39]
	s_wait_alu 0xfffd
	v_sub_co_ci_u32_e64 v3, null, s54, v76, vcc_lo
	v_dual_mov_b32 v61, 0 :: v_dual_mov_b32 v58, 0
	v_dual_mov_b32 v53, 0 :: v_dual_mov_b32 v50, 0
	s_delay_alu instid0(VALU_DEP_3)
	v_cmp_lt_i64_e64 s4, 16, v[2:3]
	v_dual_mov_b32 v57, 0 :: v_dual_mov_b32 v54, 0
	v_mov_b32_e32 v65, 0
	v_mov_b32_e32 v59, 0
	;; [unrolled: 1-line block ×4, first 2 shown]
	v_add3_u32 v49, v9, v49, v8
	s_mov_b64 s[24:25], 0
	s_mov_b64 s[26:27], 0
	v_cmp_lt_i64_e32 vcc_lo, 0, v[2:3]
	s_branch .LBB112_11
.LBB112_10:                             ;   in Loop: Header=BB112_11 Depth=3
	s_wait_alu 0xfffe
	s_or_b32 exec_lo, exec_lo, s5
	s_wait_dscnt 0x0
	s_barrier_signal -1
	s_barrier_wait -1
	global_inv scope:SCOPE_SE
	ds_load_b128 v[77:80], v68
	ds_load_b128 v[81:84], v68 offset:16
	ds_load_b128 v[12:15], v68 offset:32
	;; [unrolled: 1-line block ×3, first 2 shown]
	ds_load_b128 v[85:88], v67
	s_add_nc_u64 s[26:27], s[26:27], 32
	s_add_nc_u64 s[24:25], s[24:25], 0x200
	s_wait_alu 0xfffe
	s_cmp_ge_i32 s26, s51
	s_wait_dscnt 0x0
	v_mul_f64_e32 v[2:3], v[79:80], v[87:88]
	v_mul_f64_e32 v[89:90], v[77:78], v[87:88]
	s_delay_alu instid0(VALU_DEP_2) | instskip(NEXT) | instid1(VALU_DEP_2)
	v_fma_f64 v[2:3], v[77:78], v[85:86], -v[2:3]
	v_fma_f64 v[89:90], v[79:80], v[85:86], v[89:90]
	s_delay_alu instid0(VALU_DEP_2) | instskip(NEXT) | instid1(VALU_DEP_2)
	v_add_f64_e32 v[2:3], v[54:55], v[2:3]
	v_add_f64_e32 v[89:90], v[89:90], v[56:57]
	ds_load_b128 v[54:57], v67 offset:256
	s_wait_dscnt 0x0
	v_mul_f64_e32 v[91:92], v[79:80], v[56:57]
	s_delay_alu instid0(VALU_DEP_1) | instskip(SKIP_1) | instid1(VALU_DEP_1)
	v_fma_f64 v[91:92], v[77:78], v[54:55], -v[91:92]
	v_mul_f64_e32 v[77:78], v[77:78], v[56:57]
	v_fma_f64 v[77:78], v[79:80], v[54:55], v[77:78]
	s_delay_alu instid0(VALU_DEP_3) | instskip(NEXT) | instid1(VALU_DEP_2)
	v_add_f64_e32 v[79:80], v[50:51], v[91:92]
	v_add_f64_e32 v[77:78], v[77:78], v[52:53]
	ds_load_b128 v[50:53], v68 offset:8192
	s_wait_dscnt 0x0
	v_mul_f64_e32 v[91:92], v[52:53], v[87:88]
	v_mul_f64_e32 v[87:88], v[50:51], v[87:88]
	s_delay_alu instid0(VALU_DEP_2) | instskip(NEXT) | instid1(VALU_DEP_2)
	v_fma_f64 v[91:92], v[50:51], v[85:86], -v[91:92]
	v_fma_f64 v[85:86], v[52:53], v[85:86], v[87:88]
	s_delay_alu instid0(VALU_DEP_2) | instskip(SKIP_1) | instid1(VALU_DEP_3)
	v_add_f64_e32 v[87:88], v[58:59], v[91:92]
	v_mul_f64_e32 v[58:59], v[52:53], v[56:57]
	v_add_f64_e32 v[85:86], v[85:86], v[60:61]
	s_delay_alu instid0(VALU_DEP_2) | instskip(SKIP_1) | instid1(VALU_DEP_2)
	v_fma_f64 v[58:59], v[50:51], v[54:55], -v[58:59]
	v_mul_f64_e32 v[50:51], v[50:51], v[56:57]
	v_add_f64_e32 v[64:65], v[64:65], v[58:59]
	s_delay_alu instid0(VALU_DEP_2) | instskip(NEXT) | instid1(VALU_DEP_1)
	v_fma_f64 v[50:51], v[52:53], v[54:55], v[50:51]
	v_add_f64_e32 v[62:63], v[50:51], v[62:63]
	ds_load_b128 v[50:53], v67 offset:512
	s_wait_dscnt 0x0
	v_mul_f64_e32 v[54:55], v[83:84], v[52:53]
	v_mul_f64_e32 v[56:57], v[81:82], v[52:53]
	s_delay_alu instid0(VALU_DEP_2) | instskip(NEXT) | instid1(VALU_DEP_2)
	v_fma_f64 v[54:55], v[81:82], v[50:51], -v[54:55]
	v_fma_f64 v[56:57], v[83:84], v[50:51], v[56:57]
	s_delay_alu instid0(VALU_DEP_2) | instskip(NEXT) | instid1(VALU_DEP_2)
	v_add_f64_e32 v[2:3], v[2:3], v[54:55]
	v_add_f64_e32 v[89:90], v[56:57], v[89:90]
	ds_load_b128 v[54:57], v67 offset:768
	s_wait_dscnt 0x0
	v_mul_f64_e32 v[58:59], v[83:84], v[56:57]
	v_mul_f64_e32 v[60:61], v[81:82], v[56:57]
	s_delay_alu instid0(VALU_DEP_2) | instskip(NEXT) | instid1(VALU_DEP_2)
	v_fma_f64 v[58:59], v[81:82], v[54:55], -v[58:59]
	v_fma_f64 v[60:61], v[83:84], v[54:55], v[60:61]
	s_delay_alu instid0(VALU_DEP_2) | instskip(NEXT) | instid1(VALU_DEP_2)
	v_add_f64_e32 v[79:80], v[79:80], v[58:59]
	v_add_f64_e32 v[77:78], v[60:61], v[77:78]
	ds_load_b128 v[58:61], v68 offset:8208
	s_wait_dscnt 0x0
	v_mul_f64_e32 v[81:82], v[60:61], v[52:53]
	v_mul_f64_e32 v[52:53], v[58:59], v[52:53]
	s_delay_alu instid0(VALU_DEP_2) | instskip(NEXT) | instid1(VALU_DEP_2)
	v_fma_f64 v[81:82], v[58:59], v[50:51], -v[81:82]
	v_fma_f64 v[50:51], v[60:61], v[50:51], v[52:53]
	v_mul_f64_e32 v[52:53], v[58:59], v[56:57]
	s_delay_alu instid0(VALU_DEP_3) | instskip(NEXT) | instid1(VALU_DEP_3)
	v_add_f64_e32 v[81:82], v[87:88], v[81:82]
	v_add_f64_e32 v[83:84], v[50:51], v[85:86]
	v_mul_f64_e32 v[50:51], v[60:61], v[56:57]
	s_delay_alu instid0(VALU_DEP_4) | instskip(NEXT) | instid1(VALU_DEP_2)
	v_fma_f64 v[52:53], v[60:61], v[54:55], v[52:53]
	v_fma_f64 v[50:51], v[58:59], v[54:55], -v[50:51]
	s_delay_alu instid0(VALU_DEP_2) | instskip(NEXT) | instid1(VALU_DEP_2)
	v_add_f64_e32 v[60:61], v[52:53], v[62:63]
	v_add_f64_e32 v[58:59], v[64:65], v[50:51]
	ds_load_b128 v[50:53], v67 offset:1024
	s_wait_dscnt 0x0
	v_mul_f64_e32 v[54:55], v[14:15], v[52:53]
	v_mul_f64_e32 v[56:57], v[12:13], v[52:53]
	s_delay_alu instid0(VALU_DEP_2) | instskip(NEXT) | instid1(VALU_DEP_2)
	v_fma_f64 v[54:55], v[12:13], v[50:51], -v[54:55]
	v_fma_f64 v[56:57], v[14:15], v[50:51], v[56:57]
	s_delay_alu instid0(VALU_DEP_2) | instskip(NEXT) | instid1(VALU_DEP_2)
	v_add_f64_e32 v[2:3], v[2:3], v[54:55]
	v_add_f64_e32 v[62:63], v[56:57], v[89:90]
	ds_load_b128 v[54:57], v67 offset:1280
	s_wait_dscnt 0x0
	v_mul_f64_e32 v[64:65], v[14:15], v[56:57]
	s_delay_alu instid0(VALU_DEP_1) | instskip(SKIP_1) | instid1(VALU_DEP_2)
	v_fma_f64 v[64:65], v[12:13], v[54:55], -v[64:65]
	v_mul_f64_e32 v[12:13], v[12:13], v[56:57]
	v_add_f64_e32 v[64:65], v[79:80], v[64:65]
	s_delay_alu instid0(VALU_DEP_2) | instskip(NEXT) | instid1(VALU_DEP_1)
	v_fma_f64 v[12:13], v[14:15], v[54:55], v[12:13]
	v_add_f64_e32 v[77:78], v[12:13], v[77:78]
	ds_load_b128 v[12:15], v68 offset:8224
	s_wait_dscnt 0x0
	v_mul_f64_e32 v[79:80], v[14:15], v[52:53]
	v_mul_f64_e32 v[52:53], v[12:13], v[52:53]
	s_delay_alu instid0(VALU_DEP_2) | instskip(NEXT) | instid1(VALU_DEP_2)
	v_fma_f64 v[79:80], v[12:13], v[50:51], -v[79:80]
	v_fma_f64 v[50:51], v[14:15], v[50:51], v[52:53]
	s_delay_alu instid0(VALU_DEP_2) | instskip(NEXT) | instid1(VALU_DEP_2)
	v_add_f64_e32 v[79:80], v[81:82], v[79:80]
	v_add_f64_e32 v[81:82], v[50:51], v[83:84]
	v_mul_f64_e32 v[50:51], v[14:15], v[56:57]
	s_delay_alu instid0(VALU_DEP_1) | instskip(SKIP_1) | instid1(VALU_DEP_1)
	v_fma_f64 v[50:51], v[12:13], v[54:55], -v[50:51]
	v_mul_f64_e32 v[12:13], v[12:13], v[56:57]
	v_fma_f64 v[12:13], v[14:15], v[54:55], v[12:13]
	s_delay_alu instid0(VALU_DEP_3) | instskip(NEXT) | instid1(VALU_DEP_2)
	v_add_f64_e32 v[54:55], v[58:59], v[50:51]
	v_add_f64_e32 v[56:57], v[12:13], v[60:61]
	ds_load_b128 v[12:15], v67 offset:1536
	s_wait_dscnt 0x0
	v_mul_f64_e32 v[50:51], v[10:11], v[14:15]
	v_mul_f64_e32 v[52:53], v[8:9], v[14:15]
	s_delay_alu instid0(VALU_DEP_2) | instskip(NEXT) | instid1(VALU_DEP_2)
	v_fma_f64 v[50:51], v[8:9], v[12:13], -v[50:51]
	v_fma_f64 v[52:53], v[10:11], v[12:13], v[52:53]
	s_delay_alu instid0(VALU_DEP_2) | instskip(NEXT) | instid1(VALU_DEP_2)
	v_add_f64_e32 v[2:3], v[2:3], v[50:51]
	v_add_f64_e32 v[58:59], v[52:53], v[62:63]
	ds_load_b128 v[50:53], v67 offset:1792
	s_wait_dscnt 0x0
	v_mul_f64_e32 v[60:61], v[10:11], v[52:53]
	s_delay_alu instid0(VALU_DEP_1) | instskip(SKIP_1) | instid1(VALU_DEP_2)
	v_fma_f64 v[60:61], v[8:9], v[50:51], -v[60:61]
	v_mul_f64_e32 v[8:9], v[8:9], v[52:53]
	v_add_f64_e32 v[60:61], v[64:65], v[60:61]
	s_delay_alu instid0(VALU_DEP_2) | instskip(NEXT) | instid1(VALU_DEP_1)
	v_fma_f64 v[8:9], v[10:11], v[50:51], v[8:9]
	v_add_f64_e32 v[62:63], v[8:9], v[77:78]
	ds_load_b128 v[8:11], v68 offset:8240
	s_wait_dscnt 0x0
	v_mul_f64_e32 v[64:65], v[10:11], v[14:15]
	v_mul_f64_e32 v[14:15], v[8:9], v[14:15]
	s_delay_alu instid0(VALU_DEP_2) | instskip(NEXT) | instid1(VALU_DEP_2)
	v_fma_f64 v[64:65], v[8:9], v[12:13], -v[64:65]
	v_fma_f64 v[12:13], v[10:11], v[12:13], v[14:15]
	s_delay_alu instid0(VALU_DEP_2) | instskip(NEXT) | instid1(VALU_DEP_2)
	v_add_f64_e32 v[64:65], v[79:80], v[64:65]
	v_add_f64_e32 v[77:78], v[12:13], v[81:82]
	v_mul_f64_e32 v[12:13], v[10:11], v[52:53]
	s_delay_alu instid0(VALU_DEP_1) | instskip(SKIP_1) | instid1(VALU_DEP_2)
	v_fma_f64 v[12:13], v[8:9], v[50:51], -v[12:13]
	v_mul_f64_e32 v[8:9], v[8:9], v[52:53]
	v_add_f64_e32 v[54:55], v[54:55], v[12:13]
	s_delay_alu instid0(VALU_DEP_2) | instskip(NEXT) | instid1(VALU_DEP_1)
	v_fma_f64 v[8:9], v[10:11], v[50:51], v[8:9]
	v_add_f64_e32 v[56:57], v[8:9], v[56:57]
	ds_load_b128 v[8:11], v68 offset:64
	ds_load_b128 v[12:15], v67 offset:2048
	s_wait_dscnt 0x0
	v_mul_f64_e32 v[50:51], v[10:11], v[14:15]
	v_mul_f64_e32 v[52:53], v[8:9], v[14:15]
	s_delay_alu instid0(VALU_DEP_2) | instskip(NEXT) | instid1(VALU_DEP_2)
	v_fma_f64 v[50:51], v[8:9], v[12:13], -v[50:51]
	v_fma_f64 v[52:53], v[10:11], v[12:13], v[52:53]
	s_delay_alu instid0(VALU_DEP_2) | instskip(NEXT) | instid1(VALU_DEP_2)
	v_add_f64_e32 v[2:3], v[2:3], v[50:51]
	v_add_f64_e32 v[58:59], v[52:53], v[58:59]
	ds_load_b128 v[50:53], v67 offset:2304
	s_wait_dscnt 0x0
	v_mul_f64_e32 v[79:80], v[10:11], v[52:53]
	s_delay_alu instid0(VALU_DEP_1) | instskip(SKIP_1) | instid1(VALU_DEP_2)
	v_fma_f64 v[79:80], v[8:9], v[50:51], -v[79:80]
	v_mul_f64_e32 v[8:9], v[8:9], v[52:53]
	v_add_f64_e32 v[60:61], v[60:61], v[79:80]
	s_delay_alu instid0(VALU_DEP_2) | instskip(NEXT) | instid1(VALU_DEP_1)
	v_fma_f64 v[8:9], v[10:11], v[50:51], v[8:9]
	v_add_f64_e32 v[62:63], v[8:9], v[62:63]
	ds_load_b128 v[8:11], v68 offset:8256
	s_wait_dscnt 0x0
	v_mul_f64_e32 v[79:80], v[10:11], v[14:15]
	v_mul_f64_e32 v[14:15], v[8:9], v[14:15]
	s_delay_alu instid0(VALU_DEP_2) | instskip(NEXT) | instid1(VALU_DEP_2)
	v_fma_f64 v[79:80], v[8:9], v[12:13], -v[79:80]
	v_fma_f64 v[12:13], v[10:11], v[12:13], v[14:15]
	s_delay_alu instid0(VALU_DEP_2) | instskip(NEXT) | instid1(VALU_DEP_2)
	v_add_f64_e32 v[64:65], v[64:65], v[79:80]
	v_add_f64_e32 v[77:78], v[12:13], v[77:78]
	v_mul_f64_e32 v[12:13], v[10:11], v[52:53]
	s_delay_alu instid0(VALU_DEP_1) | instskip(SKIP_1) | instid1(VALU_DEP_2)
	v_fma_f64 v[12:13], v[8:9], v[50:51], -v[12:13]
	v_mul_f64_e32 v[8:9], v[8:9], v[52:53]
	v_add_f64_e32 v[54:55], v[54:55], v[12:13]
	s_delay_alu instid0(VALU_DEP_2) | instskip(NEXT) | instid1(VALU_DEP_1)
	v_fma_f64 v[8:9], v[10:11], v[50:51], v[8:9]
	v_add_f64_e32 v[56:57], v[8:9], v[56:57]
	ds_load_b128 v[8:11], v68 offset:80
	;; [unrolled: 39-line block ×27, first 2 shown]
	ds_load_b128 v[12:15], v67 offset:15360
	s_wait_dscnt 0x0
	v_mul_f64_e32 v[50:51], v[10:11], v[14:15]
	v_mul_f64_e32 v[52:53], v[8:9], v[14:15]
	s_delay_alu instid0(VALU_DEP_2) | instskip(NEXT) | instid1(VALU_DEP_2)
	v_fma_f64 v[50:51], v[8:9], v[12:13], -v[50:51]
	v_fma_f64 v[52:53], v[10:11], v[12:13], v[52:53]
	s_delay_alu instid0(VALU_DEP_2) | instskip(NEXT) | instid1(VALU_DEP_2)
	v_add_f64_e32 v[79:80], v[2:3], v[50:51]
	v_add_f64_e32 v[81:82], v[52:53], v[58:59]
	ds_load_b128 v[50:53], v67 offset:15616
	s_wait_dscnt 0x0
	v_mul_f64_e32 v[2:3], v[10:11], v[52:53]
	s_delay_alu instid0(VALU_DEP_1) | instskip(SKIP_1) | instid1(VALU_DEP_2)
	v_fma_f64 v[2:3], v[8:9], v[50:51], -v[2:3]
	v_mul_f64_e32 v[8:9], v[8:9], v[52:53]
	v_add_f64_e32 v[83:84], v[60:61], v[2:3]
	s_delay_alu instid0(VALU_DEP_2) | instskip(NEXT) | instid1(VALU_DEP_1)
	v_fma_f64 v[8:9], v[10:11], v[50:51], v[8:9]
	v_add_f64_e32 v[85:86], v[8:9], v[62:63]
	ds_load_b128 v[8:11], v68 offset:8672
	s_wait_dscnt 0x0
	v_mul_f64_e32 v[2:3], v[10:11], v[14:15]
	v_mul_f64_e32 v[14:15], v[8:9], v[14:15]
	s_delay_alu instid0(VALU_DEP_2) | instskip(NEXT) | instid1(VALU_DEP_2)
	v_fma_f64 v[2:3], v[8:9], v[12:13], -v[2:3]
	v_fma_f64 v[12:13], v[10:11], v[12:13], v[14:15]
	s_delay_alu instid0(VALU_DEP_2) | instskip(SKIP_1) | instid1(VALU_DEP_3)
	v_add_f64_e32 v[14:15], v[64:65], v[2:3]
	v_mul_f64_e32 v[2:3], v[10:11], v[52:53]
	v_add_f64_e32 v[77:78], v[12:13], v[77:78]
	s_delay_alu instid0(VALU_DEP_2) | instskip(SKIP_1) | instid1(VALU_DEP_2)
	v_fma_f64 v[2:3], v[8:9], v[50:51], -v[2:3]
	v_mul_f64_e32 v[8:9], v[8:9], v[52:53]
	v_add_f64_e32 v[2:3], v[54:55], v[2:3]
	s_delay_alu instid0(VALU_DEP_2)
	v_fma_f64 v[8:9], v[10:11], v[50:51], v[8:9]
	ds_load_b128 v[10:13], v68 offset:496
	ds_load_b128 v[58:61], v67 offset:15872
	;; [unrolled: 1-line block ×3, first 2 shown]
	s_wait_dscnt 0x1
	v_mul_f64_e32 v[50:51], v[12:13], v[60:61]
	v_mul_f64_e32 v[52:53], v[10:11], v[60:61]
	v_add_f64_e32 v[8:9], v[8:9], v[56:57]
	s_delay_alu instid0(VALU_DEP_3) | instskip(NEXT) | instid1(VALU_DEP_3)
	v_fma_f64 v[50:51], v[10:11], v[58:59], -v[50:51]
	v_fma_f64 v[52:53], v[12:13], v[58:59], v[52:53]
	s_delay_alu instid0(VALU_DEP_2) | instskip(SKIP_2) | instid1(VALU_DEP_3)
	v_add_f64_e32 v[54:55], v[79:80], v[50:51]
	s_wait_dscnt 0x0
	v_mul_f64_e32 v[50:51], v[12:13], v[64:65]
	v_add_f64_e32 v[56:57], v[52:53], v[81:82]
	s_delay_alu instid0(VALU_DEP_2) | instskip(SKIP_1) | instid1(VALU_DEP_2)
	v_fma_f64 v[50:51], v[10:11], v[62:63], -v[50:51]
	v_mul_f64_e32 v[10:11], v[10:11], v[64:65]
	v_add_f64_e32 v[50:51], v[83:84], v[50:51]
	s_delay_alu instid0(VALU_DEP_2) | instskip(NEXT) | instid1(VALU_DEP_1)
	v_fma_f64 v[10:11], v[12:13], v[62:63], v[10:11]
	v_add_f64_e32 v[52:53], v[10:11], v[85:86]
	ds_load_b128 v[10:13], v68 offset:8688
	s_wait_loadcnt_dscnt 0x0
	s_barrier_signal -1
	s_barrier_wait -1
	global_inv scope:SCOPE_SE
	v_mul_f64_e32 v[79:80], v[12:13], v[60:61]
	v_mul_f64_e32 v[60:61], v[10:11], v[60:61]
	s_delay_alu instid0(VALU_DEP_2) | instskip(NEXT) | instid1(VALU_DEP_2)
	v_fma_f64 v[79:80], v[10:11], v[58:59], -v[79:80]
	v_fma_f64 v[60:61], v[12:13], v[58:59], v[60:61]
	s_delay_alu instid0(VALU_DEP_2) | instskip(SKIP_1) | instid1(VALU_DEP_3)
	v_add_f64_e32 v[58:59], v[14:15], v[79:80]
	v_mul_f64_e32 v[14:15], v[12:13], v[64:65]
	v_add_f64_e32 v[60:61], v[60:61], v[77:78]
	s_delay_alu instid0(VALU_DEP_2) | instskip(SKIP_1) | instid1(VALU_DEP_2)
	v_fma_f64 v[14:15], v[10:11], v[62:63], -v[14:15]
	v_mul_f64_e32 v[10:11], v[10:11], v[64:65]
	v_add_f64_e32 v[64:65], v[2:3], v[14:15]
	s_delay_alu instid0(VALU_DEP_2) | instskip(NEXT) | instid1(VALU_DEP_1)
	v_fma_f64 v[10:11], v[12:13], v[62:63], v[10:11]
	v_add_f64_e32 v[62:63], v[10:11], v[8:9]
	s_cbranch_scc1 .LBB112_60
.LBB112_11:                             ;   Parent Loop BB112_4 Depth=1
                                        ;     Parent Loop BB112_8 Depth=2
                                        ; =>    This Inner Loop Header: Depth=3
	s_wait_alu 0xfffe
	v_add_co_u32 v10, s5, v16, s26
	s_wait_alu 0xf1ff
	v_add_co_ci_u32_e64 v11, null, s27, v17, s5
	v_cmp_eq_u64_e64 s7, s[26:27], v[24:25]
	s_delay_alu instid0(VALU_DEP_2)
	v_cmp_le_i64_e64 s6, s[42:43], v[10:11]
	v_cmp_lt_i64_e64 s5, v[10:11], v[18:19]
	s_and_b32 s56, s53, s7
	v_add_co_u32 v8, s7, v40, s24
	s_wait_alu 0xf1ff
	v_add_co_ci_u32_e64 v9, null, s25, v41, s7
	s_or_b32 s8, s6, s5
	s_wait_alu 0xfffe
	s_or_b32 s7, s8, s56
	s_wait_alu 0xfffe
	s_nor_b32 s7, s0, s7
	s_wait_alu 0xfffe
	s_and_saveexec_b32 s8, s7
	s_wait_alu 0xfffe
	s_xor_b32 s7, exec_lo, s8
	s_cbranch_execz .LBB112_13
; %bb.12:                               ;   in Loop: Header=BB112_11 Depth=3
	global_load_b128 v[12:15], v[8:9], off offset:-256
	s_wait_loadcnt 0x0
	ds_store_2addr_b64 v69, v[12:13], v[14:15] offset1:1
.LBB112_13:                             ;   in Loop: Header=BB112_11 Depth=3
	s_wait_alu 0xfffe
	s_or_saveexec_b32 s7, s7
	s_xor_b32 s55, s56, -1
	s_wait_alu 0xfffe
	s_xor_b32 exec_lo, exec_lo, s7
	s_cbranch_execz .LBB112_19
; %bb.14:                               ;   in Loop: Header=BB112_11 Depth=3
	s_and_saveexec_b32 s8, s55
	s_wait_alu 0xfffe
	s_xor_b32 s8, exec_lo, s8
; %bb.15:                               ;   in Loop: Header=BB112_11 Depth=3
	v_dual_mov_b32 v12, v0 :: v_dual_mov_b32 v13, v0
	v_dual_mov_b32 v14, v0 :: v_dual_mov_b32 v15, v0
	ds_store_b128 v69, v[12:15]
; %bb.16:                               ;   in Loop: Header=BB112_11 Depth=3
	s_wait_alu 0xfffe
	s_and_not1_saveexec_b32 s8, s8
; %bb.17:                               ;   in Loop: Header=BB112_11 Depth=3
	v_dual_mov_b32 v2, v0 :: v_dual_mov_b32 v3, v0
	ds_store_b128 v69, v[0:3]
; %bb.18:                               ;   in Loop: Header=BB112_11 Depth=3
	s_wait_alu 0xfffe
	s_or_b32 exec_lo, exec_lo, s8
.LBB112_19:                             ;   in Loop: Header=BB112_11 Depth=3
	s_delay_alu instid0(SALU_CYCLE_1)
	s_or_b32 exec_lo, exec_lo, s7
	v_cmp_eq_u64_e64 s7, s[26:27], v[26:27]
	v_cmp_gt_i64_e64 s8, v[22:23], v[10:11]
	s_and_b32 s7, s53, s7
	s_or_b32 s6, s6, s8
	s_wait_alu 0xfffe
	s_or_b32 s6, s6, s7
	s_wait_alu 0xfffe
	s_nor_b32 s6, s3, s6
	s_wait_alu 0xfffe
	s_and_saveexec_b32 s8, s6
	s_wait_alu 0xfffe
	s_xor_b32 s8, exec_lo, s8
	s_cbranch_execz .LBB112_21
; %bb.20:                               ;   in Loop: Header=BB112_11 Depth=3
	v_add_co_u32 v2, s6, v42, s24
	s_wait_alu 0xf1ff
	v_add_co_ci_u32_e64 v3, null, s25, v43, s6
	global_load_b128 v[12:15], v[2:3], off
	v_add_nc_u32_e32 v2, 0x100, v69
	s_wait_loadcnt 0x0
	ds_store_2addr_b64 v2, v[12:13], v[14:15] offset1:1
.LBB112_21:                             ;   in Loop: Header=BB112_11 Depth=3
	s_wait_alu 0xfffe
	s_and_not1_saveexec_b32 s6, s8
	s_cbranch_execz .LBB112_27
; %bb.22:                               ;   in Loop: Header=BB112_11 Depth=3
	s_xor_b32 s7, s7, -1
	s_wait_alu 0xfffe
	s_and_saveexec_b32 s8, s7
	s_wait_alu 0xfffe
	s_xor_b32 s7, exec_lo, s8
; %bb.23:                               ;   in Loop: Header=BB112_11 Depth=3
	v_dual_mov_b32 v12, v0 :: v_dual_mov_b32 v13, v0
	v_dual_mov_b32 v14, v0 :: v_dual_mov_b32 v15, v0
	ds_store_b128 v69, v[12:15] offset:256
; %bb.24:                               ;   in Loop: Header=BB112_11 Depth=3
	s_wait_alu 0xfffe
	s_and_not1_saveexec_b32 s7, s7
; %bb.25:                               ;   in Loop: Header=BB112_11 Depth=3
	v_dual_mov_b32 v2, v0 :: v_dual_mov_b32 v3, v0
	ds_store_b128 v69, v[0:3] offset:256
; %bb.26:                               ;   in Loop: Header=BB112_11 Depth=3
	s_wait_alu 0xfffe
	s_or_b32 exec_lo, exec_lo, s7
.LBB112_27:                             ;   in Loop: Header=BB112_11 Depth=3
	s_wait_alu 0xfffe
	s_or_b32 exec_lo, exec_lo, s6
	v_add_co_u32 v2, s6, v10, 16
	s_wait_alu 0xf1ff
	v_add_co_ci_u32_e64 v3, null, 0, v11, s6
	v_cmp_eq_u64_e64 s7, s[26:27], v[30:31]
	s_delay_alu instid0(VALU_DEP_2)
	v_cmp_le_i64_e64 s6, s[42:43], v[2:3]
	v_cmp_lt_i64_e64 s8, v[2:3], v[18:19]
	s_and_b32 s57, s53, s7
	s_or_b32 s7, s6, s8
	s_wait_alu 0xfffe
	s_or_b32 s7, s7, s57
	s_wait_alu 0xfffe
	s_nor_b32 s7, s0, s7
	s_wait_alu 0xfffe
	s_and_saveexec_b32 s8, s7
	s_wait_alu 0xfffe
	s_xor_b32 s7, exec_lo, s8
	s_cbranch_execz .LBB112_29
; %bb.28:                               ;   in Loop: Header=BB112_11 Depth=3
	global_load_b128 v[8:11], v[8:9], off
	v_add_nc_u32_e32 v2, 0x2000, v69
	s_wait_loadcnt 0x0
	ds_store_2addr_b64 v2, v[8:9], v[10:11] offset1:1
.LBB112_29:                             ;   in Loop: Header=BB112_11 Depth=3
	s_wait_alu 0xfffe
	s_and_not1_saveexec_b32 s7, s7
	s_cbranch_execz .LBB112_35
; %bb.30:                               ;   in Loop: Header=BB112_11 Depth=3
	s_xor_b32 s8, s57, -1
	s_wait_alu 0xfffe
	s_and_saveexec_b32 s57, s8
	s_delay_alu instid0(SALU_CYCLE_1)
	s_xor_b32 s8, exec_lo, s57
; %bb.31:                               ;   in Loop: Header=BB112_11 Depth=3
	v_dual_mov_b32 v8, v0 :: v_dual_mov_b32 v9, v0
	v_dual_mov_b32 v10, v0 :: v_dual_mov_b32 v11, v0
	ds_store_b128 v69, v[8:11] offset:8192
; %bb.32:                               ;   in Loop: Header=BB112_11 Depth=3
	s_wait_alu 0xfffe
	s_and_not1_saveexec_b32 s8, s8
; %bb.33:                               ;   in Loop: Header=BB112_11 Depth=3
	v_dual_mov_b32 v2, v0 :: v_dual_mov_b32 v3, v0
	ds_store_b128 v69, v[0:3] offset:8192
; %bb.34:                               ;   in Loop: Header=BB112_11 Depth=3
	s_wait_alu 0xfffe
	s_or_b32 exec_lo, exec_lo, s8
.LBB112_35:                             ;   in Loop: Header=BB112_11 Depth=3
	s_wait_alu 0xfffe
	s_or_b32 exec_lo, exec_lo, s7
	s_or_b32 s5, s6, s5
	s_wait_alu 0xfffe
	s_or_b32 s5, s5, s56
	s_wait_alu 0xfffe
	s_nor_b32 s5, s3, s5
	s_wait_alu 0xfffe
	s_and_saveexec_b32 s6, s5
	s_wait_alu 0xfffe
	s_xor_b32 s6, exec_lo, s6
	s_cbranch_execz .LBB112_37
; %bb.36:                               ;   in Loop: Header=BB112_11 Depth=3
	v_add_co_u32 v2, s5, v42, s24
	s_wait_alu 0xf1ff
	v_add_co_ci_u32_e64 v3, null, s25, v43, s5
	global_load_b128 v[8:11], v[2:3], off offset:256
	v_add_nc_u32_e32 v2, 0x2100, v69
	s_wait_loadcnt 0x0
	ds_store_2addr_b64 v2, v[8:9], v[10:11] offset1:1
.LBB112_37:                             ;   in Loop: Header=BB112_11 Depth=3
	s_wait_alu 0xfffe
	s_and_not1_saveexec_b32 s5, s6
	s_cbranch_execz .LBB112_43
; %bb.38:                               ;   in Loop: Header=BB112_11 Depth=3
	s_and_saveexec_b32 s6, s55
	s_wait_alu 0xfffe
	s_xor_b32 s6, exec_lo, s6
; %bb.39:                               ;   in Loop: Header=BB112_11 Depth=3
	v_dual_mov_b32 v8, v0 :: v_dual_mov_b32 v9, v0
	v_dual_mov_b32 v10, v0 :: v_dual_mov_b32 v11, v0
	ds_store_b128 v69, v[8:11] offset:8448
; %bb.40:                               ;   in Loop: Header=BB112_11 Depth=3
	s_wait_alu 0xfffe
	s_and_not1_saveexec_b32 s6, s6
; %bb.41:                               ;   in Loop: Header=BB112_11 Depth=3
	v_dual_mov_b32 v2, v0 :: v_dual_mov_b32 v3, v0
	ds_store_b128 v69, v[0:3] offset:8448
; %bb.42:                               ;   in Loop: Header=BB112_11 Depth=3
	s_wait_alu 0xfffe
	s_or_b32 exec_lo, exec_lo, s6
.LBB112_43:                             ;   in Loop: Header=BB112_11 Depth=3
	s_wait_alu 0xfffe
	s_or_b32 exec_lo, exec_lo, s5
	v_add_co_u32 v2, s5, v18, s26
	s_wait_alu 0xf1ff
	v_add_co_ci_u32_e64 v3, null, s27, v19, s5
	s_delay_alu instid0(VALU_DEP_1)
	v_cmp_gt_i64_e64 s5, s[42:43], v[2:3]
	s_and_b32 s6, vcc_lo, s5
	s_wait_alu 0xfffe
	s_xor_b32 s6, s6, -1
	s_wait_alu 0xfffe
	s_and_saveexec_b32 s7, s6
	s_wait_alu 0xfffe
	s_xor_b32 s6, exec_lo, s7
; %bb.44:                               ;   in Loop: Header=BB112_11 Depth=3
	v_dual_mov_b32 v8, v0 :: v_dual_mov_b32 v9, v0
	v_dual_mov_b32 v10, v0 :: v_dual_mov_b32 v11, v0
	ds_store_b128 v70, v[8:11]
; %bb.45:                               ;   in Loop: Header=BB112_11 Depth=3
	s_wait_alu 0xfffe
	s_or_saveexec_b32 s7, s6
	v_add_co_u32 v8, s6, v46, s24
	s_wait_alu 0xf1ff
	v_add_co_ci_u32_e64 v9, null, s25, v47, s6
	s_wait_alu 0xfffe
	s_xor_b32 exec_lo, exec_lo, s7
	s_cbranch_execz .LBB112_47
; %bb.46:                               ;   in Loop: Header=BB112_11 Depth=3
	global_load_b128 v[10:13], v[8:9], off offset:-256
	s_wait_loadcnt 0x0
	ds_store_2addr_b64 v70, v[10:11], v[12:13] offset1:1
.LBB112_47:                             ;   in Loop: Header=BB112_11 Depth=3
	s_or_b32 exec_lo, exec_lo, s7
	v_cmp_gt_i64_e64 s6, s[46:47], v[2:3]
	s_and_b32 s7, vcc_lo, s6
	s_wait_alu 0xfffe
	s_xor_b32 s7, s7, -1
	s_wait_alu 0xfffe
	s_and_saveexec_b32 s8, s7
	s_wait_alu 0xfffe
	s_xor_b32 s7, exec_lo, s8
; %bb.48:                               ;   in Loop: Header=BB112_11 Depth=3
	v_dual_mov_b32 v8, v0 :: v_dual_mov_b32 v9, v0
	v_dual_mov_b32 v10, v0 :: v_dual_mov_b32 v11, v0
	ds_store_b128 v70, v[8:11] offset:256
                                        ; implicit-def: $vgpr8_vgpr9
; %bb.49:                               ;   in Loop: Header=BB112_11 Depth=3
	s_wait_alu 0xfffe
	s_and_not1_saveexec_b32 s7, s7
	s_cbranch_execz .LBB112_51
; %bb.50:                               ;   in Loop: Header=BB112_11 Depth=3
	global_load_b128 v[8:11], v[8:9], off
	s_wait_loadcnt 0x0
	ds_store_2addr_b64 v71, v[8:9], v[10:11] offset1:1
.LBB112_51:                             ;   in Loop: Header=BB112_11 Depth=3
	s_wait_alu 0xfffe
	s_or_b32 exec_lo, exec_lo, s7
	s_and_b32 s5, s4, s5
	s_wait_alu 0xfffe
	s_xor_b32 s5, s5, -1
	s_wait_alu 0xfffe
	s_and_saveexec_b32 s7, s5
	s_wait_alu 0xfffe
	s_xor_b32 s5, exec_lo, s7
; %bb.52:                               ;   in Loop: Header=BB112_11 Depth=3
	v_dual_mov_b32 v8, v0 :: v_dual_mov_b32 v9, v0
	v_dual_mov_b32 v10, v0 :: v_dual_mov_b32 v11, v0
	ds_store_b128 v70, v[8:11] offset:8192
; %bb.53:                               ;   in Loop: Header=BB112_11 Depth=3
	s_wait_alu 0xfffe
	s_or_saveexec_b32 s7, s5
	v_add_co_u32 v2, s5, v48, s24
	s_wait_alu 0xf1ff
	v_add_co_ci_u32_e64 v3, null, s25, v49, s5
	s_wait_alu 0xfffe
	s_xor_b32 exec_lo, exec_lo, s7
	s_cbranch_execz .LBB112_55
; %bb.54:                               ;   in Loop: Header=BB112_11 Depth=3
	global_load_b128 v[8:11], v[2:3], off offset:-256
	s_wait_loadcnt 0x0
	ds_store_2addr_b64 v72, v[8:9], v[10:11] offset1:1
.LBB112_55:                             ;   in Loop: Header=BB112_11 Depth=3
	s_or_b32 exec_lo, exec_lo, s7
	s_and_b32 s5, s4, s6
	s_wait_alu 0xfffe
	s_xor_b32 s5, s5, -1
	s_wait_alu 0xfffe
	s_and_saveexec_b32 s6, s5
	s_wait_alu 0xfffe
	s_xor_b32 s5, exec_lo, s6
; %bb.56:                               ;   in Loop: Header=BB112_11 Depth=3
	v_dual_mov_b32 v8, v0 :: v_dual_mov_b32 v9, v0
	v_dual_mov_b32 v10, v0 :: v_dual_mov_b32 v11, v0
                                        ; implicit-def: $vgpr2_vgpr3
	ds_store_b128 v70, v[8:11] offset:8448
; %bb.57:                               ;   in Loop: Header=BB112_11 Depth=3
	s_wait_alu 0xfffe
	s_and_not1_saveexec_b32 s5, s5
	s_cbranch_execz .LBB112_10
; %bb.58:                               ;   in Loop: Header=BB112_11 Depth=3
	global_load_b128 v[8:11], v[2:3], off
	s_wait_loadcnt 0x0
	ds_store_2addr_b64 v73, v[8:9], v[10:11] offset1:1
	s_branch .LBB112_10
.LBB112_59:                             ;   in Loop: Header=BB112_8 Depth=2
	v_mov_b32_e32 v54, 0
	v_mov_b32_e32 v50, 0
	;; [unrolled: 1-line block ×3, first 2 shown]
	v_dual_mov_b32 v64, 0 :: v_dual_mov_b32 v55, 0
	v_dual_mov_b32 v56, 0 :: v_dual_mov_b32 v51, 0
	;; [unrolled: 1-line block ×5, first 2 shown]
	v_mov_b32_e32 v53, 0
	v_mov_b32_e32 v61, 0
	;; [unrolled: 1-line block ×3, first 2 shown]
.LBB112_60:                             ;   in Loop: Header=BB112_8 Depth=2
	v_mul_lo_u32 v8, s29, v75
	v_mul_lo_u32 v9, s28, v76
	v_mad_co_u64_u32 v[2:3], null, s28, v75, 0
	v_cmp_gt_i32_e32 vcc_lo, s10, v75
	s_delay_alu instid0(VALU_DEP_2) | instskip(NEXT) | instid1(VALU_DEP_1)
	v_add3_u32 v3, v3, v9, v8
	v_lshlrev_b64_e32 v[2:3], 4, v[2:3]
	s_delay_alu instid0(VALU_DEP_1) | instskip(SKIP_1) | instid1(VALU_DEP_2)
	v_add_co_u32 v2, s4, s22, v2
	s_wait_alu 0xf1ff
	v_add_co_ci_u32_e64 v3, null, s23, v3, s4
	s_and_b32 s4, s1, vcc_lo
	s_wait_alu 0xfffe
	s_and_saveexec_b32 s5, s4
	s_cbranch_execz .LBB112_62
; %bb.61:                               ;   in Loop: Header=BB112_8 Depth=2
	v_add_co_u32 v12, s4, v2, v28
	s_wait_alu 0xf1ff
	v_add_co_ci_u32_e64 v13, null, v3, v29, s4
	v_mul_f64_e32 v[14:15], v[6:7], v[56:57]
	v_mul_f64_e32 v[45:46], v[4:5], v[56:57]
	global_load_b128 v[8:11], v[12:13], off
	v_fma_f64 v[14:15], v[4:5], v[54:55], -v[14:15]
	v_fma_f64 v[45:46], v[6:7], v[54:55], v[45:46]
	s_wait_loadcnt 0x0
	s_delay_alu instid0(VALU_DEP_2) | instskip(NEXT) | instid1(VALU_DEP_2)
	v_add_f64_e32 v[8:9], v[8:9], v[14:15]
	v_add_f64_e32 v[10:11], v[45:46], v[10:11]
	global_store_b128 v[12:13], v[8:11], off
.LBB112_62:                             ;   in Loop: Header=BB112_8 Depth=2
	s_wait_alu 0xfffe
	s_or_b32 exec_lo, exec_lo, s5
	s_and_b32 s5, s2, vcc_lo
	s_wait_alu 0xfffe
	s_and_saveexec_b32 s4, s5
	s_cbranch_execz .LBB112_64
; %bb.63:                               ;   in Loop: Header=BB112_8 Depth=2
	v_lshlrev_b64_e32 v[8:9], 4, v[20:21]
	v_mul_f64_e32 v[12:13], v[6:7], v[52:53]
	v_mul_f64_e32 v[14:15], v[4:5], v[52:53]
	s_delay_alu instid0(VALU_DEP_3) | instskip(SKIP_1) | instid1(VALU_DEP_4)
	v_add_co_u32 v2, vcc_lo, v2, v8
	s_wait_alu 0xfffd
	v_add_co_ci_u32_e64 v3, null, v3, v9, vcc_lo
	global_load_b128 v[8:11], v[2:3], off
	v_fma_f64 v[12:13], v[4:5], v[50:51], -v[12:13]
	v_fma_f64 v[14:15], v[6:7], v[50:51], v[14:15]
	s_wait_loadcnt 0x0
	s_delay_alu instid0(VALU_DEP_2) | instskip(NEXT) | instid1(VALU_DEP_2)
	v_add_f64_e32 v[8:9], v[8:9], v[12:13]
	v_add_f64_e32 v[10:11], v[14:15], v[10:11]
	global_store_b128 v[2:3], v[8:11], off
.LBB112_64:                             ;   in Loop: Header=BB112_8 Depth=2
	s_wait_alu 0xfffe
	s_or_b32 exec_lo, exec_lo, s4
	v_add_nc_u32_e32 v8, 16, v75
	s_delay_alu instid0(VALU_DEP_1) | instskip(SKIP_3) | instid1(VALU_DEP_4)
	v_ashrrev_i32_e32 v9, 31, v8
	v_mul_lo_u32 v10, s29, v8
	v_mad_co_u64_u32 v[2:3], null, s28, v8, 0
	v_cmp_gt_i32_e32 vcc_lo, s10, v8
	v_mul_lo_u32 v9, s28, v9
	s_delay_alu instid0(VALU_DEP_1) | instskip(NEXT) | instid1(VALU_DEP_1)
	v_add3_u32 v3, v3, v9, v10
	v_lshlrev_b64_e32 v[2:3], 4, v[2:3]
	s_delay_alu instid0(VALU_DEP_1) | instskip(SKIP_1) | instid1(VALU_DEP_2)
	v_add_co_u32 v2, s4, s22, v2
	s_wait_alu 0xf1ff
	v_add_co_ci_u32_e64 v3, null, s23, v3, s4
	s_and_b32 s4, s1, vcc_lo
	s_wait_alu 0xfffe
	s_and_saveexec_b32 s5, s4
	s_cbranch_execz .LBB112_66
; %bb.65:                               ;   in Loop: Header=BB112_8 Depth=2
	v_add_co_u32 v12, s4, v2, v28
	s_wait_alu 0xf1ff
	v_add_co_ci_u32_e64 v13, null, v3, v29, s4
	v_mul_f64_e32 v[14:15], v[6:7], v[60:61]
	v_mul_f64_e32 v[45:46], v[4:5], v[60:61]
	global_load_b128 v[8:11], v[12:13], off
	v_fma_f64 v[14:15], v[4:5], v[58:59], -v[14:15]
	v_fma_f64 v[45:46], v[6:7], v[58:59], v[45:46]
	s_wait_loadcnt 0x0
	s_delay_alu instid0(VALU_DEP_2) | instskip(NEXT) | instid1(VALU_DEP_2)
	v_add_f64_e32 v[8:9], v[8:9], v[14:15]
	v_add_f64_e32 v[10:11], v[45:46], v[10:11]
	global_store_b128 v[12:13], v[8:11], off
.LBB112_66:                             ;   in Loop: Header=BB112_8 Depth=2
	s_wait_alu 0xfffe
	s_or_b32 exec_lo, exec_lo, s5
	s_and_b32 s5, s2, vcc_lo
	s_wait_alu 0xfffe
	s_and_saveexec_b32 s4, s5
	s_cbranch_execz .LBB112_7
; %bb.67:                               ;   in Loop: Header=BB112_8 Depth=2
	v_lshlrev_b64_e32 v[8:9], 4, v[20:21]
	v_mul_f64_e32 v[12:13], v[6:7], v[62:63]
	v_mul_f64_e32 v[14:15], v[4:5], v[62:63]
	s_delay_alu instid0(VALU_DEP_3) | instskip(SKIP_1) | instid1(VALU_DEP_4)
	v_add_co_u32 v2, vcc_lo, v2, v8
	s_wait_alu 0xfffd
	v_add_co_ci_u32_e64 v3, null, v3, v9, vcc_lo
	global_load_b128 v[8:11], v[2:3], off
	v_fma_f64 v[12:13], v[4:5], v[64:65], -v[12:13]
	v_fma_f64 v[14:15], v[6:7], v[64:65], v[14:15]
	s_wait_loadcnt 0x0
	s_delay_alu instid0(VALU_DEP_2) | instskip(NEXT) | instid1(VALU_DEP_2)
	v_add_f64_e32 v[8:9], v[8:9], v[12:13]
	v_add_f64_e32 v[10:11], v[14:15], v[10:11]
	global_store_b128 v[2:3], v[8:11], off
	s_branch .LBB112_7
.LBB112_68:
	s_endpgm
	.section	.rodata,"a",@progbits
	.p2align	6, 0x0
	.amdhsa_kernel _ZL30rocblas_trmm_outofplace_kernelI19rocblas_complex_numIdELi32ELi2ELb1ELb0ELb1ELb0EPKS1_S2_S1_Ev17rocblas_diagonal_iiT6_lPT7_lllS7_lllPT8_llli
		.amdhsa_group_segment_fixed_size 32768
		.amdhsa_private_segment_fixed_size 0
		.amdhsa_kernarg_size 392
		.amdhsa_user_sgpr_count 2
		.amdhsa_user_sgpr_dispatch_ptr 0
		.amdhsa_user_sgpr_queue_ptr 0
		.amdhsa_user_sgpr_kernarg_segment_ptr 1
		.amdhsa_user_sgpr_dispatch_id 0
		.amdhsa_user_sgpr_private_segment_size 0
		.amdhsa_wavefront_size32 1
		.amdhsa_uses_dynamic_stack 0
		.amdhsa_enable_private_segment 0
		.amdhsa_system_sgpr_workgroup_id_x 1
		.amdhsa_system_sgpr_workgroup_id_y 1
		.amdhsa_system_sgpr_workgroup_id_z 1
		.amdhsa_system_sgpr_workgroup_info 0
		.amdhsa_system_vgpr_workitem_id 1
		.amdhsa_next_free_vgpr 93
		.amdhsa_next_free_sgpr 58
		.amdhsa_reserve_vcc 1
		.amdhsa_float_round_mode_32 0
		.amdhsa_float_round_mode_16_64 0
		.amdhsa_float_denorm_mode_32 3
		.amdhsa_float_denorm_mode_16_64 3
		.amdhsa_fp16_overflow 0
		.amdhsa_workgroup_processor_mode 1
		.amdhsa_memory_ordered 1
		.amdhsa_forward_progress 1
		.amdhsa_inst_pref_size 77
		.amdhsa_round_robin_scheduling 0
		.amdhsa_exception_fp_ieee_invalid_op 0
		.amdhsa_exception_fp_denorm_src 0
		.amdhsa_exception_fp_ieee_div_zero 0
		.amdhsa_exception_fp_ieee_overflow 0
		.amdhsa_exception_fp_ieee_underflow 0
		.amdhsa_exception_fp_ieee_inexact 0
		.amdhsa_exception_int_div_zero 0
	.end_amdhsa_kernel
	.section	.text._ZL30rocblas_trmm_outofplace_kernelI19rocblas_complex_numIdELi32ELi2ELb1ELb0ELb1ELb0EPKS1_S2_S1_Ev17rocblas_diagonal_iiT6_lPT7_lllS7_lllPT8_llli,"axG",@progbits,_ZL30rocblas_trmm_outofplace_kernelI19rocblas_complex_numIdELi32ELi2ELb1ELb0ELb1ELb0EPKS1_S2_S1_Ev17rocblas_diagonal_iiT6_lPT7_lllS7_lllPT8_llli,comdat
.Lfunc_end112:
	.size	_ZL30rocblas_trmm_outofplace_kernelI19rocblas_complex_numIdELi32ELi2ELb1ELb0ELb1ELb0EPKS1_S2_S1_Ev17rocblas_diagonal_iiT6_lPT7_lllS7_lllPT8_llli, .Lfunc_end112-_ZL30rocblas_trmm_outofplace_kernelI19rocblas_complex_numIdELi32ELi2ELb1ELb0ELb1ELb0EPKS1_S2_S1_Ev17rocblas_diagonal_iiT6_lPT7_lllS7_lllPT8_llli
                                        ; -- End function
	.set _ZL30rocblas_trmm_outofplace_kernelI19rocblas_complex_numIdELi32ELi2ELb1ELb0ELb1ELb0EPKS1_S2_S1_Ev17rocblas_diagonal_iiT6_lPT7_lllS7_lllPT8_llli.num_vgpr, 93
	.set _ZL30rocblas_trmm_outofplace_kernelI19rocblas_complex_numIdELi32ELi2ELb1ELb0ELb1ELb0EPKS1_S2_S1_Ev17rocblas_diagonal_iiT6_lPT7_lllS7_lllPT8_llli.num_agpr, 0
	.set _ZL30rocblas_trmm_outofplace_kernelI19rocblas_complex_numIdELi32ELi2ELb1ELb0ELb1ELb0EPKS1_S2_S1_Ev17rocblas_diagonal_iiT6_lPT7_lllS7_lllPT8_llli.numbered_sgpr, 58
	.set _ZL30rocblas_trmm_outofplace_kernelI19rocblas_complex_numIdELi32ELi2ELb1ELb0ELb1ELb0EPKS1_S2_S1_Ev17rocblas_diagonal_iiT6_lPT7_lllS7_lllPT8_llli.num_named_barrier, 0
	.set _ZL30rocblas_trmm_outofplace_kernelI19rocblas_complex_numIdELi32ELi2ELb1ELb0ELb1ELb0EPKS1_S2_S1_Ev17rocblas_diagonal_iiT6_lPT7_lllS7_lllPT8_llli.private_seg_size, 0
	.set _ZL30rocblas_trmm_outofplace_kernelI19rocblas_complex_numIdELi32ELi2ELb1ELb0ELb1ELb0EPKS1_S2_S1_Ev17rocblas_diagonal_iiT6_lPT7_lllS7_lllPT8_llli.uses_vcc, 1
	.set _ZL30rocblas_trmm_outofplace_kernelI19rocblas_complex_numIdELi32ELi2ELb1ELb0ELb1ELb0EPKS1_S2_S1_Ev17rocblas_diagonal_iiT6_lPT7_lllS7_lllPT8_llli.uses_flat_scratch, 0
	.set _ZL30rocblas_trmm_outofplace_kernelI19rocblas_complex_numIdELi32ELi2ELb1ELb0ELb1ELb0EPKS1_S2_S1_Ev17rocblas_diagonal_iiT6_lPT7_lllS7_lllPT8_llli.has_dyn_sized_stack, 0
	.set _ZL30rocblas_trmm_outofplace_kernelI19rocblas_complex_numIdELi32ELi2ELb1ELb0ELb1ELb0EPKS1_S2_S1_Ev17rocblas_diagonal_iiT6_lPT7_lllS7_lllPT8_llli.has_recursion, 0
	.set _ZL30rocblas_trmm_outofplace_kernelI19rocblas_complex_numIdELi32ELi2ELb1ELb0ELb1ELb0EPKS1_S2_S1_Ev17rocblas_diagonal_iiT6_lPT7_lllS7_lllPT8_llli.has_indirect_call, 0
	.section	.AMDGPU.csdata,"",@progbits
; Kernel info:
; codeLenInByte = 9796
; TotalNumSgprs: 60
; NumVgprs: 93
; ScratchSize: 0
; MemoryBound: 0
; FloatMode: 240
; IeeeMode: 1
; LDSByteSize: 32768 bytes/workgroup (compile time only)
; SGPRBlocks: 0
; VGPRBlocks: 11
; NumSGPRsForWavesPerEU: 60
; NumVGPRsForWavesPerEU: 93
; Occupancy: 16
; WaveLimiterHint : 0
; COMPUTE_PGM_RSRC2:SCRATCH_EN: 0
; COMPUTE_PGM_RSRC2:USER_SGPR: 2
; COMPUTE_PGM_RSRC2:TRAP_HANDLER: 0
; COMPUTE_PGM_RSRC2:TGID_X_EN: 1
; COMPUTE_PGM_RSRC2:TGID_Y_EN: 1
; COMPUTE_PGM_RSRC2:TGID_Z_EN: 1
; COMPUTE_PGM_RSRC2:TIDIG_COMP_CNT: 1
	.section	.text._ZL30rocblas_trmm_outofplace_kernelI19rocblas_complex_numIdELi32ELi2ELb1ELb0ELb1ELb0ES1_KS1_S1_Ev17rocblas_diagonal_iiT6_lPT7_lllS6_lllPT8_llli,"axG",@progbits,_ZL30rocblas_trmm_outofplace_kernelI19rocblas_complex_numIdELi32ELi2ELb1ELb0ELb1ELb0ES1_KS1_S1_Ev17rocblas_diagonal_iiT6_lPT7_lllS6_lllPT8_llli,comdat
	.globl	_ZL30rocblas_trmm_outofplace_kernelI19rocblas_complex_numIdELi32ELi2ELb1ELb0ELb1ELb0ES1_KS1_S1_Ev17rocblas_diagonal_iiT6_lPT7_lllS6_lllPT8_llli ; -- Begin function _ZL30rocblas_trmm_outofplace_kernelI19rocblas_complex_numIdELi32ELi2ELb1ELb0ELb1ELb0ES1_KS1_S1_Ev17rocblas_diagonal_iiT6_lPT7_lllS6_lllPT8_llli
	.p2align	8
	.type	_ZL30rocblas_trmm_outofplace_kernelI19rocblas_complex_numIdELi32ELi2ELb1ELb0ELb1ELb0ES1_KS1_S1_Ev17rocblas_diagonal_iiT6_lPT7_lllS6_lllPT8_llli,@function
_ZL30rocblas_trmm_outofplace_kernelI19rocblas_complex_numIdELi32ELi2ELb1ELb0ELb1ELb0ES1_KS1_S1_Ev17rocblas_diagonal_iiT6_lPT7_lllS6_lllPT8_llli: ; @_ZL30rocblas_trmm_outofplace_kernelI19rocblas_complex_numIdELi32ELi2ELb1ELb0ELb1ELb0ES1_KS1_S1_Ev17rocblas_diagonal_iiT6_lPT7_lllS6_lllPT8_llli
; %bb.0:
	s_load_b32 s33, s[0:1], 0x88
	s_lshr_b32 s34, ttmp7, 16
	s_wait_kmcnt 0x0
	s_cmp_ge_u32 s34, s33
	s_cbranch_scc1 .LBB113_67
; %bb.1:
	s_load_b128 s[28:31], s[0:1], 0x10
	s_wait_kmcnt 0x0
	v_cmp_eq_f64_e64 s2, s[28:29], 0
	v_cmp_eq_f64_e64 s3, s[30:31], 0
	s_and_b32 s2, s2, s3
	s_delay_alu instid0(SALU_CYCLE_1)
	s_and_b32 vcc_lo, exec_lo, s2
	s_cbranch_vccnz .LBB113_67
; %bb.2:
	s_clause 0x1
	s_load_b96 s[36:38], s[0:1], 0x0
	s_load_b512 s[4:19], s[0:1], 0x28
	s_add_nc_u64 s[40:41], s[0:1], 0x90
	s_load_b256 s[20:27], s[0:1], 0x68
	s_and_b32 s39, ttmp7, 0xffff
	v_bfe_u32 v58, v0, 10, 10
	v_and_b32_e32 v0, 0x3ff, v0
	s_mov_b32 s35, 0
	s_delay_alu instid0(VALU_DEP_2) | instskip(NEXT) | instid1(VALU_DEP_2)
	v_lshlrev_b32_e32 v1, 9, v58
	v_lshlrev_b32_e32 v59, 4, v0
	v_lshl_add_u32 v69, s39, 5, v58
	s_delay_alu instid0(VALU_DEP_3) | instskip(NEXT) | instid1(VALU_DEP_3)
	v_add_nc_u32_e32 v60, 0x4000, v1
	v_add_nc_u32_e32 v61, v59, v1
	s_delay_alu instid0(VALU_DEP_2)
	v_add_nc_u32_e32 v62, v60, v59
	s_wait_kmcnt 0x0
	s_add_co_i32 s0, s38, -1
	s_mov_b32 s42, s37
	s_ashr_i32 s1, s0, 31
	v_add_nc_u32_e32 v63, 0x100, v61
	s_lshr_b32 s1, s1, 27
	v_add_nc_u32_e32 v64, 0x2000, v61
	s_add_co_i32 s0, s0, s1
	v_add_nc_u32_e32 v65, 0x2100, v61
	s_ashr_i32 s46, s0, 5
	s_mov_b32 s47, s38
	s_cmp_le_i32 s39, s46
	s_cselect_b32 s48, -1, 0
	s_lshl_b32 s0, ttmp9, 5
	s_delay_alu instid0(SALU_CYCLE_1) | instskip(SKIP_2) | instid1(SALU_CYCLE_1)
	v_add_nc_u32_e32 v6, s0, v0
	v_add_nc_u32_e32 v4, s0, v58
	s_sub_co_i32 s49, s37, s0
	s_cmp_gt_i32 s49, 0
	s_delay_alu instid0(VALU_DEP_2) | instskip(NEXT) | instid1(VALU_DEP_2)
	v_ashrrev_i32_e32 v7, 31, v6
	v_ashrrev_i32_e32 v5, 31, v4
	v_add_co_u32 v10, vcc_lo, v6, 16
	v_mul_lo_u32 v3, s9, v6
	s_delay_alu instid0(VALU_DEP_4)
	v_mul_lo_u32 v2, s8, v7
	v_mad_co_u64_u32 v[0:1], null, s8, v6, 0
	v_add_co_ci_u32_e64 v11, null, 0, v7, vcc_lo
	v_sub_co_u32 v12, vcc_lo, v6, v4
	s_wait_alu 0xfffd
	v_sub_co_ci_u32_e64 v13, null, v7, v5, vcc_lo
	s_cselect_b32 s50, -1, 0
	s_cmp_eq_u32 s36, 0x84
	v_lshlrev_b64_e32 v[16:17], 4, v[6:7]
	s_cselect_b32 s51, -1, 0
	v_add_co_u32 v14, vcc_lo, v12, 16
	s_lshl_b64 s[14:15], s[14:15], 4
	v_add3_u32 v1, v1, v2, v3
	s_wait_alu 0xfffd
	v_add_co_ci_u32_e64 v15, null, 0, v13, vcc_lo
	v_add_co_u32 v18, vcc_lo, v12, -16
	s_add_nc_u64 s[12:13], s[12:13], s[14:15]
	s_wait_alu 0xfffd
	v_add_co_ci_u32_e64 v19, null, -1, v13, vcc_lo
	v_add_co_u32 v20, vcc_lo, s12, v16
	s_wait_alu 0xfffd
	v_add_co_ci_u32_e64 v21, null, s13, v17, vcc_lo
	v_add_co_u32 v22, vcc_lo, 0x100, v16
	v_lshlrev_b64_e32 v[0:1], 4, v[0:1]
	s_wait_alu 0xfffd
	v_add_co_ci_u32_e64 v23, null, 0, v17, vcc_lo
	v_add_co_u32 v20, vcc_lo, 0x100, v20
	s_lshl_b64 s[6:7], s[6:7], 4
	v_lshlrev_b64_e32 v[2:3], 4, v[4:5]
	s_wait_alu 0xfffd
	v_add_co_ci_u32_e64 v21, null, 0, v21, vcc_lo
	v_add_co_u32 v0, vcc_lo, v0, s6
	v_mul_lo_u32 v24, s8, v23
	v_mul_lo_u32 v25, s9, v22
	v_mad_co_u64_u32 v[22:23], null, s8, v22, s[6:7]
	s_wait_alu 0xfffd
	v_add_co_ci_u32_e64 v1, null, s7, v1, vcc_lo
	v_add_co_u32 v0, vcc_lo, v0, v2
	v_add_nc_u32_e32 v8, 16, v6
	s_wait_alu 0xfffd
	s_delay_alu instid0(VALU_DEP_3) | instskip(SKIP_3) | instid1(VALU_DEP_3)
	v_add_co_ci_u32_e64 v1, null, v1, v3, vcc_lo
	v_add3_u32 v23, v25, v23, v24
	v_add_co_u32 v0, vcc_lo, s4, v0
	s_wait_alu 0xfffd
	v_add_co_ci_u32_e64 v1, null, s5, v1, vcc_lo
	v_add_co_u32 v2, vcc_lo, v22, v2
	s_wait_alu 0xfffd
	v_add_co_ci_u32_e64 v3, null, v23, v3, vcc_lo
	v_add_co_u32 v22, vcc_lo, 0x100, v0
	s_ashr_i32 s43, s37, 31
	s_lshl_b64 s[2:3], s[22:23], 4
	s_wait_alu 0xfffd
	v_add_co_ci_u32_e64 v23, null, 0, v1, vcc_lo
	v_add_co_u32 v24, vcc_lo, s4, v2
	v_cmp_le_i64_e64 s1, s[42:43], v[10:11]
	v_cmp_le_i32_e64 s0, s37, v6
	s_add_nc_u64 s[20:21], s[20:21], s[2:3]
	v_cmp_gt_i32_e64 s2, s37, v6
	v_cmp_gt_i32_e64 s3, s37, v8
	v_ashrrev_i32_e32 v9, 31, v8
	s_wait_alu 0xfffd
	v_add_co_ci_u32_e64 v25, null, s5, v3, vcc_lo
	v_dual_mov_b32 v0, 0 :: v_dual_mov_b32 v1, 0x3ff00000
	v_add_nc_u32_e32 v66, 0x100, v62
	v_add_nc_u32_e32 v67, 0x2000, v62
	;; [unrolled: 1-line block ×3, first 2 shown]
	s_ashr_i32 s52, s38, 31
	s_add_nc_u64 s[22:23], s[42:43], -16
	s_lshl_b64 s[12:13], s[18:19], 4
	s_lshl_b64 s[14:15], s[16:17], 4
	;; [unrolled: 1-line block ×3, first 2 shown]
	s_branch .LBB113_4
.LBB113_3:                              ;   in Loop: Header=BB113_4 Depth=1
	s_add_co_i32 s34, s34, 0x10000
	s_wait_alu 0xfffe
	s_cmp_ge_u32 s34, s33
	s_cbranch_scc1 .LBB113_67
.LBB113_4:                              ; =>This Loop Header: Depth=1
                                        ;     Child Loop BB113_7 Depth 2
                                        ;       Child Loop BB113_10 Depth 3
	s_and_not1_b32 vcc_lo, exec_lo, s48
	s_wait_alu 0xfffe
	s_cbranch_vccnz .LBB113_3
; %bb.5:                                ;   in Loop: Header=BB113_4 Depth=1
	v_mad_co_u64_u32 v[26:27], null, s12, s34, v[20:21]
	s_load_b32 s9, s[40:41], 0x4
	v_mad_co_u64_u32 v[28:29], null, s10, s34, v[22:23]
	s_mul_i32 s6, s11, s34
	v_mad_co_u64_u32 v[30:31], null, s10, s34, v[24:25]
	v_mov_b32_e32 v2, v27
	s_mul_u64 s[4:5], s[26:27], s[34:35]
	s_wait_alu 0xfffe
	v_dual_mov_b32 v32, v69 :: v_dual_add_nc_u32 v29, s6, v29
	s_lshl_b64 s[4:5], s[4:5], 4
	v_mad_co_u64_u32 v[2:3], null, s13, s34, v[2:3]
	s_delay_alu instid0(VALU_DEP_4) | instskip(SKIP_3) | instid1(VALU_DEP_2)
	v_add_nc_u32_e32 v31, s6, v31
	s_wait_alu 0xfffe
	s_add_nc_u64 s[18:19], s[20:21], s[4:5]
	s_mov_b32 s54, s39
	v_mov_b32_e32 v27, v2
	s_wait_kmcnt 0x0
	s_lshl_b32 s53, s9, 5
	s_branch .LBB113_7
.LBB113_6:                              ;   in Loop: Header=BB113_7 Depth=2
	s_wait_alu 0xfffe
	s_or_b32 exec_lo, exec_lo, s4
	v_add_nc_u32_e32 v32, s53, v32
	s_add_co_i32 s54, s9, s54
	s_wait_alu 0xfffe
	s_cmp_gt_i32 s54, s46
	s_cbranch_scc1 .LBB113_3
.LBB113_7:                              ;   Parent Loop BB113_4 Depth=1
                                        ; =>  This Loop Header: Depth=2
                                        ;       Child Loop BB113_10 Depth 3
	s_wait_alu 0xfffe
	v_lshl_add_u32 v70, s54, 5, v58
	s_and_not1_b32 vcc_lo, exec_lo, s50
	s_delay_alu instid0(VALU_DEP_1)
	v_ashrrev_i32_e32 v71, 31, v70
	s_wait_alu 0xfffe
	s_cbranch_vccnz .LBB113_58
; %bb.8:                                ;   in Loop: Header=BB113_7 Depth=2
	v_ashrrev_i32_e32 v33, 31, v32
	v_mad_co_u64_u32 v[34:35], null, s14, v32, v[26:27]
	v_mul_lo_u32 v36, s15, v32
	v_mov_b32_e32 v46, 0
	s_delay_alu instid0(VALU_DEP_4)
	v_lshlrev_b64_e32 v[2:3], 4, v[32:33]
	v_mul_lo_u32 v33, s14, v33
	v_mov_b32_e32 v44, 0
	v_mov_b32_e32 v40, 0
	v_dual_mov_b32 v52, 0 :: v_dual_mov_b32 v47, 0
	v_mov_b32_e32 v48, 0
	v_add_co_u32 v37, vcc_lo, 0x100, v2
	s_wait_alu 0xfffd
	v_add_co_ci_u32_e64 v38, null, 0, v3, vcc_lo
	v_sub_co_u32 v2, vcc_lo, s47, v70
	v_add3_u32 v35, v36, v35, v33
	s_delay_alu instid0(VALU_DEP_3)
	v_mul_lo_u32 v33, s16, v38
	v_mul_lo_u32 v54, s17, v37
	v_mad_co_u64_u32 v[36:37], null, s16, v37, v[26:27]
	s_wait_alu 0xfffd
	v_sub_co_ci_u32_e64 v3, null, s52, v71, vcc_lo
	v_dual_mov_b32 v45, 0 :: v_dual_mov_b32 v42, 0
	v_dual_mov_b32 v41, 0 :: v_dual_mov_b32 v38, 0
	s_delay_alu instid0(VALU_DEP_3)
	v_cmp_lt_i64_e64 s4, 16, v[2:3]
	v_dual_mov_b32 v53, 0 :: v_dual_mov_b32 v50, 0
	v_mov_b32_e32 v49, 0
	v_mov_b32_e32 v43, 0
	;; [unrolled: 1-line block ×4, first 2 shown]
	v_add3_u32 v37, v54, v37, v33
	s_mov_b64 s[36:37], 0
	s_mov_b64 s[44:45], 0
	v_cmp_lt_i64_e32 vcc_lo, 0, v[2:3]
	s_branch .LBB113_10
.LBB113_9:                              ;   in Loop: Header=BB113_10 Depth=3
	s_wait_alu 0xfffe
	s_or_b32 exec_lo, exec_lo, s5
	s_wait_dscnt 0x0
	s_barrier_signal -1
	s_barrier_wait -1
	global_inv scope:SCOPE_SE
	ds_load_b128 v[54:57], v60
	ds_load_b128 v[72:75], v60 offset:16
	ds_load_b128 v[76:79], v60 offset:32
	;; [unrolled: 1-line block ×3, first 2 shown]
	ds_load_b128 v[84:87], v59
	s_add_nc_u64 s[44:45], s[44:45], 32
	s_add_nc_u64 s[36:37], s[36:37], 0x200
	s_wait_alu 0xfffe
	s_cmp_ge_i32 s44, s49
	s_wait_dscnt 0x0
	v_mul_f64_e32 v[2:3], v[56:57], v[86:87]
	v_mul_f64_e32 v[88:89], v[54:55], v[86:87]
	s_delay_alu instid0(VALU_DEP_2) | instskip(NEXT) | instid1(VALU_DEP_2)
	v_fma_f64 v[2:3], v[54:55], v[84:85], -v[2:3]
	v_fma_f64 v[88:89], v[56:57], v[84:85], v[88:89]
	s_delay_alu instid0(VALU_DEP_2) | instskip(NEXT) | instid1(VALU_DEP_2)
	v_add_f64_e32 v[2:3], v[50:51], v[2:3]
	v_add_f64_e32 v[88:89], v[88:89], v[52:53]
	ds_load_b128 v[50:53], v59 offset:256
	s_wait_dscnt 0x0
	v_mul_f64_e32 v[90:91], v[56:57], v[52:53]
	s_delay_alu instid0(VALU_DEP_1) | instskip(SKIP_1) | instid1(VALU_DEP_1)
	v_fma_f64 v[90:91], v[54:55], v[50:51], -v[90:91]
	v_mul_f64_e32 v[54:55], v[54:55], v[52:53]
	v_fma_f64 v[54:55], v[56:57], v[50:51], v[54:55]
	s_delay_alu instid0(VALU_DEP_3) | instskip(NEXT) | instid1(VALU_DEP_2)
	v_add_f64_e32 v[56:57], v[38:39], v[90:91]
	v_add_f64_e32 v[54:55], v[54:55], v[40:41]
	ds_load_b128 v[38:41], v60 offset:8192
	s_wait_dscnt 0x0
	v_mul_f64_e32 v[90:91], v[40:41], v[86:87]
	v_mul_f64_e32 v[86:87], v[38:39], v[86:87]
	s_delay_alu instid0(VALU_DEP_2) | instskip(NEXT) | instid1(VALU_DEP_2)
	v_fma_f64 v[90:91], v[38:39], v[84:85], -v[90:91]
	v_fma_f64 v[84:85], v[40:41], v[84:85], v[86:87]
	s_delay_alu instid0(VALU_DEP_2) | instskip(SKIP_1) | instid1(VALU_DEP_3)
	v_add_f64_e32 v[86:87], v[42:43], v[90:91]
	v_mul_f64_e32 v[42:43], v[40:41], v[52:53]
	v_add_f64_e32 v[84:85], v[84:85], v[44:45]
	s_delay_alu instid0(VALU_DEP_2) | instskip(SKIP_1) | instid1(VALU_DEP_1)
	v_fma_f64 v[42:43], v[38:39], v[50:51], -v[42:43]
	v_mul_f64_e32 v[38:39], v[38:39], v[52:53]
	v_fma_f64 v[38:39], v[40:41], v[50:51], v[38:39]
	s_delay_alu instid0(VALU_DEP_3) | instskip(NEXT) | instid1(VALU_DEP_2)
	v_add_f64_e32 v[50:51], v[48:49], v[42:43]
	v_add_f64_e32 v[52:53], v[38:39], v[46:47]
	ds_load_b128 v[38:41], v59 offset:512
	s_wait_dscnt 0x0
	v_mul_f64_e32 v[42:43], v[74:75], v[40:41]
	v_mul_f64_e32 v[44:45], v[72:73], v[40:41]
	s_delay_alu instid0(VALU_DEP_2) | instskip(NEXT) | instid1(VALU_DEP_2)
	v_fma_f64 v[42:43], v[72:73], v[38:39], -v[42:43]
	v_fma_f64 v[44:45], v[74:75], v[38:39], v[44:45]
	s_delay_alu instid0(VALU_DEP_2) | instskip(NEXT) | instid1(VALU_DEP_2)
	v_add_f64_e32 v[2:3], v[2:3], v[42:43]
	v_add_f64_e32 v[88:89], v[44:45], v[88:89]
	ds_load_b128 v[42:45], v59 offset:768
	s_wait_dscnt 0x0
	v_mul_f64_e32 v[46:47], v[74:75], v[44:45]
	v_mul_f64_e32 v[48:49], v[72:73], v[44:45]
	s_delay_alu instid0(VALU_DEP_2) | instskip(NEXT) | instid1(VALU_DEP_2)
	v_fma_f64 v[46:47], v[72:73], v[42:43], -v[46:47]
	v_fma_f64 v[48:49], v[74:75], v[42:43], v[48:49]
	s_delay_alu instid0(VALU_DEP_2) | instskip(NEXT) | instid1(VALU_DEP_2)
	v_add_f64_e32 v[56:57], v[56:57], v[46:47]
	v_add_f64_e32 v[54:55], v[48:49], v[54:55]
	ds_load_b128 v[46:49], v60 offset:8208
	s_wait_dscnt 0x0
	v_mul_f64_e32 v[72:73], v[48:49], v[40:41]
	v_mul_f64_e32 v[40:41], v[46:47], v[40:41]
	s_delay_alu instid0(VALU_DEP_2) | instskip(NEXT) | instid1(VALU_DEP_2)
	v_fma_f64 v[72:73], v[46:47], v[38:39], -v[72:73]
	v_fma_f64 v[38:39], v[48:49], v[38:39], v[40:41]
	v_mul_f64_e32 v[40:41], v[46:47], v[44:45]
	s_delay_alu instid0(VALU_DEP_3) | instskip(NEXT) | instid1(VALU_DEP_3)
	v_add_f64_e32 v[72:73], v[86:87], v[72:73]
	v_add_f64_e32 v[74:75], v[38:39], v[84:85]
	v_mul_f64_e32 v[38:39], v[48:49], v[44:45]
	s_delay_alu instid0(VALU_DEP_4) | instskip(NEXT) | instid1(VALU_DEP_2)
	v_fma_f64 v[40:41], v[48:49], v[42:43], v[40:41]
	v_fma_f64 v[38:39], v[46:47], v[42:43], -v[38:39]
	s_delay_alu instid0(VALU_DEP_2) | instskip(NEXT) | instid1(VALU_DEP_2)
	v_add_f64_e32 v[52:53], v[40:41], v[52:53]
	v_add_f64_e32 v[50:51], v[50:51], v[38:39]
	ds_load_b128 v[38:41], v59 offset:1024
	s_wait_dscnt 0x0
	v_mul_f64_e32 v[42:43], v[78:79], v[40:41]
	v_mul_f64_e32 v[44:45], v[76:77], v[40:41]
	s_delay_alu instid0(VALU_DEP_2) | instskip(NEXT) | instid1(VALU_DEP_2)
	v_fma_f64 v[42:43], v[76:77], v[38:39], -v[42:43]
	v_fma_f64 v[44:45], v[78:79], v[38:39], v[44:45]
	s_delay_alu instid0(VALU_DEP_2) | instskip(NEXT) | instid1(VALU_DEP_2)
	v_add_f64_e32 v[2:3], v[2:3], v[42:43]
	v_add_f64_e32 v[84:85], v[44:45], v[88:89]
	ds_load_b128 v[42:45], v59 offset:1280
	s_wait_dscnt 0x0
	v_mul_f64_e32 v[46:47], v[78:79], v[44:45]
	v_mul_f64_e32 v[48:49], v[76:77], v[44:45]
	s_delay_alu instid0(VALU_DEP_2) | instskip(NEXT) | instid1(VALU_DEP_2)
	v_fma_f64 v[46:47], v[76:77], v[42:43], -v[46:47]
	v_fma_f64 v[48:49], v[78:79], v[42:43], v[48:49]
	s_delay_alu instid0(VALU_DEP_2) | instskip(NEXT) | instid1(VALU_DEP_2)
	v_add_f64_e32 v[56:57], v[56:57], v[46:47]
	v_add_f64_e32 v[54:55], v[48:49], v[54:55]
	ds_load_b128 v[46:49], v60 offset:8224
	s_wait_dscnt 0x0
	v_mul_f64_e32 v[76:77], v[48:49], v[40:41]
	v_mul_f64_e32 v[40:41], v[46:47], v[40:41]
	s_delay_alu instid0(VALU_DEP_2) | instskip(NEXT) | instid1(VALU_DEP_2)
	v_fma_f64 v[76:77], v[46:47], v[38:39], -v[76:77]
	v_fma_f64 v[38:39], v[48:49], v[38:39], v[40:41]
	v_mul_f64_e32 v[40:41], v[46:47], v[44:45]
	s_delay_alu instid0(VALU_DEP_3) | instskip(NEXT) | instid1(VALU_DEP_3)
	v_add_f64_e32 v[72:73], v[72:73], v[76:77]
	v_add_f64_e32 v[74:75], v[38:39], v[74:75]
	v_mul_f64_e32 v[38:39], v[48:49], v[44:45]
	s_delay_alu instid0(VALU_DEP_4) | instskip(NEXT) | instid1(VALU_DEP_2)
	v_fma_f64 v[40:41], v[48:49], v[42:43], v[40:41]
	v_fma_f64 v[38:39], v[46:47], v[42:43], -v[38:39]
	s_delay_alu instid0(VALU_DEP_2) | instskip(NEXT) | instid1(VALU_DEP_2)
	;; [unrolled: 38-line block ×3, first 2 shown]
	v_add_f64_e32 v[52:53], v[40:41], v[52:53]
	v_add_f64_e32 v[50:51], v[50:51], v[38:39]
	ds_load_b128 v[38:41], v60 offset:64
	ds_load_b128 v[42:45], v59 offset:2048
	s_wait_dscnt 0x0
	v_mul_f64_e32 v[46:47], v[40:41], v[44:45]
	v_mul_f64_e32 v[48:49], v[38:39], v[44:45]
	s_delay_alu instid0(VALU_DEP_2) | instskip(NEXT) | instid1(VALU_DEP_2)
	v_fma_f64 v[46:47], v[38:39], v[42:43], -v[46:47]
	v_fma_f64 v[48:49], v[40:41], v[42:43], v[48:49]
	s_delay_alu instid0(VALU_DEP_2) | instskip(NEXT) | instid1(VALU_DEP_2)
	v_add_f64_e32 v[2:3], v[2:3], v[46:47]
	v_add_f64_e32 v[76:77], v[48:49], v[76:77]
	ds_load_b128 v[46:49], v59 offset:2304
	s_wait_dscnt 0x0
	v_mul_f64_e32 v[78:79], v[40:41], v[48:49]
	s_delay_alu instid0(VALU_DEP_1) | instskip(SKIP_1) | instid1(VALU_DEP_2)
	v_fma_f64 v[78:79], v[38:39], v[46:47], -v[78:79]
	v_mul_f64_e32 v[38:39], v[38:39], v[48:49]
	v_add_f64_e32 v[56:57], v[56:57], v[78:79]
	s_delay_alu instid0(VALU_DEP_2) | instskip(NEXT) | instid1(VALU_DEP_1)
	v_fma_f64 v[38:39], v[40:41], v[46:47], v[38:39]
	v_add_f64_e32 v[54:55], v[38:39], v[54:55]
	ds_load_b128 v[38:41], v60 offset:8256
	s_wait_dscnt 0x0
	v_mul_f64_e32 v[78:79], v[40:41], v[44:45]
	v_mul_f64_e32 v[44:45], v[38:39], v[44:45]
	s_delay_alu instid0(VALU_DEP_2) | instskip(NEXT) | instid1(VALU_DEP_2)
	v_fma_f64 v[78:79], v[38:39], v[42:43], -v[78:79]
	v_fma_f64 v[42:43], v[40:41], v[42:43], v[44:45]
	s_delay_alu instid0(VALU_DEP_2) | instskip(NEXT) | instid1(VALU_DEP_2)
	v_add_f64_e32 v[72:73], v[72:73], v[78:79]
	v_add_f64_e32 v[74:75], v[42:43], v[74:75]
	v_mul_f64_e32 v[42:43], v[40:41], v[48:49]
	s_delay_alu instid0(VALU_DEP_1) | instskip(SKIP_1) | instid1(VALU_DEP_2)
	v_fma_f64 v[42:43], v[38:39], v[46:47], -v[42:43]
	v_mul_f64_e32 v[38:39], v[38:39], v[48:49]
	v_add_f64_e32 v[50:51], v[50:51], v[42:43]
	s_delay_alu instid0(VALU_DEP_2) | instskip(NEXT) | instid1(VALU_DEP_1)
	v_fma_f64 v[38:39], v[40:41], v[46:47], v[38:39]
	v_add_f64_e32 v[52:53], v[38:39], v[52:53]
	ds_load_b128 v[38:41], v60 offset:80
	ds_load_b128 v[42:45], v59 offset:2560
	s_wait_dscnt 0x0
	v_mul_f64_e32 v[46:47], v[40:41], v[44:45]
	v_mul_f64_e32 v[48:49], v[38:39], v[44:45]
	s_delay_alu instid0(VALU_DEP_2) | instskip(NEXT) | instid1(VALU_DEP_2)
	v_fma_f64 v[46:47], v[38:39], v[42:43], -v[46:47]
	v_fma_f64 v[48:49], v[40:41], v[42:43], v[48:49]
	s_delay_alu instid0(VALU_DEP_2) | instskip(NEXT) | instid1(VALU_DEP_2)
	v_add_f64_e32 v[2:3], v[2:3], v[46:47]
	v_add_f64_e32 v[76:77], v[48:49], v[76:77]
	ds_load_b128 v[46:49], v59 offset:2816
	s_wait_dscnt 0x0
	v_mul_f64_e32 v[78:79], v[40:41], v[48:49]
	s_delay_alu instid0(VALU_DEP_1) | instskip(SKIP_1) | instid1(VALU_DEP_2)
	v_fma_f64 v[78:79], v[38:39], v[46:47], -v[78:79]
	v_mul_f64_e32 v[38:39], v[38:39], v[48:49]
	v_add_f64_e32 v[56:57], v[56:57], v[78:79]
	s_delay_alu instid0(VALU_DEP_2) | instskip(NEXT) | instid1(VALU_DEP_1)
	v_fma_f64 v[38:39], v[40:41], v[46:47], v[38:39]
	v_add_f64_e32 v[54:55], v[38:39], v[54:55]
	ds_load_b128 v[38:41], v60 offset:8272
	s_wait_dscnt 0x0
	v_mul_f64_e32 v[78:79], v[40:41], v[44:45]
	v_mul_f64_e32 v[44:45], v[38:39], v[44:45]
	s_delay_alu instid0(VALU_DEP_2) | instskip(NEXT) | instid1(VALU_DEP_2)
	v_fma_f64 v[78:79], v[38:39], v[42:43], -v[78:79]
	v_fma_f64 v[42:43], v[40:41], v[42:43], v[44:45]
	s_delay_alu instid0(VALU_DEP_2) | instskip(NEXT) | instid1(VALU_DEP_2)
	v_add_f64_e32 v[72:73], v[72:73], v[78:79]
	v_add_f64_e32 v[74:75], v[42:43], v[74:75]
	v_mul_f64_e32 v[42:43], v[40:41], v[48:49]
	s_delay_alu instid0(VALU_DEP_1) | instskip(SKIP_1) | instid1(VALU_DEP_2)
	v_fma_f64 v[42:43], v[38:39], v[46:47], -v[42:43]
	v_mul_f64_e32 v[38:39], v[38:39], v[48:49]
	v_add_f64_e32 v[50:51], v[50:51], v[42:43]
	s_delay_alu instid0(VALU_DEP_2) | instskip(NEXT) | instid1(VALU_DEP_1)
	v_fma_f64 v[38:39], v[40:41], v[46:47], v[38:39]
	;; [unrolled: 39-line block ×27, first 2 shown]
	v_add_f64_e32 v[80:81], v[38:39], v[52:53]
	ds_load_b128 v[38:41], v60 offset:496
	ds_load_b128 v[42:45], v59 offset:15872
	s_wait_dscnt 0x0
	v_mul_f64_e32 v[46:47], v[40:41], v[44:45]
	v_mul_f64_e32 v[48:49], v[38:39], v[44:45]
	s_delay_alu instid0(VALU_DEP_2) | instskip(NEXT) | instid1(VALU_DEP_2)
	v_fma_f64 v[46:47], v[38:39], v[42:43], -v[46:47]
	v_fma_f64 v[48:49], v[40:41], v[42:43], v[48:49]
	s_delay_alu instid0(VALU_DEP_2) | instskip(NEXT) | instid1(VALU_DEP_2)
	v_add_f64_e32 v[50:51], v[2:3], v[46:47]
	v_add_f64_e32 v[52:53], v[48:49], v[76:77]
	ds_load_b128 v[46:49], v59 offset:16128
	s_wait_dscnt 0x0
	v_mul_f64_e32 v[2:3], v[40:41], v[48:49]
	s_delay_alu instid0(VALU_DEP_1) | instskip(SKIP_1) | instid1(VALU_DEP_1)
	v_fma_f64 v[2:3], v[38:39], v[46:47], -v[2:3]
	v_mul_f64_e32 v[38:39], v[38:39], v[48:49]
	v_fma_f64 v[40:41], v[40:41], v[46:47], v[38:39]
	s_delay_alu instid0(VALU_DEP_3) | instskip(NEXT) | instid1(VALU_DEP_2)
	v_add_f64_e32 v[38:39], v[56:57], v[2:3]
	v_add_f64_e32 v[40:41], v[40:41], v[54:55]
	ds_load_b128 v[54:57], v60 offset:8688
	s_wait_loadcnt_dscnt 0x0
	s_barrier_signal -1
	s_barrier_wait -1
	global_inv scope:SCOPE_SE
	v_mul_f64_e32 v[2:3], v[56:57], v[44:45]
	v_mul_f64_e32 v[44:45], v[54:55], v[44:45]
	s_delay_alu instid0(VALU_DEP_2) | instskip(NEXT) | instid1(VALU_DEP_2)
	v_fma_f64 v[2:3], v[54:55], v[42:43], -v[2:3]
	v_fma_f64 v[44:45], v[56:57], v[42:43], v[44:45]
	s_delay_alu instid0(VALU_DEP_2) | instskip(SKIP_2) | instid1(VALU_DEP_4)
	v_add_f64_e32 v[42:43], v[72:73], v[2:3]
	v_mul_f64_e32 v[2:3], v[56:57], v[48:49]
	v_mul_f64_e32 v[48:49], v[54:55], v[48:49]
	v_add_f64_e32 v[44:45], v[44:45], v[74:75]
	s_delay_alu instid0(VALU_DEP_3) | instskip(NEXT) | instid1(VALU_DEP_3)
	v_fma_f64 v[2:3], v[54:55], v[46:47], -v[2:3]
	v_fma_f64 v[46:47], v[56:57], v[46:47], v[48:49]
	s_delay_alu instid0(VALU_DEP_2) | instskip(NEXT) | instid1(VALU_DEP_2)
	v_add_f64_e32 v[48:49], v[78:79], v[2:3]
	v_add_f64_e32 v[46:47], v[46:47], v[80:81]
	s_cbranch_scc1 .LBB113_59
.LBB113_10:                             ;   Parent Loop BB113_4 Depth=1
                                        ;     Parent Loop BB113_7 Depth=2
                                        ; =>    This Inner Loop Header: Depth=3
	s_wait_alu 0xfffe
	v_add_co_u32 v56, s5, v4, s44
	s_wait_alu 0xf1ff
	v_add_co_ci_u32_e64 v57, null, s45, v5, s5
	v_cmp_eq_u64_e64 s7, s[44:45], v[12:13]
	s_delay_alu instid0(VALU_DEP_2)
	v_cmp_le_i64_e64 s6, s[42:43], v[56:57]
	v_cmp_lt_i64_e64 s5, v[56:57], v[6:7]
	s_and_b32 s56, s51, s7
	v_add_co_u32 v54, s7, v28, s36
	s_wait_alu 0xf1ff
	v_add_co_ci_u32_e64 v55, null, s37, v29, s7
	s_or_b32 s8, s6, s5
	s_wait_alu 0xfffe
	s_or_b32 s7, s8, s56
	s_wait_alu 0xfffe
	s_nor_b32 s7, s0, s7
	s_wait_alu 0xfffe
	s_and_saveexec_b32 s8, s7
	s_wait_alu 0xfffe
	s_xor_b32 s7, exec_lo, s8
	s_cbranch_execz .LBB113_12
; %bb.11:                               ;   in Loop: Header=BB113_10 Depth=3
	global_load_b128 v[72:75], v[54:55], off offset:-256
	s_wait_loadcnt 0x0
	ds_store_2addr_b64 v61, v[72:73], v[74:75] offset1:1
.LBB113_12:                             ;   in Loop: Header=BB113_10 Depth=3
	s_wait_alu 0xfffe
	s_or_saveexec_b32 s7, s7
	s_xor_b32 s55, s56, -1
	s_wait_alu 0xfffe
	s_xor_b32 exec_lo, exec_lo, s7
	s_cbranch_execz .LBB113_18
; %bb.13:                               ;   in Loop: Header=BB113_10 Depth=3
	s_and_saveexec_b32 s8, s55
	s_wait_alu 0xfffe
	s_xor_b32 s8, exec_lo, s8
; %bb.14:                               ;   in Loop: Header=BB113_10 Depth=3
	v_dual_mov_b32 v72, v0 :: v_dual_mov_b32 v73, v0
	v_dual_mov_b32 v74, v0 :: v_dual_mov_b32 v75, v0
	ds_store_b128 v61, v[72:75]
; %bb.15:                               ;   in Loop: Header=BB113_10 Depth=3
	s_wait_alu 0xfffe
	s_and_not1_saveexec_b32 s8, s8
; %bb.16:                               ;   in Loop: Header=BB113_10 Depth=3
	v_dual_mov_b32 v2, v0 :: v_dual_mov_b32 v3, v0
	ds_store_b128 v61, v[0:3]
; %bb.17:                               ;   in Loop: Header=BB113_10 Depth=3
	s_wait_alu 0xfffe
	s_or_b32 exec_lo, exec_lo, s8
.LBB113_18:                             ;   in Loop: Header=BB113_10 Depth=3
	s_delay_alu instid0(SALU_CYCLE_1)
	s_or_b32 exec_lo, exec_lo, s7
	v_cmp_eq_u64_e64 s7, s[44:45], v[14:15]
	v_cmp_gt_i64_e64 s8, v[10:11], v[56:57]
	s_and_b32 s7, s51, s7
	s_or_b32 s6, s6, s8
	s_wait_alu 0xfffe
	s_or_b32 s6, s6, s7
	s_wait_alu 0xfffe
	s_nor_b32 s6, s1, s6
	s_wait_alu 0xfffe
	s_and_saveexec_b32 s8, s6
	s_wait_alu 0xfffe
	s_xor_b32 s8, exec_lo, s8
	s_cbranch_execz .LBB113_20
; %bb.19:                               ;   in Loop: Header=BB113_10 Depth=3
	v_add_co_u32 v2, s6, v30, s36
	s_wait_alu 0xf1ff
	v_add_co_ci_u32_e64 v3, null, s37, v31, s6
	global_load_b128 v[72:75], v[2:3], off
	s_wait_loadcnt 0x0
	ds_store_2addr_b64 v63, v[72:73], v[74:75] offset1:1
.LBB113_20:                             ;   in Loop: Header=BB113_10 Depth=3
	s_wait_alu 0xfffe
	s_and_not1_saveexec_b32 s6, s8
	s_cbranch_execz .LBB113_26
; %bb.21:                               ;   in Loop: Header=BB113_10 Depth=3
	s_xor_b32 s7, s7, -1
	s_wait_alu 0xfffe
	s_and_saveexec_b32 s8, s7
	s_wait_alu 0xfffe
	s_xor_b32 s7, exec_lo, s8
; %bb.22:                               ;   in Loop: Header=BB113_10 Depth=3
	v_dual_mov_b32 v72, v0 :: v_dual_mov_b32 v73, v0
	v_dual_mov_b32 v74, v0 :: v_dual_mov_b32 v75, v0
	ds_store_b128 v61, v[72:75] offset:256
; %bb.23:                               ;   in Loop: Header=BB113_10 Depth=3
	s_wait_alu 0xfffe
	s_and_not1_saveexec_b32 s7, s7
; %bb.24:                               ;   in Loop: Header=BB113_10 Depth=3
	v_dual_mov_b32 v2, v0 :: v_dual_mov_b32 v3, v0
	ds_store_b128 v61, v[0:3] offset:256
; %bb.25:                               ;   in Loop: Header=BB113_10 Depth=3
	s_wait_alu 0xfffe
	s_or_b32 exec_lo, exec_lo, s7
.LBB113_26:                             ;   in Loop: Header=BB113_10 Depth=3
	s_wait_alu 0xfffe
	s_or_b32 exec_lo, exec_lo, s6
	v_add_co_u32 v2, s6, v56, 16
	s_wait_alu 0xf1ff
	v_add_co_ci_u32_e64 v3, null, 0, v57, s6
	v_cmp_eq_u64_e64 s7, s[44:45], v[18:19]
	s_delay_alu instid0(VALU_DEP_2)
	v_cmp_le_i64_e64 s6, s[42:43], v[2:3]
	v_cmp_lt_i64_e64 s8, v[2:3], v[6:7]
	s_and_b32 s57, s51, s7
	s_or_b32 s7, s6, s8
	s_wait_alu 0xfffe
	s_or_b32 s7, s7, s57
	s_wait_alu 0xfffe
	s_nor_b32 s7, s0, s7
	s_wait_alu 0xfffe
	s_and_saveexec_b32 s8, s7
	s_wait_alu 0xfffe
	s_xor_b32 s7, exec_lo, s8
	s_cbranch_execz .LBB113_28
; %bb.27:                               ;   in Loop: Header=BB113_10 Depth=3
	global_load_b128 v[54:57], v[54:55], off
	s_wait_loadcnt 0x0
	ds_store_2addr_b64 v64, v[54:55], v[56:57] offset1:1
.LBB113_28:                             ;   in Loop: Header=BB113_10 Depth=3
	s_wait_alu 0xfffe
	s_and_not1_saveexec_b32 s7, s7
	s_cbranch_execz .LBB113_34
; %bb.29:                               ;   in Loop: Header=BB113_10 Depth=3
	s_xor_b32 s8, s57, -1
	s_wait_alu 0xfffe
	s_and_saveexec_b32 s57, s8
	s_delay_alu instid0(SALU_CYCLE_1)
	s_xor_b32 s8, exec_lo, s57
; %bb.30:                               ;   in Loop: Header=BB113_10 Depth=3
	v_dual_mov_b32 v54, v0 :: v_dual_mov_b32 v55, v0
	v_dual_mov_b32 v56, v0 :: v_dual_mov_b32 v57, v0
	ds_store_b128 v61, v[54:57] offset:8192
; %bb.31:                               ;   in Loop: Header=BB113_10 Depth=3
	s_wait_alu 0xfffe
	s_and_not1_saveexec_b32 s8, s8
; %bb.32:                               ;   in Loop: Header=BB113_10 Depth=3
	v_dual_mov_b32 v2, v0 :: v_dual_mov_b32 v3, v0
	ds_store_b128 v61, v[0:3] offset:8192
; %bb.33:                               ;   in Loop: Header=BB113_10 Depth=3
	s_wait_alu 0xfffe
	s_or_b32 exec_lo, exec_lo, s8
.LBB113_34:                             ;   in Loop: Header=BB113_10 Depth=3
	s_wait_alu 0xfffe
	s_or_b32 exec_lo, exec_lo, s7
	s_or_b32 s5, s6, s5
	s_wait_alu 0xfffe
	s_or_b32 s5, s5, s56
	s_wait_alu 0xfffe
	s_nor_b32 s5, s1, s5
	s_wait_alu 0xfffe
	s_and_saveexec_b32 s6, s5
	s_wait_alu 0xfffe
	s_xor_b32 s6, exec_lo, s6
	s_cbranch_execz .LBB113_36
; %bb.35:                               ;   in Loop: Header=BB113_10 Depth=3
	v_add_co_u32 v2, s5, v30, s36
	s_wait_alu 0xf1ff
	v_add_co_ci_u32_e64 v3, null, s37, v31, s5
	global_load_b128 v[54:57], v[2:3], off offset:256
	s_wait_loadcnt 0x0
	ds_store_2addr_b64 v65, v[54:55], v[56:57] offset1:1
.LBB113_36:                             ;   in Loop: Header=BB113_10 Depth=3
	s_wait_alu 0xfffe
	s_and_not1_saveexec_b32 s5, s6
	s_cbranch_execz .LBB113_42
; %bb.37:                               ;   in Loop: Header=BB113_10 Depth=3
	s_and_saveexec_b32 s6, s55
	s_wait_alu 0xfffe
	s_xor_b32 s6, exec_lo, s6
; %bb.38:                               ;   in Loop: Header=BB113_10 Depth=3
	v_dual_mov_b32 v54, v0 :: v_dual_mov_b32 v55, v0
	v_dual_mov_b32 v56, v0 :: v_dual_mov_b32 v57, v0
	ds_store_b128 v61, v[54:57] offset:8448
; %bb.39:                               ;   in Loop: Header=BB113_10 Depth=3
	s_wait_alu 0xfffe
	s_and_not1_saveexec_b32 s6, s6
; %bb.40:                               ;   in Loop: Header=BB113_10 Depth=3
	v_dual_mov_b32 v2, v0 :: v_dual_mov_b32 v3, v0
	ds_store_b128 v61, v[0:3] offset:8448
; %bb.41:                               ;   in Loop: Header=BB113_10 Depth=3
	s_wait_alu 0xfffe
	s_or_b32 exec_lo, exec_lo, s6
.LBB113_42:                             ;   in Loop: Header=BB113_10 Depth=3
	s_wait_alu 0xfffe
	s_or_b32 exec_lo, exec_lo, s5
	v_add_co_u32 v2, s5, v6, s44
	s_wait_alu 0xf1ff
	v_add_co_ci_u32_e64 v3, null, s45, v7, s5
	s_delay_alu instid0(VALU_DEP_1)
	v_cmp_gt_i64_e64 s5, s[42:43], v[2:3]
	s_and_b32 s6, vcc_lo, s5
	s_wait_alu 0xfffe
	s_xor_b32 s6, s6, -1
	s_wait_alu 0xfffe
	s_and_saveexec_b32 s7, s6
	s_wait_alu 0xfffe
	s_xor_b32 s6, exec_lo, s7
; %bb.43:                               ;   in Loop: Header=BB113_10 Depth=3
	v_dual_mov_b32 v54, v0 :: v_dual_mov_b32 v55, v0
	v_dual_mov_b32 v56, v0 :: v_dual_mov_b32 v57, v0
	ds_store_b128 v62, v[54:57]
; %bb.44:                               ;   in Loop: Header=BB113_10 Depth=3
	s_wait_alu 0xfffe
	s_or_saveexec_b32 s7, s6
	v_add_co_u32 v54, s6, v34, s36
	s_wait_alu 0xf1ff
	v_add_co_ci_u32_e64 v55, null, s37, v35, s6
	s_wait_alu 0xfffe
	s_xor_b32 exec_lo, exec_lo, s7
	s_cbranch_execz .LBB113_46
; %bb.45:                               ;   in Loop: Header=BB113_10 Depth=3
	global_load_b128 v[72:75], v[54:55], off offset:-256
	s_wait_loadcnt 0x0
	ds_store_2addr_b64 v62, v[72:73], v[74:75] offset1:1
.LBB113_46:                             ;   in Loop: Header=BB113_10 Depth=3
	s_or_b32 exec_lo, exec_lo, s7
	v_cmp_gt_i64_e64 s6, s[22:23], v[2:3]
	s_and_b32 s7, vcc_lo, s6
	s_wait_alu 0xfffe
	s_xor_b32 s7, s7, -1
	s_wait_alu 0xfffe
	s_and_saveexec_b32 s8, s7
	s_wait_alu 0xfffe
	s_xor_b32 s7, exec_lo, s8
; %bb.47:                               ;   in Loop: Header=BB113_10 Depth=3
	v_dual_mov_b32 v54, v0 :: v_dual_mov_b32 v55, v0
	v_dual_mov_b32 v56, v0 :: v_dual_mov_b32 v57, v0
	ds_store_b128 v62, v[54:57] offset:256
                                        ; implicit-def: $vgpr54_vgpr55
; %bb.48:                               ;   in Loop: Header=BB113_10 Depth=3
	s_wait_alu 0xfffe
	s_and_not1_saveexec_b32 s7, s7
	s_cbranch_execz .LBB113_50
; %bb.49:                               ;   in Loop: Header=BB113_10 Depth=3
	global_load_b128 v[54:57], v[54:55], off
	s_wait_loadcnt 0x0
	ds_store_2addr_b64 v66, v[54:55], v[56:57] offset1:1
.LBB113_50:                             ;   in Loop: Header=BB113_10 Depth=3
	s_wait_alu 0xfffe
	s_or_b32 exec_lo, exec_lo, s7
	s_and_b32 s5, s4, s5
	s_wait_alu 0xfffe
	s_xor_b32 s5, s5, -1
	s_wait_alu 0xfffe
	s_and_saveexec_b32 s7, s5
	s_wait_alu 0xfffe
	s_xor_b32 s5, exec_lo, s7
; %bb.51:                               ;   in Loop: Header=BB113_10 Depth=3
	v_dual_mov_b32 v54, v0 :: v_dual_mov_b32 v55, v0
	v_dual_mov_b32 v56, v0 :: v_dual_mov_b32 v57, v0
	ds_store_b128 v62, v[54:57] offset:8192
; %bb.52:                               ;   in Loop: Header=BB113_10 Depth=3
	s_wait_alu 0xfffe
	s_or_saveexec_b32 s7, s5
	v_add_co_u32 v2, s5, v36, s36
	s_wait_alu 0xf1ff
	v_add_co_ci_u32_e64 v3, null, s37, v37, s5
	s_wait_alu 0xfffe
	s_xor_b32 exec_lo, exec_lo, s7
	s_cbranch_execz .LBB113_54
; %bb.53:                               ;   in Loop: Header=BB113_10 Depth=3
	global_load_b128 v[54:57], v[2:3], off offset:-256
	s_wait_loadcnt 0x0
	ds_store_2addr_b64 v67, v[54:55], v[56:57] offset1:1
.LBB113_54:                             ;   in Loop: Header=BB113_10 Depth=3
	s_or_b32 exec_lo, exec_lo, s7
	s_and_b32 s5, s4, s6
	s_wait_alu 0xfffe
	s_xor_b32 s5, s5, -1
	s_wait_alu 0xfffe
	s_and_saveexec_b32 s6, s5
	s_wait_alu 0xfffe
	s_xor_b32 s5, exec_lo, s6
; %bb.55:                               ;   in Loop: Header=BB113_10 Depth=3
	v_dual_mov_b32 v54, v0 :: v_dual_mov_b32 v55, v0
	v_dual_mov_b32 v56, v0 :: v_dual_mov_b32 v57, v0
                                        ; implicit-def: $vgpr2_vgpr3
	ds_store_b128 v62, v[54:57] offset:8448
; %bb.56:                               ;   in Loop: Header=BB113_10 Depth=3
	s_wait_alu 0xfffe
	s_and_not1_saveexec_b32 s5, s5
	s_cbranch_execz .LBB113_9
; %bb.57:                               ;   in Loop: Header=BB113_10 Depth=3
	global_load_b128 v[54:57], v[2:3], off
	s_wait_loadcnt 0x0
	ds_store_2addr_b64 v68, v[54:55], v[56:57] offset1:1
	s_branch .LBB113_9
.LBB113_58:                             ;   in Loop: Header=BB113_7 Depth=2
	v_mov_b32_e32 v50, 0
	v_mov_b32_e32 v38, 0
	;; [unrolled: 1-line block ×3, first 2 shown]
	v_dual_mov_b32 v48, 0 :: v_dual_mov_b32 v51, 0
	v_dual_mov_b32 v52, 0 :: v_dual_mov_b32 v39, 0
	;; [unrolled: 1-line block ×5, first 2 shown]
	v_mov_b32_e32 v41, 0
	v_mov_b32_e32 v45, 0
	;; [unrolled: 1-line block ×3, first 2 shown]
.LBB113_59:                             ;   in Loop: Header=BB113_7 Depth=2
	v_mul_lo_u32 v33, s25, v70
	v_mul_lo_u32 v34, s24, v71
	v_mad_co_u64_u32 v[2:3], null, s24, v70, 0
	v_cmp_gt_i32_e32 vcc_lo, s38, v70
	s_delay_alu instid0(VALU_DEP_2) | instskip(NEXT) | instid1(VALU_DEP_1)
	v_add3_u32 v3, v3, v34, v33
	v_lshlrev_b64_e32 v[2:3], 4, v[2:3]
	s_delay_alu instid0(VALU_DEP_1) | instskip(SKIP_1) | instid1(VALU_DEP_2)
	v_add_co_u32 v2, s4, s18, v2
	s_wait_alu 0xf1ff
	v_add_co_ci_u32_e64 v3, null, s19, v3, s4
	s_and_b32 s4, s2, vcc_lo
	s_wait_alu 0xfffe
	s_and_saveexec_b32 s5, s4
	s_cbranch_execz .LBB113_61
; %bb.60:                               ;   in Loop: Header=BB113_7 Depth=2
	v_add_co_u32 v54, s4, v2, v16
	s_wait_alu 0xf1ff
	v_add_co_ci_u32_e64 v55, null, v3, v17, s4
	v_mul_f64_e32 v[56:57], s[30:31], v[52:53]
	v_mul_f64_e32 v[52:53], s[28:29], v[52:53]
	global_load_b128 v[33:36], v[54:55], off
	v_fma_f64 v[56:57], s[28:29], v[50:51], -v[56:57]
	v_fma_f64 v[50:51], s[30:31], v[50:51], v[52:53]
	s_wait_loadcnt 0x0
	s_delay_alu instid0(VALU_DEP_2) | instskip(NEXT) | instid1(VALU_DEP_2)
	v_add_f64_e32 v[33:34], v[33:34], v[56:57]
	v_add_f64_e32 v[35:36], v[50:51], v[35:36]
	global_store_b128 v[54:55], v[33:36], off
.LBB113_61:                             ;   in Loop: Header=BB113_7 Depth=2
	s_wait_alu 0xfffe
	s_or_b32 exec_lo, exec_lo, s5
	s_and_b32 s5, s3, vcc_lo
	s_wait_alu 0xfffe
	s_and_saveexec_b32 s4, s5
	s_cbranch_execz .LBB113_63
; %bb.62:                               ;   in Loop: Header=BB113_7 Depth=2
	v_lshlrev_b64_e32 v[33:34], 4, v[8:9]
	v_mul_f64_e32 v[50:51], s[30:31], v[40:41]
	v_mul_f64_e32 v[40:41], s[28:29], v[40:41]
	s_delay_alu instid0(VALU_DEP_3) | instskip(SKIP_1) | instid1(VALU_DEP_4)
	v_add_co_u32 v2, vcc_lo, v2, v33
	s_wait_alu 0xfffd
	v_add_co_ci_u32_e64 v3, null, v3, v34, vcc_lo
	global_load_b128 v[33:36], v[2:3], off
	v_fma_f64 v[50:51], s[28:29], v[38:39], -v[50:51]
	v_fma_f64 v[37:38], s[30:31], v[38:39], v[40:41]
	s_wait_loadcnt 0x0
	s_delay_alu instid0(VALU_DEP_2) | instskip(NEXT) | instid1(VALU_DEP_2)
	v_add_f64_e32 v[33:34], v[33:34], v[50:51]
	v_add_f64_e32 v[35:36], v[37:38], v[35:36]
	global_store_b128 v[2:3], v[33:36], off
.LBB113_63:                             ;   in Loop: Header=BB113_7 Depth=2
	s_wait_alu 0xfffe
	s_or_b32 exec_lo, exec_lo, s4
	v_add_nc_u32_e32 v33, 16, v70
	s_delay_alu instid0(VALU_DEP_1) | instskip(SKIP_3) | instid1(VALU_DEP_4)
	v_ashrrev_i32_e32 v34, 31, v33
	v_mul_lo_u32 v35, s25, v33
	v_mad_co_u64_u32 v[2:3], null, s24, v33, 0
	v_cmp_gt_i32_e32 vcc_lo, s38, v33
	v_mul_lo_u32 v34, s24, v34
	s_delay_alu instid0(VALU_DEP_1) | instskip(NEXT) | instid1(VALU_DEP_1)
	v_add3_u32 v3, v3, v34, v35
	v_lshlrev_b64_e32 v[2:3], 4, v[2:3]
	s_delay_alu instid0(VALU_DEP_1) | instskip(SKIP_1) | instid1(VALU_DEP_2)
	v_add_co_u32 v2, s4, s18, v2
	s_wait_alu 0xf1ff
	v_add_co_ci_u32_e64 v3, null, s19, v3, s4
	s_and_b32 s4, s2, vcc_lo
	s_wait_alu 0xfffe
	s_and_saveexec_b32 s5, s4
	s_cbranch_execz .LBB113_65
; %bb.64:                               ;   in Loop: Header=BB113_7 Depth=2
	v_add_co_u32 v37, s4, v2, v16
	s_wait_alu 0xf1ff
	v_add_co_ci_u32_e64 v38, null, v3, v17, s4
	v_mul_f64_e32 v[39:40], s[30:31], v[44:45]
	v_mul_f64_e32 v[44:45], s[28:29], v[44:45]
	global_load_b128 v[33:36], v[37:38], off
	v_fma_f64 v[39:40], s[28:29], v[42:43], -v[39:40]
	v_fma_f64 v[41:42], s[30:31], v[42:43], v[44:45]
	s_wait_loadcnt 0x0
	s_delay_alu instid0(VALU_DEP_2) | instskip(NEXT) | instid1(VALU_DEP_2)
	v_add_f64_e32 v[33:34], v[33:34], v[39:40]
	v_add_f64_e32 v[35:36], v[41:42], v[35:36]
	global_store_b128 v[37:38], v[33:36], off
.LBB113_65:                             ;   in Loop: Header=BB113_7 Depth=2
	s_wait_alu 0xfffe
	s_or_b32 exec_lo, exec_lo, s5
	s_and_b32 s5, s3, vcc_lo
	s_wait_alu 0xfffe
	s_and_saveexec_b32 s4, s5
	s_cbranch_execz .LBB113_6
; %bb.66:                               ;   in Loop: Header=BB113_7 Depth=2
	v_lshlrev_b64_e32 v[33:34], 4, v[8:9]
	v_mul_f64_e32 v[37:38], s[30:31], v[46:47]
	v_mul_f64_e32 v[39:40], s[28:29], v[46:47]
	s_delay_alu instid0(VALU_DEP_3) | instskip(SKIP_1) | instid1(VALU_DEP_4)
	v_add_co_u32 v2, vcc_lo, v2, v33
	s_wait_alu 0xfffd
	v_add_co_ci_u32_e64 v3, null, v3, v34, vcc_lo
	global_load_b128 v[33:36], v[2:3], off
	v_fma_f64 v[37:38], s[28:29], v[48:49], -v[37:38]
	v_fma_f64 v[39:40], s[30:31], v[48:49], v[39:40]
	s_wait_loadcnt 0x0
	s_delay_alu instid0(VALU_DEP_2) | instskip(NEXT) | instid1(VALU_DEP_2)
	v_add_f64_e32 v[33:34], v[33:34], v[37:38]
	v_add_f64_e32 v[35:36], v[39:40], v[35:36]
	global_store_b128 v[2:3], v[33:36], off
	s_branch .LBB113_6
.LBB113_67:
	s_endpgm
	.section	.rodata,"a",@progbits
	.p2align	6, 0x0
	.amdhsa_kernel _ZL30rocblas_trmm_outofplace_kernelI19rocblas_complex_numIdELi32ELi2ELb1ELb0ELb1ELb0ES1_KS1_S1_Ev17rocblas_diagonal_iiT6_lPT7_lllS6_lllPT8_llli
		.amdhsa_group_segment_fixed_size 32768
		.amdhsa_private_segment_fixed_size 0
		.amdhsa_kernarg_size 400
		.amdhsa_user_sgpr_count 2
		.amdhsa_user_sgpr_dispatch_ptr 0
		.amdhsa_user_sgpr_queue_ptr 0
		.amdhsa_user_sgpr_kernarg_segment_ptr 1
		.amdhsa_user_sgpr_dispatch_id 0
		.amdhsa_user_sgpr_private_segment_size 0
		.amdhsa_wavefront_size32 1
		.amdhsa_uses_dynamic_stack 0
		.amdhsa_enable_private_segment 0
		.amdhsa_system_sgpr_workgroup_id_x 1
		.amdhsa_system_sgpr_workgroup_id_y 1
		.amdhsa_system_sgpr_workgroup_id_z 1
		.amdhsa_system_sgpr_workgroup_info 0
		.amdhsa_system_vgpr_workitem_id 1
		.amdhsa_next_free_vgpr 92
		.amdhsa_next_free_sgpr 58
		.amdhsa_reserve_vcc 1
		.amdhsa_float_round_mode_32 0
		.amdhsa_float_round_mode_16_64 0
		.amdhsa_float_denorm_mode_32 3
		.amdhsa_float_denorm_mode_16_64 3
		.amdhsa_fp16_overflow 0
		.amdhsa_workgroup_processor_mode 1
		.amdhsa_memory_ordered 1
		.amdhsa_forward_progress 1
		.amdhsa_inst_pref_size 77
		.amdhsa_round_robin_scheduling 0
		.amdhsa_exception_fp_ieee_invalid_op 0
		.amdhsa_exception_fp_denorm_src 0
		.amdhsa_exception_fp_ieee_div_zero 0
		.amdhsa_exception_fp_ieee_overflow 0
		.amdhsa_exception_fp_ieee_underflow 0
		.amdhsa_exception_fp_ieee_inexact 0
		.amdhsa_exception_int_div_zero 0
	.end_amdhsa_kernel
	.section	.text._ZL30rocblas_trmm_outofplace_kernelI19rocblas_complex_numIdELi32ELi2ELb1ELb0ELb1ELb0ES1_KS1_S1_Ev17rocblas_diagonal_iiT6_lPT7_lllS6_lllPT8_llli,"axG",@progbits,_ZL30rocblas_trmm_outofplace_kernelI19rocblas_complex_numIdELi32ELi2ELb1ELb0ELb1ELb0ES1_KS1_S1_Ev17rocblas_diagonal_iiT6_lPT7_lllS6_lllPT8_llli,comdat
.Lfunc_end113:
	.size	_ZL30rocblas_trmm_outofplace_kernelI19rocblas_complex_numIdELi32ELi2ELb1ELb0ELb1ELb0ES1_KS1_S1_Ev17rocblas_diagonal_iiT6_lPT7_lllS6_lllPT8_llli, .Lfunc_end113-_ZL30rocblas_trmm_outofplace_kernelI19rocblas_complex_numIdELi32ELi2ELb1ELb0ELb1ELb0ES1_KS1_S1_Ev17rocblas_diagonal_iiT6_lPT7_lllS6_lllPT8_llli
                                        ; -- End function
	.set _ZL30rocblas_trmm_outofplace_kernelI19rocblas_complex_numIdELi32ELi2ELb1ELb0ELb1ELb0ES1_KS1_S1_Ev17rocblas_diagonal_iiT6_lPT7_lllS6_lllPT8_llli.num_vgpr, 92
	.set _ZL30rocblas_trmm_outofplace_kernelI19rocblas_complex_numIdELi32ELi2ELb1ELb0ELb1ELb0ES1_KS1_S1_Ev17rocblas_diagonal_iiT6_lPT7_lllS6_lllPT8_llli.num_agpr, 0
	.set _ZL30rocblas_trmm_outofplace_kernelI19rocblas_complex_numIdELi32ELi2ELb1ELb0ELb1ELb0ES1_KS1_S1_Ev17rocblas_diagonal_iiT6_lPT7_lllS6_lllPT8_llli.numbered_sgpr, 58
	.set _ZL30rocblas_trmm_outofplace_kernelI19rocblas_complex_numIdELi32ELi2ELb1ELb0ELb1ELb0ES1_KS1_S1_Ev17rocblas_diagonal_iiT6_lPT7_lllS6_lllPT8_llli.num_named_barrier, 0
	.set _ZL30rocblas_trmm_outofplace_kernelI19rocblas_complex_numIdELi32ELi2ELb1ELb0ELb1ELb0ES1_KS1_S1_Ev17rocblas_diagonal_iiT6_lPT7_lllS6_lllPT8_llli.private_seg_size, 0
	.set _ZL30rocblas_trmm_outofplace_kernelI19rocblas_complex_numIdELi32ELi2ELb1ELb0ELb1ELb0ES1_KS1_S1_Ev17rocblas_diagonal_iiT6_lPT7_lllS6_lllPT8_llli.uses_vcc, 1
	.set _ZL30rocblas_trmm_outofplace_kernelI19rocblas_complex_numIdELi32ELi2ELb1ELb0ELb1ELb0ES1_KS1_S1_Ev17rocblas_diagonal_iiT6_lPT7_lllS6_lllPT8_llli.uses_flat_scratch, 0
	.set _ZL30rocblas_trmm_outofplace_kernelI19rocblas_complex_numIdELi32ELi2ELb1ELb0ELb1ELb0ES1_KS1_S1_Ev17rocblas_diagonal_iiT6_lPT7_lllS6_lllPT8_llli.has_dyn_sized_stack, 0
	.set _ZL30rocblas_trmm_outofplace_kernelI19rocblas_complex_numIdELi32ELi2ELb1ELb0ELb1ELb0ES1_KS1_S1_Ev17rocblas_diagonal_iiT6_lPT7_lllS6_lllPT8_llli.has_recursion, 0
	.set _ZL30rocblas_trmm_outofplace_kernelI19rocblas_complex_numIdELi32ELi2ELb1ELb0ELb1ELb0ES1_KS1_S1_Ev17rocblas_diagonal_iiT6_lPT7_lllS6_lllPT8_llli.has_indirect_call, 0
	.section	.AMDGPU.csdata,"",@progbits
; Kernel info:
; codeLenInByte = 9736
; TotalNumSgprs: 60
; NumVgprs: 92
; ScratchSize: 0
; MemoryBound: 0
; FloatMode: 240
; IeeeMode: 1
; LDSByteSize: 32768 bytes/workgroup (compile time only)
; SGPRBlocks: 0
; VGPRBlocks: 11
; NumSGPRsForWavesPerEU: 60
; NumVGPRsForWavesPerEU: 92
; Occupancy: 16
; WaveLimiterHint : 0
; COMPUTE_PGM_RSRC2:SCRATCH_EN: 0
; COMPUTE_PGM_RSRC2:USER_SGPR: 2
; COMPUTE_PGM_RSRC2:TRAP_HANDLER: 0
; COMPUTE_PGM_RSRC2:TGID_X_EN: 1
; COMPUTE_PGM_RSRC2:TGID_Y_EN: 1
; COMPUTE_PGM_RSRC2:TGID_Z_EN: 1
; COMPUTE_PGM_RSRC2:TIDIG_COMP_CNT: 1
	.section	.text._ZL30rocblas_trmm_outofplace_kernelI19rocblas_complex_numIdELi32ELi2ELb1ELb1ELb1ELb0EPKS1_S2_S1_Ev17rocblas_diagonal_iiT6_lPT7_lllS7_lllPT8_llli,"axG",@progbits,_ZL30rocblas_trmm_outofplace_kernelI19rocblas_complex_numIdELi32ELi2ELb1ELb1ELb1ELb0EPKS1_S2_S1_Ev17rocblas_diagonal_iiT6_lPT7_lllS7_lllPT8_llli,comdat
	.globl	_ZL30rocblas_trmm_outofplace_kernelI19rocblas_complex_numIdELi32ELi2ELb1ELb1ELb1ELb0EPKS1_S2_S1_Ev17rocblas_diagonal_iiT6_lPT7_lllS7_lllPT8_llli ; -- Begin function _ZL30rocblas_trmm_outofplace_kernelI19rocblas_complex_numIdELi32ELi2ELb1ELb1ELb1ELb0EPKS1_S2_S1_Ev17rocblas_diagonal_iiT6_lPT7_lllS7_lllPT8_llli
	.p2align	8
	.type	_ZL30rocblas_trmm_outofplace_kernelI19rocblas_complex_numIdELi32ELi2ELb1ELb1ELb1ELb0EPKS1_S2_S1_Ev17rocblas_diagonal_iiT6_lPT7_lllS7_lllPT8_llli,@function
_ZL30rocblas_trmm_outofplace_kernelI19rocblas_complex_numIdELi32ELi2ELb1ELb1ELb1ELb0EPKS1_S2_S1_Ev17rocblas_diagonal_iiT6_lPT7_lllS7_lllPT8_llli: ; @_ZL30rocblas_trmm_outofplace_kernelI19rocblas_complex_numIdELi32ELi2ELb1ELb1ELb1ELb0EPKS1_S2_S1_Ev17rocblas_diagonal_iiT6_lPT7_lllS7_lllPT8_llli
; %bb.0:
	s_load_b32 s11, s[0:1], 0x80
	s_lshr_b32 s34, ttmp7, 16
	s_wait_kmcnt 0x0
	s_cmp_ge_u32 s34, s11
	s_cbranch_scc1 .LBB114_67
; %bb.1:
	s_clause 0x1
	s_load_b96 s[8:10], s[0:1], 0x0
	s_load_b256 s[36:43], s[0:1], 0x50
	v_bfe_u32 v64, v0, 10, 10
	v_and_b32_e32 v65, 0x3ff, v0
	s_clause 0x1
	s_load_b512 s[12:27], s[0:1], 0x10
	s_load_b128 s[28:31], s[0:1], 0x70
	s_and_b32 s33, ttmp7, 0xffff
	s_add_nc_u64 s[44:45], s[0:1], 0x88
	v_lshlrev_b32_e32 v0, 9, v64
	v_lshlrev_b32_e32 v66, 4, v65
	v_lshl_add_u32 v74, s33, 5, v64
	s_mov_b32 s35, 0
	s_delay_alu instid0(VALU_DEP_3) | instskip(NEXT) | instid1(VALU_DEP_3)
	v_add_nc_u32_e32 v67, 0x4000, v0
	v_add_nc_u32_e32 v68, v66, v0
	s_delay_alu instid0(VALU_DEP_2) | instskip(NEXT) | instid1(VALU_DEP_2)
	v_dual_mov_b32 v0, 0 :: v_dual_add_nc_u32 v69, v67, v66
	v_add_nc_u32_e32 v70, 0x2100, v68
	s_wait_kmcnt 0x0
	s_add_co_i32 s2, s10, -1
	s_lshl_b64 s[0:1], s[42:43], 4
	s_ashr_i32 s3, s2, 31
	s_mov_b32 s42, s9
	s_lshr_b32 s3, s3, 27
	v_add_nc_u32_e32 v71, 0x100, v69
	s_add_co_i32 s2, s2, s3
	v_add_nc_u32_e32 v72, 0x2000, v69
	s_ashr_i32 s49, s2, 5
	v_add_nc_u32_e32 v73, 0x2100, v69
	s_cmp_le_i32 s33, s49
	s_add_nc_u64 s[40:41], s[40:41], s[0:1]
	s_cselect_b32 s50, -1, 0
	s_lshl_b32 s51, ttmp9, 5
	s_cmp_gt_i32 ttmp9, -1
	v_add_nc_u32_e32 v16, s51, v65
	s_cselect_b32 s52, -1, 0
	s_cmp_eq_u32 s8, 0x84
	s_mov_b32 s48, s10
	s_cselect_b32 s53, -1, 0
	v_ashrrev_i32_e32 v17, 31, v16
	v_add_co_u32 v18, vcc_lo, v16, 16
	v_mul_lo_u32 v6, s21, v16
	v_mad_co_u64_u32 v[3:4], null, s20, v16, 0
	s_delay_alu instid0(VALU_DEP_4)
	v_mul_lo_u32 v5, s20, v17
	v_add_co_ci_u32_e64 v19, null, 0, v17, vcc_lo
	v_sub_co_u32 v20, vcc_lo, v16, v64
	s_lshl_b64 s[4:5], s[26:27], 4
	s_wait_alu 0xfffd
	v_subrev_co_ci_u32_e64 v21, null, 0, v17, vcc_lo
	s_add_nc_u64 s[4:5], s[24:25], s[4:5]
	v_add_co_u32 v22, vcc_lo, v20, 16
	v_add_co_u32 v7, s4, s4, v66
	v_lshlrev_b64_e32 v[26:27], 4, v[16:17]
	s_wait_alu 0xf1ff
	v_add_co_ci_u32_e64 v8, null, s5, 0, s4
	v_add3_u32 v4, v4, v5, v6
	s_wait_alu 0xfffd
	v_add_co_ci_u32_e64 v23, null, 0, v21, vcc_lo
	v_add_co_u32 v24, vcc_lo, v20, -16
	s_wait_alu 0xfffd
	v_add_co_ci_u32_e64 v25, null, -1, v21, vcc_lo
	v_add_co_u32 v28, vcc_lo, 0x100, v7
	s_wait_alu 0xfffd
	v_add_co_ci_u32_e64 v29, null, 0, v8, vcc_lo
	v_add_co_u32 v5, vcc_lo, 0x100, v26
	v_lshlrev_b64_e32 v[3:4], 4, v[3:4]
	s_wait_alu 0xfffd
	v_add_co_ci_u32_e64 v6, null, 0, v27, vcc_lo
	s_lshl_b64 s[4:5], s[18:19], 4
	v_lshlrev_b32_e32 v7, 4, v64
	v_mul_lo_u32 v9, s21, v5
	s_wait_alu 0xfffe
	v_add_co_u32 v3, vcc_lo, v3, s4
	v_mul_lo_u32 v8, s20, v6
	v_mad_co_u64_u32 v[5:6], null, s20, v5, s[4:5]
	s_wait_alu 0xfffd
	v_add_co_ci_u32_e64 v4, null, s5, v4, vcc_lo
	v_add_co_u32 v3, vcc_lo, v3, v7
	v_add_nc_u32_e32 v1, 16, v16
	s_wait_alu 0xfffd
	s_delay_alu instid0(VALU_DEP_3) | instskip(SKIP_3) | instid1(VALU_DEP_3)
	v_add_co_ci_u32_e64 v4, null, 0, v4, vcc_lo
	v_add3_u32 v6, v9, v6, v8
	v_add_co_u32 v3, vcc_lo, s16, v3
	s_wait_alu 0xfffd
	v_add_co_ci_u32_e64 v4, null, s17, v4, vcc_lo
	v_add_co_u32 v5, vcc_lo, v5, v7
	v_ashrrev_i32_e32 v2, 31, v1
	s_wait_alu 0xfffd
	v_add_co_ci_u32_e64 v6, null, 0, v6, vcc_lo
	v_add_co_u32 v30, vcc_lo, 0x100, v3
	s_ashr_i32 s43, s9, 31
	s_wait_alu 0xfffd
	v_add_co_ci_u32_e64 v31, null, 0, v4, vcc_lo
	v_add_co_u32 v32, vcc_lo, s16, v5
	v_cmp_le_i64_e64 s3, s[42:43], v[18:19]
	v_lshlrev_b64_e32 v[34:35], 4, v[1:2]
	v_cmp_le_i32_e64 s0, s9, v16
	v_cmp_gt_i32_e64 s1, s9, v16
	v_cmp_gt_i32_e64 s2, s9, v1
	s_wait_alu 0xfffd
	v_add_co_ci_u32_e64 v33, null, s17, v6, vcc_lo
	v_mov_b32_e32 v1, 0x3ff00000
	s_ashr_i32 s54, s10, 31
	s_add_nc_u64 s[46:47], s[42:43], -16
	s_lshl_b64 s[24:25], s[38:39], 4
	s_lshl_b64 s[16:17], s[36:37], 4
	;; [unrolled: 1-line block ×3, first 2 shown]
	s_branch .LBB114_4
.LBB114_2:                              ;   in Loop: Header=BB114_4 Depth=1
	s_add_co_i32 s34, s34, 0x10000
	s_wait_alu 0xfffe
	s_cmp_ge_u32 s34, s11
	s_cselect_b32 s4, -1, 0
.LBB114_3:                              ;   in Loop: Header=BB114_4 Depth=1
	s_wait_alu 0xfffe
	s_and_b32 vcc_lo, exec_lo, s4
	s_wait_alu 0xfffe
	s_cbranch_vccnz .LBB114_67
.LBB114_4:                              ; =>This Loop Header: Depth=1
                                        ;     Child Loop BB114_8 Depth 2
                                        ;       Child Loop BB114_11 Depth 3
	s_mul_u64 s[4:5], s[14:15], s[34:35]
	s_wait_alu 0xfffe
	s_lshl_b64 s[4:5], s[4:5], 4
	s_wait_alu 0xfffe
	s_add_nc_u64 s[4:5], s[12:13], s[4:5]
	global_load_b128 v[4:7], v0, s[4:5]
	s_wait_loadcnt 0x0
	v_cmp_eq_f64_e32 vcc_lo, 0, v[4:5]
	v_cmp_eq_f64_e64 s4, 0, v[6:7]
	s_wait_alu 0xfffe
	s_and_b32 s4, vcc_lo, s4
	s_wait_alu 0xfffe
	s_and_b32 vcc_lo, exec_lo, s4
	s_mov_b32 s4, -1
	s_wait_alu 0xfffe
	s_cbranch_vccnz .LBB114_3
; %bb.5:                                ;   in Loop: Header=BB114_4 Depth=1
	s_and_not1_b32 vcc_lo, exec_lo, s50
	s_wait_alu 0xfffe
	s_cbranch_vccnz .LBB114_2
; %bb.6:                                ;   in Loop: Header=BB114_4 Depth=1
	v_mad_co_u64_u32 v[36:37], null, s24, s34, v[28:29]
	s_load_b32 s9, s[44:45], 0x4
	v_mad_co_u64_u32 v[38:39], null, s18, s34, v[30:31]
	s_mul_i32 s6, s19, s34
	v_mad_co_u64_u32 v[40:41], null, s18, s34, v[32:33]
	v_mov_b32_e32 v2, v37
	s_mul_u64 s[4:5], s[30:31], s[34:35]
	s_wait_alu 0xfffe
	v_dual_mov_b32 v42, v74 :: v_dual_add_nc_u32 v39, s6, v39
	s_lshl_b64 s[4:5], s[4:5], 4
	v_mad_co_u64_u32 v[2:3], null, s25, s34, v[2:3]
	s_delay_alu instid0(VALU_DEP_4) | instskip(SKIP_3) | instid1(VALU_DEP_2)
	v_add_nc_u32_e32 v41, s6, v41
	s_wait_alu 0xfffe
	s_add_nc_u64 s[20:21], s[40:41], s[4:5]
	s_mov_b32 s39, s33
	v_mov_b32_e32 v37, v2
	s_wait_kmcnt 0x0
	s_lshl_b32 s38, s9, 5
	s_branch .LBB114_8
.LBB114_7:                              ;   in Loop: Header=BB114_8 Depth=2
	s_wait_alu 0xfffe
	s_or_b32 exec_lo, exec_lo, s4
	v_add_nc_u32_e32 v42, s38, v42
	s_add_co_i32 s39, s9, s39
	s_wait_alu 0xfffe
	s_cmp_gt_i32 s39, s49
	s_cbranch_scc1 .LBB114_2
.LBB114_8:                              ;   Parent Loop BB114_4 Depth=1
                                        ; =>  This Loop Header: Depth=2
                                        ;       Child Loop BB114_11 Depth 3
	s_wait_alu 0xfffe
	v_lshl_add_u32 v75, s39, 5, v64
	v_mov_b32_e32 v52, 0
	v_mov_b32_e32 v48, 0
	;; [unrolled: 1-line block ×3, first 2 shown]
	v_dual_mov_b32 v62, 0 :: v_dual_mov_b32 v53, 0
	v_dual_mov_b32 v54, 0 :: v_dual_mov_b32 v49, 0
	;; [unrolled: 1-line block ×5, first 2 shown]
	v_mov_b32_e32 v51, 0
	v_mov_b32_e32 v59, 0
	;; [unrolled: 1-line block ×3, first 2 shown]
	v_ashrrev_i32_e32 v76, 31, v75
	s_and_not1_b32 vcc_lo, exec_lo, s52
	s_wait_alu 0xfffe
	s_cbranch_vccnz .LBB114_59
; %bb.9:                                ;   in Loop: Header=BB114_8 Depth=2
	v_ashrrev_i32_e32 v43, 31, v42
	v_mad_co_u64_u32 v[44:45], null, s16, v42, v[36:37]
	v_mul_lo_u32 v8, s17, v42
	v_mov_b32_e32 v60, 0
	s_delay_alu instid0(VALU_DEP_4)
	v_lshlrev_b64_e32 v[2:3], 4, v[42:43]
	v_mul_lo_u32 v9, s16, v43
	v_mov_b32_e32 v58, 0
	v_mov_b32_e32 v50, 0
	v_dual_mov_b32 v54, 0 :: v_dual_mov_b32 v61, 0
	v_mov_b32_e32 v62, 0
	v_add_co_u32 v10, vcc_lo, 0x100, v2
	s_wait_alu 0xfffd
	v_add_co_ci_u32_e64 v11, null, 0, v3, vcc_lo
	v_sub_co_u32 v2, vcc_lo, s48, v75
	v_add3_u32 v45, v8, v45, v9
	s_delay_alu instid0(VALU_DEP_3)
	v_mul_lo_u32 v8, s36, v11
	v_mul_lo_u32 v9, s37, v10
	v_mad_co_u64_u32 v[46:47], null, s36, v10, v[36:37]
	s_wait_alu 0xfffd
	v_sub_co_ci_u32_e64 v3, null, s54, v76, vcc_lo
	v_dual_mov_b32 v59, 0 :: v_dual_mov_b32 v56, 0
	v_dual_mov_b32 v51, 0 :: v_dual_mov_b32 v48, 0
	s_delay_alu instid0(VALU_DEP_3)
	v_cmp_lt_i64_e64 s4, 16, v[2:3]
	v_dual_mov_b32 v55, 0 :: v_dual_mov_b32 v52, 0
	v_mov_b32_e32 v63, 0
	v_mov_b32_e32 v57, 0
	v_mov_b32_e32 v49, 0
	v_mov_b32_e32 v53, 0
	v_add3_u32 v47, v9, v47, v8
	s_mov_b64 s[22:23], 0
	s_mov_b64 s[26:27], 0
	v_cmp_lt_i64_e32 vcc_lo, 0, v[2:3]
	s_branch .LBB114_11
.LBB114_10:                             ;   in Loop: Header=BB114_11 Depth=3
	s_wait_alu 0xfffe
	s_or_b32 exec_lo, exec_lo, s5
	s_wait_dscnt 0x0
	s_barrier_signal -1
	s_barrier_wait -1
	global_inv scope:SCOPE_SE
	ds_load_b128 v[77:80], v67
	ds_load_b128 v[81:84], v67 offset:16
	ds_load_b128 v[12:15], v67 offset:32
	ds_load_b128 v[8:11], v67 offset:48
	ds_load_b128 v[85:88], v66
	s_add_nc_u64 s[26:27], s[26:27], 32
	s_add_nc_u64 s[22:23], s[22:23], 0x200
	s_wait_alu 0xfffe
	s_sub_co_i32 s5, s26, 32
	s_wait_alu 0xfffe
	s_cmp_ge_i32 s5, s51
	s_wait_dscnt 0x0
	v_mul_f64_e32 v[2:3], v[79:80], v[87:88]
	v_mul_f64_e32 v[89:90], v[77:78], v[87:88]
	s_delay_alu instid0(VALU_DEP_2) | instskip(NEXT) | instid1(VALU_DEP_2)
	v_fma_f64 v[2:3], v[77:78], v[85:86], -v[2:3]
	v_fma_f64 v[89:90], v[79:80], v[85:86], v[89:90]
	s_delay_alu instid0(VALU_DEP_2) | instskip(NEXT) | instid1(VALU_DEP_2)
	v_add_f64_e32 v[2:3], v[52:53], v[2:3]
	v_add_f64_e32 v[89:90], v[89:90], v[54:55]
	ds_load_b128 v[52:55], v66 offset:256
	s_wait_dscnt 0x0
	v_mul_f64_e32 v[91:92], v[79:80], v[54:55]
	s_delay_alu instid0(VALU_DEP_1) | instskip(SKIP_1) | instid1(VALU_DEP_1)
	v_fma_f64 v[91:92], v[77:78], v[52:53], -v[91:92]
	v_mul_f64_e32 v[77:78], v[77:78], v[54:55]
	v_fma_f64 v[77:78], v[79:80], v[52:53], v[77:78]
	s_delay_alu instid0(VALU_DEP_3) | instskip(NEXT) | instid1(VALU_DEP_2)
	v_add_f64_e32 v[79:80], v[48:49], v[91:92]
	v_add_f64_e32 v[77:78], v[77:78], v[50:51]
	ds_load_b128 v[48:51], v67 offset:8192
	s_wait_dscnt 0x0
	v_mul_f64_e32 v[91:92], v[50:51], v[87:88]
	v_mul_f64_e32 v[87:88], v[48:49], v[87:88]
	s_delay_alu instid0(VALU_DEP_2) | instskip(NEXT) | instid1(VALU_DEP_2)
	v_fma_f64 v[91:92], v[48:49], v[85:86], -v[91:92]
	v_fma_f64 v[85:86], v[50:51], v[85:86], v[87:88]
	s_delay_alu instid0(VALU_DEP_2) | instskip(SKIP_1) | instid1(VALU_DEP_3)
	v_add_f64_e32 v[87:88], v[56:57], v[91:92]
	v_mul_f64_e32 v[56:57], v[50:51], v[54:55]
	v_add_f64_e32 v[85:86], v[85:86], v[58:59]
	s_delay_alu instid0(VALU_DEP_2) | instskip(SKIP_1) | instid1(VALU_DEP_2)
	v_fma_f64 v[56:57], v[48:49], v[52:53], -v[56:57]
	v_mul_f64_e32 v[48:49], v[48:49], v[54:55]
	v_add_f64_e32 v[62:63], v[62:63], v[56:57]
	s_delay_alu instid0(VALU_DEP_2) | instskip(NEXT) | instid1(VALU_DEP_1)
	v_fma_f64 v[48:49], v[50:51], v[52:53], v[48:49]
	v_add_f64_e32 v[60:61], v[48:49], v[60:61]
	ds_load_b128 v[48:51], v66 offset:512
	s_wait_dscnt 0x0
	v_mul_f64_e32 v[52:53], v[83:84], v[50:51]
	v_mul_f64_e32 v[54:55], v[81:82], v[50:51]
	s_delay_alu instid0(VALU_DEP_2) | instskip(NEXT) | instid1(VALU_DEP_2)
	v_fma_f64 v[52:53], v[81:82], v[48:49], -v[52:53]
	v_fma_f64 v[54:55], v[83:84], v[48:49], v[54:55]
	s_delay_alu instid0(VALU_DEP_2) | instskip(NEXT) | instid1(VALU_DEP_2)
	v_add_f64_e32 v[2:3], v[2:3], v[52:53]
	v_add_f64_e32 v[89:90], v[54:55], v[89:90]
	ds_load_b128 v[52:55], v66 offset:768
	s_wait_dscnt 0x0
	v_mul_f64_e32 v[56:57], v[83:84], v[54:55]
	v_mul_f64_e32 v[58:59], v[81:82], v[54:55]
	s_delay_alu instid0(VALU_DEP_2) | instskip(NEXT) | instid1(VALU_DEP_2)
	v_fma_f64 v[56:57], v[81:82], v[52:53], -v[56:57]
	v_fma_f64 v[58:59], v[83:84], v[52:53], v[58:59]
	s_delay_alu instid0(VALU_DEP_2) | instskip(NEXT) | instid1(VALU_DEP_2)
	v_add_f64_e32 v[79:80], v[79:80], v[56:57]
	v_add_f64_e32 v[77:78], v[58:59], v[77:78]
	ds_load_b128 v[56:59], v67 offset:8208
	s_wait_dscnt 0x0
	v_mul_f64_e32 v[81:82], v[58:59], v[50:51]
	v_mul_f64_e32 v[50:51], v[56:57], v[50:51]
	s_delay_alu instid0(VALU_DEP_2) | instskip(NEXT) | instid1(VALU_DEP_2)
	v_fma_f64 v[81:82], v[56:57], v[48:49], -v[81:82]
	v_fma_f64 v[48:49], v[58:59], v[48:49], v[50:51]
	v_mul_f64_e32 v[50:51], v[56:57], v[54:55]
	s_delay_alu instid0(VALU_DEP_3) | instskip(NEXT) | instid1(VALU_DEP_3)
	v_add_f64_e32 v[81:82], v[87:88], v[81:82]
	v_add_f64_e32 v[83:84], v[48:49], v[85:86]
	v_mul_f64_e32 v[48:49], v[58:59], v[54:55]
	s_delay_alu instid0(VALU_DEP_4) | instskip(NEXT) | instid1(VALU_DEP_2)
	v_fma_f64 v[50:51], v[58:59], v[52:53], v[50:51]
	v_fma_f64 v[48:49], v[56:57], v[52:53], -v[48:49]
	s_delay_alu instid0(VALU_DEP_2) | instskip(NEXT) | instid1(VALU_DEP_2)
	v_add_f64_e32 v[58:59], v[50:51], v[60:61]
	v_add_f64_e32 v[56:57], v[62:63], v[48:49]
	ds_load_b128 v[48:51], v66 offset:1024
	s_wait_dscnt 0x0
	v_mul_f64_e32 v[52:53], v[14:15], v[50:51]
	v_mul_f64_e32 v[54:55], v[12:13], v[50:51]
	s_delay_alu instid0(VALU_DEP_2) | instskip(NEXT) | instid1(VALU_DEP_2)
	v_fma_f64 v[52:53], v[12:13], v[48:49], -v[52:53]
	v_fma_f64 v[54:55], v[14:15], v[48:49], v[54:55]
	s_delay_alu instid0(VALU_DEP_2) | instskip(NEXT) | instid1(VALU_DEP_2)
	v_add_f64_e32 v[2:3], v[2:3], v[52:53]
	v_add_f64_e32 v[60:61], v[54:55], v[89:90]
	ds_load_b128 v[52:55], v66 offset:1280
	s_wait_dscnt 0x0
	v_mul_f64_e32 v[62:63], v[14:15], v[54:55]
	s_delay_alu instid0(VALU_DEP_1) | instskip(SKIP_1) | instid1(VALU_DEP_2)
	v_fma_f64 v[62:63], v[12:13], v[52:53], -v[62:63]
	v_mul_f64_e32 v[12:13], v[12:13], v[54:55]
	v_add_f64_e32 v[62:63], v[79:80], v[62:63]
	s_delay_alu instid0(VALU_DEP_2) | instskip(NEXT) | instid1(VALU_DEP_1)
	v_fma_f64 v[12:13], v[14:15], v[52:53], v[12:13]
	v_add_f64_e32 v[77:78], v[12:13], v[77:78]
	ds_load_b128 v[12:15], v67 offset:8224
	s_wait_dscnt 0x0
	v_mul_f64_e32 v[79:80], v[14:15], v[50:51]
	v_mul_f64_e32 v[50:51], v[12:13], v[50:51]
	s_delay_alu instid0(VALU_DEP_2) | instskip(NEXT) | instid1(VALU_DEP_2)
	v_fma_f64 v[79:80], v[12:13], v[48:49], -v[79:80]
	v_fma_f64 v[48:49], v[14:15], v[48:49], v[50:51]
	s_delay_alu instid0(VALU_DEP_2) | instskip(NEXT) | instid1(VALU_DEP_2)
	v_add_f64_e32 v[79:80], v[81:82], v[79:80]
	v_add_f64_e32 v[81:82], v[48:49], v[83:84]
	v_mul_f64_e32 v[48:49], v[14:15], v[54:55]
	s_delay_alu instid0(VALU_DEP_1) | instskip(SKIP_1) | instid1(VALU_DEP_1)
	v_fma_f64 v[48:49], v[12:13], v[52:53], -v[48:49]
	v_mul_f64_e32 v[12:13], v[12:13], v[54:55]
	v_fma_f64 v[12:13], v[14:15], v[52:53], v[12:13]
	s_delay_alu instid0(VALU_DEP_3) | instskip(NEXT) | instid1(VALU_DEP_2)
	v_add_f64_e32 v[52:53], v[56:57], v[48:49]
	v_add_f64_e32 v[54:55], v[12:13], v[58:59]
	ds_load_b128 v[12:15], v66 offset:1536
	s_wait_dscnt 0x0
	v_mul_f64_e32 v[48:49], v[10:11], v[14:15]
	v_mul_f64_e32 v[50:51], v[8:9], v[14:15]
	s_delay_alu instid0(VALU_DEP_2) | instskip(NEXT) | instid1(VALU_DEP_2)
	v_fma_f64 v[48:49], v[8:9], v[12:13], -v[48:49]
	v_fma_f64 v[50:51], v[10:11], v[12:13], v[50:51]
	s_delay_alu instid0(VALU_DEP_2) | instskip(NEXT) | instid1(VALU_DEP_2)
	v_add_f64_e32 v[2:3], v[2:3], v[48:49]
	v_add_f64_e32 v[56:57], v[50:51], v[60:61]
	ds_load_b128 v[48:51], v66 offset:1792
	s_wait_dscnt 0x0
	v_mul_f64_e32 v[58:59], v[10:11], v[50:51]
	s_delay_alu instid0(VALU_DEP_1) | instskip(SKIP_1) | instid1(VALU_DEP_2)
	v_fma_f64 v[58:59], v[8:9], v[48:49], -v[58:59]
	v_mul_f64_e32 v[8:9], v[8:9], v[50:51]
	v_add_f64_e32 v[58:59], v[62:63], v[58:59]
	s_delay_alu instid0(VALU_DEP_2) | instskip(NEXT) | instid1(VALU_DEP_1)
	v_fma_f64 v[8:9], v[10:11], v[48:49], v[8:9]
	v_add_f64_e32 v[60:61], v[8:9], v[77:78]
	ds_load_b128 v[8:11], v67 offset:8240
	s_wait_dscnt 0x0
	v_mul_f64_e32 v[62:63], v[10:11], v[14:15]
	v_mul_f64_e32 v[14:15], v[8:9], v[14:15]
	s_delay_alu instid0(VALU_DEP_2) | instskip(NEXT) | instid1(VALU_DEP_2)
	v_fma_f64 v[62:63], v[8:9], v[12:13], -v[62:63]
	v_fma_f64 v[12:13], v[10:11], v[12:13], v[14:15]
	s_delay_alu instid0(VALU_DEP_2) | instskip(NEXT) | instid1(VALU_DEP_2)
	v_add_f64_e32 v[62:63], v[79:80], v[62:63]
	v_add_f64_e32 v[77:78], v[12:13], v[81:82]
	v_mul_f64_e32 v[12:13], v[10:11], v[50:51]
	s_delay_alu instid0(VALU_DEP_1) | instskip(SKIP_1) | instid1(VALU_DEP_2)
	v_fma_f64 v[12:13], v[8:9], v[48:49], -v[12:13]
	v_mul_f64_e32 v[8:9], v[8:9], v[50:51]
	v_add_f64_e32 v[52:53], v[52:53], v[12:13]
	s_delay_alu instid0(VALU_DEP_2) | instskip(NEXT) | instid1(VALU_DEP_1)
	v_fma_f64 v[8:9], v[10:11], v[48:49], v[8:9]
	v_add_f64_e32 v[54:55], v[8:9], v[54:55]
	ds_load_b128 v[8:11], v67 offset:64
	ds_load_b128 v[12:15], v66 offset:2048
	s_wait_dscnt 0x0
	v_mul_f64_e32 v[48:49], v[10:11], v[14:15]
	v_mul_f64_e32 v[50:51], v[8:9], v[14:15]
	s_delay_alu instid0(VALU_DEP_2) | instskip(NEXT) | instid1(VALU_DEP_2)
	v_fma_f64 v[48:49], v[8:9], v[12:13], -v[48:49]
	v_fma_f64 v[50:51], v[10:11], v[12:13], v[50:51]
	s_delay_alu instid0(VALU_DEP_2) | instskip(NEXT) | instid1(VALU_DEP_2)
	v_add_f64_e32 v[2:3], v[2:3], v[48:49]
	v_add_f64_e32 v[56:57], v[50:51], v[56:57]
	ds_load_b128 v[48:51], v66 offset:2304
	s_wait_dscnt 0x0
	v_mul_f64_e32 v[79:80], v[10:11], v[50:51]
	s_delay_alu instid0(VALU_DEP_1) | instskip(SKIP_1) | instid1(VALU_DEP_2)
	v_fma_f64 v[79:80], v[8:9], v[48:49], -v[79:80]
	v_mul_f64_e32 v[8:9], v[8:9], v[50:51]
	v_add_f64_e32 v[58:59], v[58:59], v[79:80]
	s_delay_alu instid0(VALU_DEP_2) | instskip(NEXT) | instid1(VALU_DEP_1)
	v_fma_f64 v[8:9], v[10:11], v[48:49], v[8:9]
	v_add_f64_e32 v[60:61], v[8:9], v[60:61]
	ds_load_b128 v[8:11], v67 offset:8256
	s_wait_dscnt 0x0
	v_mul_f64_e32 v[79:80], v[10:11], v[14:15]
	v_mul_f64_e32 v[14:15], v[8:9], v[14:15]
	s_delay_alu instid0(VALU_DEP_2) | instskip(NEXT) | instid1(VALU_DEP_2)
	v_fma_f64 v[79:80], v[8:9], v[12:13], -v[79:80]
	v_fma_f64 v[12:13], v[10:11], v[12:13], v[14:15]
	s_delay_alu instid0(VALU_DEP_2) | instskip(NEXT) | instid1(VALU_DEP_2)
	v_add_f64_e32 v[62:63], v[62:63], v[79:80]
	v_add_f64_e32 v[77:78], v[12:13], v[77:78]
	v_mul_f64_e32 v[12:13], v[10:11], v[50:51]
	s_delay_alu instid0(VALU_DEP_1) | instskip(SKIP_1) | instid1(VALU_DEP_2)
	v_fma_f64 v[12:13], v[8:9], v[48:49], -v[12:13]
	v_mul_f64_e32 v[8:9], v[8:9], v[50:51]
	v_add_f64_e32 v[52:53], v[52:53], v[12:13]
	s_delay_alu instid0(VALU_DEP_2) | instskip(NEXT) | instid1(VALU_DEP_1)
	v_fma_f64 v[8:9], v[10:11], v[48:49], v[8:9]
	v_add_f64_e32 v[54:55], v[8:9], v[54:55]
	ds_load_b128 v[8:11], v67 offset:80
	;; [unrolled: 39-line block ×27, first 2 shown]
	ds_load_b128 v[12:15], v66 offset:15360
	s_wait_dscnt 0x0
	v_mul_f64_e32 v[48:49], v[10:11], v[14:15]
	v_mul_f64_e32 v[50:51], v[8:9], v[14:15]
	s_delay_alu instid0(VALU_DEP_2) | instskip(NEXT) | instid1(VALU_DEP_2)
	v_fma_f64 v[48:49], v[8:9], v[12:13], -v[48:49]
	v_fma_f64 v[50:51], v[10:11], v[12:13], v[50:51]
	s_delay_alu instid0(VALU_DEP_2) | instskip(NEXT) | instid1(VALU_DEP_2)
	v_add_f64_e32 v[79:80], v[2:3], v[48:49]
	v_add_f64_e32 v[81:82], v[50:51], v[56:57]
	ds_load_b128 v[48:51], v66 offset:15616
	s_wait_dscnt 0x0
	v_mul_f64_e32 v[2:3], v[10:11], v[50:51]
	s_delay_alu instid0(VALU_DEP_1) | instskip(SKIP_1) | instid1(VALU_DEP_2)
	v_fma_f64 v[2:3], v[8:9], v[48:49], -v[2:3]
	v_mul_f64_e32 v[8:9], v[8:9], v[50:51]
	v_add_f64_e32 v[83:84], v[58:59], v[2:3]
	s_delay_alu instid0(VALU_DEP_2) | instskip(NEXT) | instid1(VALU_DEP_1)
	v_fma_f64 v[8:9], v[10:11], v[48:49], v[8:9]
	v_add_f64_e32 v[85:86], v[8:9], v[60:61]
	ds_load_b128 v[8:11], v67 offset:8672
	s_wait_dscnt 0x0
	v_mul_f64_e32 v[2:3], v[10:11], v[14:15]
	v_mul_f64_e32 v[14:15], v[8:9], v[14:15]
	s_delay_alu instid0(VALU_DEP_2) | instskip(NEXT) | instid1(VALU_DEP_2)
	v_fma_f64 v[2:3], v[8:9], v[12:13], -v[2:3]
	v_fma_f64 v[12:13], v[10:11], v[12:13], v[14:15]
	s_delay_alu instid0(VALU_DEP_2) | instskip(SKIP_1) | instid1(VALU_DEP_3)
	v_add_f64_e32 v[14:15], v[62:63], v[2:3]
	v_mul_f64_e32 v[2:3], v[10:11], v[50:51]
	v_add_f64_e32 v[77:78], v[12:13], v[77:78]
	s_delay_alu instid0(VALU_DEP_2) | instskip(SKIP_1) | instid1(VALU_DEP_2)
	v_fma_f64 v[2:3], v[8:9], v[48:49], -v[2:3]
	v_mul_f64_e32 v[8:9], v[8:9], v[50:51]
	v_add_f64_e32 v[2:3], v[52:53], v[2:3]
	s_delay_alu instid0(VALU_DEP_2)
	v_fma_f64 v[8:9], v[10:11], v[48:49], v[8:9]
	ds_load_b128 v[10:13], v67 offset:496
	ds_load_b128 v[56:59], v66 offset:15872
	ds_load_b128 v[60:63], v66 offset:16128
	s_wait_dscnt 0x1
	v_mul_f64_e32 v[48:49], v[12:13], v[58:59]
	v_mul_f64_e32 v[50:51], v[10:11], v[58:59]
	v_add_f64_e32 v[8:9], v[8:9], v[54:55]
	s_delay_alu instid0(VALU_DEP_3) | instskip(NEXT) | instid1(VALU_DEP_3)
	v_fma_f64 v[48:49], v[10:11], v[56:57], -v[48:49]
	v_fma_f64 v[50:51], v[12:13], v[56:57], v[50:51]
	s_delay_alu instid0(VALU_DEP_2) | instskip(SKIP_2) | instid1(VALU_DEP_3)
	v_add_f64_e32 v[52:53], v[79:80], v[48:49]
	s_wait_dscnt 0x0
	v_mul_f64_e32 v[48:49], v[12:13], v[62:63]
	v_add_f64_e32 v[54:55], v[50:51], v[81:82]
	s_delay_alu instid0(VALU_DEP_2) | instskip(SKIP_1) | instid1(VALU_DEP_2)
	v_fma_f64 v[48:49], v[10:11], v[60:61], -v[48:49]
	v_mul_f64_e32 v[10:11], v[10:11], v[62:63]
	v_add_f64_e32 v[48:49], v[83:84], v[48:49]
	s_delay_alu instid0(VALU_DEP_2) | instskip(NEXT) | instid1(VALU_DEP_1)
	v_fma_f64 v[10:11], v[12:13], v[60:61], v[10:11]
	v_add_f64_e32 v[50:51], v[10:11], v[85:86]
	ds_load_b128 v[10:13], v67 offset:8688
	s_wait_loadcnt_dscnt 0x0
	s_barrier_signal -1
	s_barrier_wait -1
	global_inv scope:SCOPE_SE
	v_mul_f64_e32 v[79:80], v[12:13], v[58:59]
	v_mul_f64_e32 v[58:59], v[10:11], v[58:59]
	s_delay_alu instid0(VALU_DEP_2) | instskip(NEXT) | instid1(VALU_DEP_2)
	v_fma_f64 v[79:80], v[10:11], v[56:57], -v[79:80]
	v_fma_f64 v[58:59], v[12:13], v[56:57], v[58:59]
	s_delay_alu instid0(VALU_DEP_2) | instskip(SKIP_1) | instid1(VALU_DEP_3)
	v_add_f64_e32 v[56:57], v[14:15], v[79:80]
	v_mul_f64_e32 v[14:15], v[12:13], v[62:63]
	v_add_f64_e32 v[58:59], v[58:59], v[77:78]
	s_delay_alu instid0(VALU_DEP_2) | instskip(SKIP_1) | instid1(VALU_DEP_2)
	v_fma_f64 v[14:15], v[10:11], v[60:61], -v[14:15]
	v_mul_f64_e32 v[10:11], v[10:11], v[62:63]
	v_add_f64_e32 v[62:63], v[2:3], v[14:15]
	s_delay_alu instid0(VALU_DEP_2) | instskip(NEXT) | instid1(VALU_DEP_1)
	v_fma_f64 v[10:11], v[12:13], v[60:61], v[10:11]
	v_add_f64_e32 v[60:61], v[10:11], v[8:9]
	s_cbranch_scc1 .LBB114_59
.LBB114_11:                             ;   Parent Loop BB114_4 Depth=1
                                        ;     Parent Loop BB114_8 Depth=2
                                        ; =>    This Inner Loop Header: Depth=3
	s_wait_alu 0xfffe
	v_add_co_u32 v10, s5, v64, s26
	s_wait_alu 0xf1ff
	v_add_co_ci_u32_e64 v11, null, 0, s27, s5
	v_cmp_eq_u64_e64 s7, s[26:27], v[20:21]
	s_delay_alu instid0(VALU_DEP_2)
	v_cmp_le_i64_e64 s6, s[42:43], v[10:11]
	v_cmp_gt_i64_e64 s5, v[10:11], v[16:17]
	s_and_b32 s56, s53, s7
	v_add_co_u32 v8, s7, v38, s22
	s_wait_alu 0xf1ff
	v_add_co_ci_u32_e64 v9, null, s23, v39, s7
	s_or_b32 s8, s6, s5
	s_wait_alu 0xfffe
	s_or_b32 s7, s8, s56
	s_wait_alu 0xfffe
	s_nor_b32 s7, s0, s7
	s_wait_alu 0xfffe
	s_and_saveexec_b32 s8, s7
	s_wait_alu 0xfffe
	s_xor_b32 s7, exec_lo, s8
	s_cbranch_execz .LBB114_13
; %bb.12:                               ;   in Loop: Header=BB114_11 Depth=3
	global_load_b128 v[12:15], v[8:9], off offset:-256
	s_wait_loadcnt 0x0
	ds_store_2addr_b64 v68, v[12:13], v[14:15] offset1:1
.LBB114_13:                             ;   in Loop: Header=BB114_11 Depth=3
	s_wait_alu 0xfffe
	s_or_saveexec_b32 s7, s7
	s_xor_b32 s55, s56, -1
	s_wait_alu 0xfffe
	s_xor_b32 exec_lo, exec_lo, s7
	s_cbranch_execz .LBB114_19
; %bb.14:                               ;   in Loop: Header=BB114_11 Depth=3
	s_and_saveexec_b32 s8, s55
	s_wait_alu 0xfffe
	s_xor_b32 s8, exec_lo, s8
; %bb.15:                               ;   in Loop: Header=BB114_11 Depth=3
	v_dual_mov_b32 v12, v0 :: v_dual_mov_b32 v13, v0
	v_dual_mov_b32 v14, v0 :: v_dual_mov_b32 v15, v0
	ds_store_b128 v68, v[12:15]
; %bb.16:                               ;   in Loop: Header=BB114_11 Depth=3
	s_wait_alu 0xfffe
	s_and_not1_saveexec_b32 s8, s8
; %bb.17:                               ;   in Loop: Header=BB114_11 Depth=3
	v_dual_mov_b32 v2, v0 :: v_dual_mov_b32 v3, v0
	ds_store_b128 v68, v[0:3]
; %bb.18:                               ;   in Loop: Header=BB114_11 Depth=3
	s_wait_alu 0xfffe
	s_or_b32 exec_lo, exec_lo, s8
.LBB114_19:                             ;   in Loop: Header=BB114_11 Depth=3
	s_delay_alu instid0(SALU_CYCLE_1)
	s_or_b32 exec_lo, exec_lo, s7
	v_cmp_eq_u64_e64 s7, s[26:27], v[22:23]
	v_cmp_lt_i64_e64 s8, v[18:19], v[10:11]
	s_and_b32 s7, s53, s7
	s_or_b32 s6, s6, s8
	s_wait_alu 0xfffe
	s_or_b32 s6, s6, s7
	s_wait_alu 0xfffe
	s_nor_b32 s6, s3, s6
	s_wait_alu 0xfffe
	s_and_saveexec_b32 s8, s6
	s_wait_alu 0xfffe
	s_xor_b32 s8, exec_lo, s8
	s_cbranch_execz .LBB114_21
; %bb.20:                               ;   in Loop: Header=BB114_11 Depth=3
	v_add_co_u32 v2, s6, v40, s22
	s_wait_alu 0xf1ff
	v_add_co_ci_u32_e64 v3, null, s23, v41, s6
	global_load_b128 v[12:15], v[2:3], off
	v_add_nc_u32_e32 v2, 0x100, v68
	s_wait_loadcnt 0x0
	ds_store_2addr_b64 v2, v[12:13], v[14:15] offset1:1
.LBB114_21:                             ;   in Loop: Header=BB114_11 Depth=3
	s_wait_alu 0xfffe
	s_and_not1_saveexec_b32 s6, s8
	s_cbranch_execz .LBB114_27
; %bb.22:                               ;   in Loop: Header=BB114_11 Depth=3
	s_xor_b32 s7, s7, -1
	s_wait_alu 0xfffe
	s_and_saveexec_b32 s8, s7
	s_wait_alu 0xfffe
	s_xor_b32 s7, exec_lo, s8
; %bb.23:                               ;   in Loop: Header=BB114_11 Depth=3
	v_dual_mov_b32 v12, v0 :: v_dual_mov_b32 v13, v0
	v_dual_mov_b32 v14, v0 :: v_dual_mov_b32 v15, v0
	ds_store_b128 v68, v[12:15] offset:256
; %bb.24:                               ;   in Loop: Header=BB114_11 Depth=3
	s_wait_alu 0xfffe
	s_and_not1_saveexec_b32 s7, s7
; %bb.25:                               ;   in Loop: Header=BB114_11 Depth=3
	v_dual_mov_b32 v2, v0 :: v_dual_mov_b32 v3, v0
	ds_store_b128 v68, v[0:3] offset:256
; %bb.26:                               ;   in Loop: Header=BB114_11 Depth=3
	s_wait_alu 0xfffe
	s_or_b32 exec_lo, exec_lo, s7
.LBB114_27:                             ;   in Loop: Header=BB114_11 Depth=3
	s_wait_alu 0xfffe
	s_or_b32 exec_lo, exec_lo, s6
	v_add_co_u32 v2, s6, v10, 16
	s_wait_alu 0xf1ff
	v_add_co_ci_u32_e64 v3, null, 0, v11, s6
	v_cmp_eq_u64_e64 s7, s[26:27], v[24:25]
	s_delay_alu instid0(VALU_DEP_2)
	v_cmp_le_i64_e64 s6, s[42:43], v[2:3]
	v_cmp_gt_i64_e64 s8, v[2:3], v[16:17]
	s_and_b32 s57, s53, s7
	s_or_b32 s7, s6, s8
	s_wait_alu 0xfffe
	s_or_b32 s7, s7, s57
	s_wait_alu 0xfffe
	s_nor_b32 s7, s0, s7
	s_wait_alu 0xfffe
	s_and_saveexec_b32 s8, s7
	s_wait_alu 0xfffe
	s_xor_b32 s7, exec_lo, s8
	s_cbranch_execz .LBB114_29
; %bb.28:                               ;   in Loop: Header=BB114_11 Depth=3
	global_load_b128 v[8:11], v[8:9], off
	v_add_nc_u32_e32 v2, 0x2000, v68
	s_wait_loadcnt 0x0
	ds_store_2addr_b64 v2, v[8:9], v[10:11] offset1:1
.LBB114_29:                             ;   in Loop: Header=BB114_11 Depth=3
	s_wait_alu 0xfffe
	s_and_not1_saveexec_b32 s7, s7
	s_cbranch_execz .LBB114_35
; %bb.30:                               ;   in Loop: Header=BB114_11 Depth=3
	s_xor_b32 s8, s57, -1
	s_wait_alu 0xfffe
	s_and_saveexec_b32 s57, s8
	s_delay_alu instid0(SALU_CYCLE_1)
	s_xor_b32 s8, exec_lo, s57
; %bb.31:                               ;   in Loop: Header=BB114_11 Depth=3
	v_dual_mov_b32 v8, v0 :: v_dual_mov_b32 v9, v0
	v_dual_mov_b32 v10, v0 :: v_dual_mov_b32 v11, v0
	ds_store_b128 v68, v[8:11] offset:8192
; %bb.32:                               ;   in Loop: Header=BB114_11 Depth=3
	s_wait_alu 0xfffe
	s_and_not1_saveexec_b32 s8, s8
; %bb.33:                               ;   in Loop: Header=BB114_11 Depth=3
	v_dual_mov_b32 v2, v0 :: v_dual_mov_b32 v3, v0
	ds_store_b128 v68, v[0:3] offset:8192
; %bb.34:                               ;   in Loop: Header=BB114_11 Depth=3
	s_wait_alu 0xfffe
	s_or_b32 exec_lo, exec_lo, s8
.LBB114_35:                             ;   in Loop: Header=BB114_11 Depth=3
	s_wait_alu 0xfffe
	s_or_b32 exec_lo, exec_lo, s7
	s_or_b32 s5, s6, s5
	s_wait_alu 0xfffe
	s_or_b32 s5, s5, s56
	s_wait_alu 0xfffe
	s_nor_b32 s5, s3, s5
	s_wait_alu 0xfffe
	s_and_saveexec_b32 s6, s5
	s_wait_alu 0xfffe
	s_xor_b32 s6, exec_lo, s6
	s_cbranch_execz .LBB114_37
; %bb.36:                               ;   in Loop: Header=BB114_11 Depth=3
	v_add_co_u32 v2, s5, v40, s22
	s_wait_alu 0xf1ff
	v_add_co_ci_u32_e64 v3, null, s23, v41, s5
	global_load_b128 v[8:11], v[2:3], off offset:256
	s_wait_loadcnt 0x0
	ds_store_2addr_b64 v70, v[8:9], v[10:11] offset1:1
.LBB114_37:                             ;   in Loop: Header=BB114_11 Depth=3
	s_wait_alu 0xfffe
	s_and_not1_saveexec_b32 s5, s6
	s_cbranch_execz .LBB114_43
; %bb.38:                               ;   in Loop: Header=BB114_11 Depth=3
	s_and_saveexec_b32 s6, s55
	s_wait_alu 0xfffe
	s_xor_b32 s6, exec_lo, s6
; %bb.39:                               ;   in Loop: Header=BB114_11 Depth=3
	v_dual_mov_b32 v8, v0 :: v_dual_mov_b32 v9, v0
	v_dual_mov_b32 v10, v0 :: v_dual_mov_b32 v11, v0
	ds_store_b128 v68, v[8:11] offset:8448
; %bb.40:                               ;   in Loop: Header=BB114_11 Depth=3
	s_wait_alu 0xfffe
	s_and_not1_saveexec_b32 s6, s6
; %bb.41:                               ;   in Loop: Header=BB114_11 Depth=3
	v_dual_mov_b32 v2, v0 :: v_dual_mov_b32 v3, v0
	ds_store_b128 v68, v[0:3] offset:8448
; %bb.42:                               ;   in Loop: Header=BB114_11 Depth=3
	s_wait_alu 0xfffe
	s_or_b32 exec_lo, exec_lo, s6
.LBB114_43:                             ;   in Loop: Header=BB114_11 Depth=3
	s_wait_alu 0xfffe
	s_or_b32 exec_lo, exec_lo, s5
	v_add_co_u32 v2, s5, v65, s26
	s_wait_alu 0xf1ff
	v_add_co_ci_u32_e64 v3, null, 0, s27, s5
	s_delay_alu instid0(VALU_DEP_1)
	v_cmp_gt_i64_e64 s5, s[42:43], v[2:3]
	s_and_b32 s6, vcc_lo, s5
	s_wait_alu 0xfffe
	s_xor_b32 s6, s6, -1
	s_wait_alu 0xfffe
	s_and_saveexec_b32 s7, s6
	s_wait_alu 0xfffe
	s_xor_b32 s6, exec_lo, s7
; %bb.44:                               ;   in Loop: Header=BB114_11 Depth=3
	v_dual_mov_b32 v8, v0 :: v_dual_mov_b32 v9, v0
	v_dual_mov_b32 v10, v0 :: v_dual_mov_b32 v11, v0
	ds_store_b128 v69, v[8:11]
; %bb.45:                               ;   in Loop: Header=BB114_11 Depth=3
	s_wait_alu 0xfffe
	s_or_saveexec_b32 s7, s6
	v_add_co_u32 v8, s6, v44, s22
	s_wait_alu 0xf1ff
	v_add_co_ci_u32_e64 v9, null, s23, v45, s6
	s_wait_alu 0xfffe
	s_xor_b32 exec_lo, exec_lo, s7
	s_cbranch_execz .LBB114_47
; %bb.46:                               ;   in Loop: Header=BB114_11 Depth=3
	global_load_b128 v[10:13], v[8:9], off offset:-256
	s_wait_loadcnt 0x0
	ds_store_2addr_b64 v69, v[10:11], v[12:13] offset1:1
.LBB114_47:                             ;   in Loop: Header=BB114_11 Depth=3
	s_or_b32 exec_lo, exec_lo, s7
	v_cmp_gt_i64_e64 s6, s[46:47], v[2:3]
	s_and_b32 s7, vcc_lo, s6
	s_wait_alu 0xfffe
	s_xor_b32 s7, s7, -1
	s_wait_alu 0xfffe
	s_and_saveexec_b32 s8, s7
	s_wait_alu 0xfffe
	s_xor_b32 s7, exec_lo, s8
; %bb.48:                               ;   in Loop: Header=BB114_11 Depth=3
	v_dual_mov_b32 v8, v0 :: v_dual_mov_b32 v9, v0
	v_dual_mov_b32 v10, v0 :: v_dual_mov_b32 v11, v0
	ds_store_b128 v69, v[8:11] offset:256
                                        ; implicit-def: $vgpr8_vgpr9
; %bb.49:                               ;   in Loop: Header=BB114_11 Depth=3
	s_wait_alu 0xfffe
	s_and_not1_saveexec_b32 s7, s7
	s_cbranch_execz .LBB114_51
; %bb.50:                               ;   in Loop: Header=BB114_11 Depth=3
	global_load_b128 v[8:11], v[8:9], off
	s_wait_loadcnt 0x0
	ds_store_2addr_b64 v71, v[8:9], v[10:11] offset1:1
.LBB114_51:                             ;   in Loop: Header=BB114_11 Depth=3
	s_wait_alu 0xfffe
	s_or_b32 exec_lo, exec_lo, s7
	s_and_b32 s5, s4, s5
	s_wait_alu 0xfffe
	s_xor_b32 s5, s5, -1
	s_wait_alu 0xfffe
	s_and_saveexec_b32 s7, s5
	s_wait_alu 0xfffe
	s_xor_b32 s5, exec_lo, s7
; %bb.52:                               ;   in Loop: Header=BB114_11 Depth=3
	v_dual_mov_b32 v8, v0 :: v_dual_mov_b32 v9, v0
	v_dual_mov_b32 v10, v0 :: v_dual_mov_b32 v11, v0
	ds_store_b128 v69, v[8:11] offset:8192
; %bb.53:                               ;   in Loop: Header=BB114_11 Depth=3
	s_wait_alu 0xfffe
	s_or_saveexec_b32 s7, s5
	v_add_co_u32 v2, s5, v46, s22
	s_wait_alu 0xf1ff
	v_add_co_ci_u32_e64 v3, null, s23, v47, s5
	s_wait_alu 0xfffe
	s_xor_b32 exec_lo, exec_lo, s7
	s_cbranch_execz .LBB114_55
; %bb.54:                               ;   in Loop: Header=BB114_11 Depth=3
	global_load_b128 v[8:11], v[2:3], off offset:-256
	s_wait_loadcnt 0x0
	ds_store_2addr_b64 v72, v[8:9], v[10:11] offset1:1
.LBB114_55:                             ;   in Loop: Header=BB114_11 Depth=3
	s_or_b32 exec_lo, exec_lo, s7
	s_and_b32 s5, s4, s6
	s_wait_alu 0xfffe
	s_xor_b32 s5, s5, -1
	s_wait_alu 0xfffe
	s_and_saveexec_b32 s6, s5
	s_wait_alu 0xfffe
	s_xor_b32 s5, exec_lo, s6
; %bb.56:                               ;   in Loop: Header=BB114_11 Depth=3
	v_dual_mov_b32 v8, v0 :: v_dual_mov_b32 v9, v0
	v_dual_mov_b32 v10, v0 :: v_dual_mov_b32 v11, v0
                                        ; implicit-def: $vgpr2_vgpr3
	ds_store_b128 v69, v[8:11] offset:8448
; %bb.57:                               ;   in Loop: Header=BB114_11 Depth=3
	s_wait_alu 0xfffe
	s_and_not1_saveexec_b32 s5, s5
	s_cbranch_execz .LBB114_10
; %bb.58:                               ;   in Loop: Header=BB114_11 Depth=3
	global_load_b128 v[8:11], v[2:3], off
	s_wait_loadcnt 0x0
	ds_store_2addr_b64 v73, v[8:9], v[10:11] offset1:1
	s_branch .LBB114_10
.LBB114_59:                             ;   in Loop: Header=BB114_8 Depth=2
	v_mul_lo_u32 v8, s29, v75
	v_mul_lo_u32 v9, s28, v76
	v_mad_co_u64_u32 v[2:3], null, s28, v75, 0
	v_cmp_gt_i32_e32 vcc_lo, s10, v75
	s_delay_alu instid0(VALU_DEP_2) | instskip(NEXT) | instid1(VALU_DEP_1)
	v_add3_u32 v3, v3, v9, v8
	v_lshlrev_b64_e32 v[2:3], 4, v[2:3]
	s_delay_alu instid0(VALU_DEP_1) | instskip(SKIP_1) | instid1(VALU_DEP_2)
	v_add_co_u32 v2, s4, s20, v2
	s_wait_alu 0xf1ff
	v_add_co_ci_u32_e64 v3, null, s21, v3, s4
	s_and_b32 s4, s1, vcc_lo
	s_wait_alu 0xfffe
	s_and_saveexec_b32 s5, s4
	s_cbranch_execz .LBB114_61
; %bb.60:                               ;   in Loop: Header=BB114_8 Depth=2
	v_add_co_u32 v12, s4, v2, v26
	s_wait_alu 0xf1ff
	v_add_co_ci_u32_e64 v13, null, v3, v27, s4
	v_mul_f64_e32 v[14:15], v[6:7], v[54:55]
	v_mul_f64_e32 v[43:44], v[4:5], v[54:55]
	global_load_b128 v[8:11], v[12:13], off
	v_fma_f64 v[14:15], v[4:5], v[52:53], -v[14:15]
	v_fma_f64 v[43:44], v[6:7], v[52:53], v[43:44]
	s_wait_loadcnt 0x0
	s_delay_alu instid0(VALU_DEP_2) | instskip(NEXT) | instid1(VALU_DEP_2)
	v_add_f64_e32 v[8:9], v[8:9], v[14:15]
	v_add_f64_e32 v[10:11], v[43:44], v[10:11]
	global_store_b128 v[12:13], v[8:11], off
.LBB114_61:                             ;   in Loop: Header=BB114_8 Depth=2
	s_wait_alu 0xfffe
	s_or_b32 exec_lo, exec_lo, s5
	s_and_b32 s5, s2, vcc_lo
	s_wait_alu 0xfffe
	s_and_saveexec_b32 s4, s5
	s_cbranch_execz .LBB114_63
; %bb.62:                               ;   in Loop: Header=BB114_8 Depth=2
	v_add_co_u32 v2, vcc_lo, v2, v34
	s_wait_alu 0xfffd
	v_add_co_ci_u32_e64 v3, null, v3, v35, vcc_lo
	v_mul_f64_e32 v[12:13], v[6:7], v[50:51]
	v_mul_f64_e32 v[14:15], v[4:5], v[50:51]
	global_load_b128 v[8:11], v[2:3], off
	v_fma_f64 v[12:13], v[4:5], v[48:49], -v[12:13]
	v_fma_f64 v[14:15], v[6:7], v[48:49], v[14:15]
	s_wait_loadcnt 0x0
	s_delay_alu instid0(VALU_DEP_2) | instskip(NEXT) | instid1(VALU_DEP_2)
	v_add_f64_e32 v[8:9], v[8:9], v[12:13]
	v_add_f64_e32 v[10:11], v[14:15], v[10:11]
	global_store_b128 v[2:3], v[8:11], off
.LBB114_63:                             ;   in Loop: Header=BB114_8 Depth=2
	s_wait_alu 0xfffe
	s_or_b32 exec_lo, exec_lo, s4
	v_add_nc_u32_e32 v8, 16, v75
	s_delay_alu instid0(VALU_DEP_1) | instskip(SKIP_3) | instid1(VALU_DEP_4)
	v_ashrrev_i32_e32 v9, 31, v8
	v_mul_lo_u32 v10, s29, v8
	v_mad_co_u64_u32 v[2:3], null, s28, v8, 0
	v_cmp_gt_i32_e32 vcc_lo, s10, v8
	v_mul_lo_u32 v9, s28, v9
	s_delay_alu instid0(VALU_DEP_1) | instskip(NEXT) | instid1(VALU_DEP_1)
	v_add3_u32 v3, v3, v9, v10
	v_lshlrev_b64_e32 v[2:3], 4, v[2:3]
	s_delay_alu instid0(VALU_DEP_1) | instskip(SKIP_1) | instid1(VALU_DEP_2)
	v_add_co_u32 v2, s4, s20, v2
	s_wait_alu 0xf1ff
	v_add_co_ci_u32_e64 v3, null, s21, v3, s4
	s_and_b32 s4, s1, vcc_lo
	s_wait_alu 0xfffe
	s_and_saveexec_b32 s5, s4
	s_cbranch_execz .LBB114_65
; %bb.64:                               ;   in Loop: Header=BB114_8 Depth=2
	v_add_co_u32 v12, s4, v2, v26
	s_wait_alu 0xf1ff
	v_add_co_ci_u32_e64 v13, null, v3, v27, s4
	v_mul_f64_e32 v[14:15], v[6:7], v[58:59]
	v_mul_f64_e32 v[43:44], v[4:5], v[58:59]
	global_load_b128 v[8:11], v[12:13], off
	v_fma_f64 v[14:15], v[4:5], v[56:57], -v[14:15]
	v_fma_f64 v[43:44], v[6:7], v[56:57], v[43:44]
	s_wait_loadcnt 0x0
	s_delay_alu instid0(VALU_DEP_2) | instskip(NEXT) | instid1(VALU_DEP_2)
	v_add_f64_e32 v[8:9], v[8:9], v[14:15]
	v_add_f64_e32 v[10:11], v[43:44], v[10:11]
	global_store_b128 v[12:13], v[8:11], off
.LBB114_65:                             ;   in Loop: Header=BB114_8 Depth=2
	s_wait_alu 0xfffe
	s_or_b32 exec_lo, exec_lo, s5
	s_and_b32 s5, s2, vcc_lo
	s_wait_alu 0xfffe
	s_and_saveexec_b32 s4, s5
	s_cbranch_execz .LBB114_7
; %bb.66:                               ;   in Loop: Header=BB114_8 Depth=2
	v_add_co_u32 v2, vcc_lo, v2, v34
	s_wait_alu 0xfffd
	v_add_co_ci_u32_e64 v3, null, v3, v35, vcc_lo
	v_mul_f64_e32 v[12:13], v[6:7], v[60:61]
	v_mul_f64_e32 v[14:15], v[4:5], v[60:61]
	global_load_b128 v[8:11], v[2:3], off
	v_fma_f64 v[12:13], v[4:5], v[62:63], -v[12:13]
	v_fma_f64 v[14:15], v[6:7], v[62:63], v[14:15]
	s_wait_loadcnt 0x0
	s_delay_alu instid0(VALU_DEP_2) | instskip(NEXT) | instid1(VALU_DEP_2)
	v_add_f64_e32 v[8:9], v[8:9], v[12:13]
	v_add_f64_e32 v[10:11], v[14:15], v[10:11]
	global_store_b128 v[2:3], v[8:11], off
	s_branch .LBB114_7
.LBB114_67:
	s_endpgm
	.section	.rodata,"a",@progbits
	.p2align	6, 0x0
	.amdhsa_kernel _ZL30rocblas_trmm_outofplace_kernelI19rocblas_complex_numIdELi32ELi2ELb1ELb1ELb1ELb0EPKS1_S2_S1_Ev17rocblas_diagonal_iiT6_lPT7_lllS7_lllPT8_llli
		.amdhsa_group_segment_fixed_size 32768
		.amdhsa_private_segment_fixed_size 0
		.amdhsa_kernarg_size 392
		.amdhsa_user_sgpr_count 2
		.amdhsa_user_sgpr_dispatch_ptr 0
		.amdhsa_user_sgpr_queue_ptr 0
		.amdhsa_user_sgpr_kernarg_segment_ptr 1
		.amdhsa_user_sgpr_dispatch_id 0
		.amdhsa_user_sgpr_private_segment_size 0
		.amdhsa_wavefront_size32 1
		.amdhsa_uses_dynamic_stack 0
		.amdhsa_enable_private_segment 0
		.amdhsa_system_sgpr_workgroup_id_x 1
		.amdhsa_system_sgpr_workgroup_id_y 1
		.amdhsa_system_sgpr_workgroup_id_z 1
		.amdhsa_system_sgpr_workgroup_info 0
		.amdhsa_system_vgpr_workitem_id 1
		.amdhsa_next_free_vgpr 93
		.amdhsa_next_free_sgpr 58
		.amdhsa_reserve_vcc 1
		.amdhsa_float_round_mode_32 0
		.amdhsa_float_round_mode_16_64 0
		.amdhsa_float_denorm_mode_32 3
		.amdhsa_float_denorm_mode_16_64 3
		.amdhsa_fp16_overflow 0
		.amdhsa_workgroup_processor_mode 1
		.amdhsa_memory_ordered 1
		.amdhsa_forward_progress 1
		.amdhsa_inst_pref_size 77
		.amdhsa_round_robin_scheduling 0
		.amdhsa_exception_fp_ieee_invalid_op 0
		.amdhsa_exception_fp_denorm_src 0
		.amdhsa_exception_fp_ieee_div_zero 0
		.amdhsa_exception_fp_ieee_overflow 0
		.amdhsa_exception_fp_ieee_underflow 0
		.amdhsa_exception_fp_ieee_inexact 0
		.amdhsa_exception_int_div_zero 0
	.end_amdhsa_kernel
	.section	.text._ZL30rocblas_trmm_outofplace_kernelI19rocblas_complex_numIdELi32ELi2ELb1ELb1ELb1ELb0EPKS1_S2_S1_Ev17rocblas_diagonal_iiT6_lPT7_lllS7_lllPT8_llli,"axG",@progbits,_ZL30rocblas_trmm_outofplace_kernelI19rocblas_complex_numIdELi32ELi2ELb1ELb1ELb1ELb0EPKS1_S2_S1_Ev17rocblas_diagonal_iiT6_lPT7_lllS7_lllPT8_llli,comdat
.Lfunc_end114:
	.size	_ZL30rocblas_trmm_outofplace_kernelI19rocblas_complex_numIdELi32ELi2ELb1ELb1ELb1ELb0EPKS1_S2_S1_Ev17rocblas_diagonal_iiT6_lPT7_lllS7_lllPT8_llli, .Lfunc_end114-_ZL30rocblas_trmm_outofplace_kernelI19rocblas_complex_numIdELi32ELi2ELb1ELb1ELb1ELb0EPKS1_S2_S1_Ev17rocblas_diagonal_iiT6_lPT7_lllS7_lllPT8_llli
                                        ; -- End function
	.set _ZL30rocblas_trmm_outofplace_kernelI19rocblas_complex_numIdELi32ELi2ELb1ELb1ELb1ELb0EPKS1_S2_S1_Ev17rocblas_diagonal_iiT6_lPT7_lllS7_lllPT8_llli.num_vgpr, 93
	.set _ZL30rocblas_trmm_outofplace_kernelI19rocblas_complex_numIdELi32ELi2ELb1ELb1ELb1ELb0EPKS1_S2_S1_Ev17rocblas_diagonal_iiT6_lPT7_lllS7_lllPT8_llli.num_agpr, 0
	.set _ZL30rocblas_trmm_outofplace_kernelI19rocblas_complex_numIdELi32ELi2ELb1ELb1ELb1ELb0EPKS1_S2_S1_Ev17rocblas_diagonal_iiT6_lPT7_lllS7_lllPT8_llli.numbered_sgpr, 58
	.set _ZL30rocblas_trmm_outofplace_kernelI19rocblas_complex_numIdELi32ELi2ELb1ELb1ELb1ELb0EPKS1_S2_S1_Ev17rocblas_diagonal_iiT6_lPT7_lllS7_lllPT8_llli.num_named_barrier, 0
	.set _ZL30rocblas_trmm_outofplace_kernelI19rocblas_complex_numIdELi32ELi2ELb1ELb1ELb1ELb0EPKS1_S2_S1_Ev17rocblas_diagonal_iiT6_lPT7_lllS7_lllPT8_llli.private_seg_size, 0
	.set _ZL30rocblas_trmm_outofplace_kernelI19rocblas_complex_numIdELi32ELi2ELb1ELb1ELb1ELb0EPKS1_S2_S1_Ev17rocblas_diagonal_iiT6_lPT7_lllS7_lllPT8_llli.uses_vcc, 1
	.set _ZL30rocblas_trmm_outofplace_kernelI19rocblas_complex_numIdELi32ELi2ELb1ELb1ELb1ELb0EPKS1_S2_S1_Ev17rocblas_diagonal_iiT6_lPT7_lllS7_lllPT8_llli.uses_flat_scratch, 0
	.set _ZL30rocblas_trmm_outofplace_kernelI19rocblas_complex_numIdELi32ELi2ELb1ELb1ELb1ELb0EPKS1_S2_S1_Ev17rocblas_diagonal_iiT6_lPT7_lllS7_lllPT8_llli.has_dyn_sized_stack, 0
	.set _ZL30rocblas_trmm_outofplace_kernelI19rocblas_complex_numIdELi32ELi2ELb1ELb1ELb1ELb0EPKS1_S2_S1_Ev17rocblas_diagonal_iiT6_lPT7_lllS7_lllPT8_llli.has_recursion, 0
	.set _ZL30rocblas_trmm_outofplace_kernelI19rocblas_complex_numIdELi32ELi2ELb1ELb1ELb1ELb0EPKS1_S2_S1_Ev17rocblas_diagonal_iiT6_lPT7_lllS7_lllPT8_llli.has_indirect_call, 0
	.section	.AMDGPU.csdata,"",@progbits
; Kernel info:
; codeLenInByte = 9768
; TotalNumSgprs: 60
; NumVgprs: 93
; ScratchSize: 0
; MemoryBound: 0
; FloatMode: 240
; IeeeMode: 1
; LDSByteSize: 32768 bytes/workgroup (compile time only)
; SGPRBlocks: 0
; VGPRBlocks: 11
; NumSGPRsForWavesPerEU: 60
; NumVGPRsForWavesPerEU: 93
; Occupancy: 16
; WaveLimiterHint : 0
; COMPUTE_PGM_RSRC2:SCRATCH_EN: 0
; COMPUTE_PGM_RSRC2:USER_SGPR: 2
; COMPUTE_PGM_RSRC2:TRAP_HANDLER: 0
; COMPUTE_PGM_RSRC2:TGID_X_EN: 1
; COMPUTE_PGM_RSRC2:TGID_Y_EN: 1
; COMPUTE_PGM_RSRC2:TGID_Z_EN: 1
; COMPUTE_PGM_RSRC2:TIDIG_COMP_CNT: 1
	.section	.text._ZL30rocblas_trmm_outofplace_kernelI19rocblas_complex_numIdELi32ELi2ELb1ELb1ELb1ELb0ES1_KS1_S1_Ev17rocblas_diagonal_iiT6_lPT7_lllS6_lllPT8_llli,"axG",@progbits,_ZL30rocblas_trmm_outofplace_kernelI19rocblas_complex_numIdELi32ELi2ELb1ELb1ELb1ELb0ES1_KS1_S1_Ev17rocblas_diagonal_iiT6_lPT7_lllS6_lllPT8_llli,comdat
	.globl	_ZL30rocblas_trmm_outofplace_kernelI19rocblas_complex_numIdELi32ELi2ELb1ELb1ELb1ELb0ES1_KS1_S1_Ev17rocblas_diagonal_iiT6_lPT7_lllS6_lllPT8_llli ; -- Begin function _ZL30rocblas_trmm_outofplace_kernelI19rocblas_complex_numIdELi32ELi2ELb1ELb1ELb1ELb0ES1_KS1_S1_Ev17rocblas_diagonal_iiT6_lPT7_lllS6_lllPT8_llli
	.p2align	8
	.type	_ZL30rocblas_trmm_outofplace_kernelI19rocblas_complex_numIdELi32ELi2ELb1ELb1ELb1ELb0ES1_KS1_S1_Ev17rocblas_diagonal_iiT6_lPT7_lllS6_lllPT8_llli,@function
_ZL30rocblas_trmm_outofplace_kernelI19rocblas_complex_numIdELi32ELi2ELb1ELb1ELb1ELb0ES1_KS1_S1_Ev17rocblas_diagonal_iiT6_lPT7_lllS6_lllPT8_llli: ; @_ZL30rocblas_trmm_outofplace_kernelI19rocblas_complex_numIdELi32ELi2ELb1ELb1ELb1ELb0ES1_KS1_S1_Ev17rocblas_diagonal_iiT6_lPT7_lllS6_lllPT8_llli
; %bb.0:
	s_load_b32 s33, s[0:1], 0x88
	s_lshr_b32 s34, ttmp7, 16
	s_wait_kmcnt 0x0
	s_cmp_ge_u32 s34, s33
	s_cbranch_scc1 .LBB115_66
; %bb.1:
	s_load_b128 s[28:31], s[0:1], 0x10
	s_wait_kmcnt 0x0
	v_cmp_eq_f64_e64 s2, s[28:29], 0
	v_cmp_eq_f64_e64 s3, s[30:31], 0
	s_and_b32 s2, s2, s3
	s_delay_alu instid0(SALU_CYCLE_1)
	s_and_b32 vcc_lo, exec_lo, s2
	s_cbranch_vccnz .LBB115_66
; %bb.2:
	s_clause 0x1
	s_load_b96 s[36:38], s[0:1], 0x0
	s_load_b512 s[4:19], s[0:1], 0x28
	s_add_nc_u64 s[40:41], s[0:1], 0x90
	s_load_b256 s[20:27], s[0:1], 0x68
	v_bfe_u32 v56, v0, 10, 10
	v_and_b32_e32 v57, 0x3ff, v0
	s_and_b32 s39, ttmp7, 0xffff
	s_mov_b32 s35, 0
	s_delay_alu instid0(VALU_DEP_2) | instskip(NEXT) | instid1(VALU_DEP_2)
	v_lshlrev_b32_e32 v0, 9, v56
	v_lshlrev_b32_e32 v58, 4, v57
	;; [unrolled: 1-line block ×3, first 2 shown]
	v_lshl_add_u32 v68, s39, 5, v56
	s_delay_alu instid0(VALU_DEP_4) | instskip(NEXT) | instid1(VALU_DEP_4)
	v_add_nc_u32_e32 v59, 0x4000, v0
	v_add_nc_u32_e32 v60, v58, v0
	s_delay_alu instid0(VALU_DEP_2)
	v_dual_mov_b32 v0, 0 :: v_dual_add_nc_u32 v61, v59, v58
	s_wait_kmcnt 0x0
	s_add_co_i32 s0, s38, -1
	s_mov_b32 s42, s37
	s_ashr_i32 s1, s0, 31
	v_add_nc_u32_e32 v62, 0x100, v60
	s_lshr_b32 s1, s1, 27
	v_add_nc_u32_e32 v63, 0x2000, v60
	s_add_co_i32 s0, s0, s1
	v_add_nc_u32_e32 v64, 0x2100, v60
	s_ashr_i32 s47, s0, 5
	v_add_nc_u32_e32 v65, 0x100, v61
	s_cmp_le_i32 s39, s47
	v_add_nc_u32_e32 v66, 0x2000, v61
	s_cselect_b32 s48, -1, 0
	s_lshl_b32 s49, ttmp9, 5
	s_cmp_gt_i32 ttmp9, -1
	v_add_nc_u32_e32 v4, s49, v57
	s_cselect_b32 s50, -1, 0
	s_cmp_eq_u32 s36, 0x84
	v_add_nc_u32_e32 v67, 0x2100, v61
	s_cselect_b32 s51, -1, 0
	v_ashrrev_i32_e32 v5, 31, v4
	v_add_co_u32 v6, vcc_lo, v4, 16
	v_mul_lo_u32 v20, s9, v4
	v_mad_co_u64_u32 v[18:19], null, s8, v4, 0
	s_delay_alu instid0(VALU_DEP_4)
	v_mul_lo_u32 v3, s8, v5
	v_add_co_ci_u32_e64 v7, null, 0, v5, vcc_lo
	v_sub_co_u32 v8, vcc_lo, v4, v56
	s_lshl_b64 s[14:15], s[14:15], 4
	s_wait_alu 0xfffd
	v_subrev_co_ci_u32_e64 v9, null, 0, v5, vcc_lo
	s_add_nc_u64 s[12:13], s[12:13], s[14:15]
	v_add_co_u32 v10, vcc_lo, v8, 16
	v_add_co_u32 v16, s12, s12, v58
	v_lshlrev_b64_e32 v[14:15], 4, v[4:5]
	s_wait_alu 0xf1ff
	v_add_co_ci_u32_e64 v17, null, s13, 0, s12
	s_wait_alu 0xfffd
	v_add_co_ci_u32_e64 v11, null, 0, v9, vcc_lo
	v_add_co_u32 v12, vcc_lo, v8, -16
	v_add3_u32 v19, v19, v3, v20
	s_wait_alu 0xfffd
	v_add_co_ci_u32_e64 v13, null, -1, v9, vcc_lo
	v_add_co_u32 v16, vcc_lo, 0x100, v16
	s_wait_alu 0xfffd
	v_add_co_ci_u32_e64 v17, null, 0, v17, vcc_lo
	v_add_co_u32 v3, vcc_lo, 0x100, v14
	v_lshlrev_b64_e32 v[18:19], 4, v[18:19]
	s_wait_alu 0xfffd
	v_add_co_ci_u32_e64 v20, null, 0, v15, vcc_lo
	s_lshl_b64 s[6:7], s[6:7], 4
	v_mul_lo_u32 v24, s9, v3
	v_add_nc_u32_e32 v1, 16, v4
	v_mul_lo_u32 v23, s8, v20
	v_mad_co_u64_u32 v[20:21], null, s8, v3, s[6:7]
	v_add_co_u32 v3, vcc_lo, v18, s6
	s_wait_alu 0xfffd
	v_add_co_ci_u32_e64 v18, null, s7, v19, vcc_lo
	v_ashrrev_i32_e32 v2, 31, v1
	s_delay_alu instid0(VALU_DEP_3) | instskip(SKIP_1) | instid1(VALU_DEP_3)
	v_add_co_u32 v3, vcc_lo, v3, v22
	s_wait_alu 0xfffd
	v_add_co_ci_u32_e64 v18, null, 0, v18, vcc_lo
	v_add3_u32 v19, v24, v21, v23
	s_delay_alu instid0(VALU_DEP_3) | instskip(SKIP_1) | instid1(VALU_DEP_3)
	v_add_co_u32 v3, vcc_lo, s4, v3
	s_wait_alu 0xfffd
	v_add_co_ci_u32_e64 v21, null, s5, v18, vcc_lo
	v_add_co_u32 v20, vcc_lo, v20, v22
	s_wait_alu 0xfffd
	v_add_co_ci_u32_e64 v22, null, 0, v19, vcc_lo
	v_add_co_u32 v18, vcc_lo, 0x100, v3
	s_ashr_i32 s43, s37, 31
	s_wait_alu 0xfffd
	v_add_co_ci_u32_e64 v19, null, 0, v21, vcc_lo
	v_add_co_u32 v20, vcc_lo, s4, v20
	s_lshl_b64 s[0:1], s[22:23], 4
	v_cmp_le_i64_e64 s3, s[42:43], v[6:7]
	s_wait_alu 0xfffd
	v_add_co_ci_u32_e64 v21, null, s5, v22, vcc_lo
	v_lshlrev_b64_e32 v[22:23], 4, v[1:2]
	s_add_nc_u64 s[20:21], s[20:21], s[0:1]
	v_cmp_le_i32_e64 s0, s37, v4
	v_cmp_gt_i32_e64 s1, s37, v4
	v_cmp_gt_i32_e64 s2, s37, v1
	v_mov_b32_e32 v1, 0x3ff00000
	s_mov_b32 s46, s38
	s_ashr_i32 s52, s38, 31
	s_add_nc_u64 s[22:23], s[42:43], -16
	s_lshl_b64 s[12:13], s[18:19], 4
	s_lshl_b64 s[14:15], s[16:17], 4
	;; [unrolled: 1-line block ×3, first 2 shown]
	s_branch .LBB115_4
.LBB115_3:                              ;   in Loop: Header=BB115_4 Depth=1
	s_add_co_i32 s34, s34, 0x10000
	s_wait_alu 0xfffe
	s_cmp_ge_u32 s34, s33
	s_cbranch_scc1 .LBB115_66
.LBB115_4:                              ; =>This Loop Header: Depth=1
                                        ;     Child Loop BB115_7 Depth 2
                                        ;       Child Loop BB115_10 Depth 3
	s_and_not1_b32 vcc_lo, exec_lo, s48
	s_wait_alu 0xfffe
	s_cbranch_vccnz .LBB115_3
; %bb.5:                                ;   in Loop: Header=BB115_4 Depth=1
	v_mad_co_u64_u32 v[24:25], null, s12, s34, v[16:17]
	s_load_b32 s9, s[40:41], 0x4
	v_mad_co_u64_u32 v[26:27], null, s10, s34, v[18:19]
	s_mul_i32 s6, s11, s34
	v_mad_co_u64_u32 v[28:29], null, s10, s34, v[20:21]
	v_mov_b32_e32 v2, v25
	s_mul_u64 s[4:5], s[26:27], s[34:35]
	s_wait_alu 0xfffe
	v_dual_mov_b32 v30, v68 :: v_dual_add_nc_u32 v27, s6, v27
	s_lshl_b64 s[4:5], s[4:5], 4
	v_mad_co_u64_u32 v[2:3], null, s13, s34, v[2:3]
	s_delay_alu instid0(VALU_DEP_4) | instskip(SKIP_3) | instid1(VALU_DEP_2)
	v_add_nc_u32_e32 v29, s6, v29
	s_wait_alu 0xfffe
	s_add_nc_u64 s[18:19], s[20:21], s[4:5]
	s_mov_b32 s54, s39
	v_mov_b32_e32 v25, v2
	s_wait_kmcnt 0x0
	s_lshl_b32 s53, s9, 5
	s_branch .LBB115_7
.LBB115_6:                              ;   in Loop: Header=BB115_7 Depth=2
	s_wait_alu 0xfffe
	s_or_b32 exec_lo, exec_lo, s4
	v_add_nc_u32_e32 v30, s53, v30
	s_add_co_i32 s54, s9, s54
	s_wait_alu 0xfffe
	s_cmp_gt_i32 s54, s47
	s_cbranch_scc1 .LBB115_3
.LBB115_7:                              ;   Parent Loop BB115_4 Depth=1
                                        ; =>  This Loop Header: Depth=2
                                        ;       Child Loop BB115_10 Depth 3
	s_wait_alu 0xfffe
	v_lshl_add_u32 v69, s54, 5, v56
	v_mov_b32_e32 v48, 0
	v_mov_b32_e32 v36, 0
	;; [unrolled: 1-line block ×3, first 2 shown]
	v_dual_mov_b32 v46, 0 :: v_dual_mov_b32 v49, 0
	v_dual_mov_b32 v50, 0 :: v_dual_mov_b32 v37, 0
	;; [unrolled: 1-line block ×5, first 2 shown]
	v_mov_b32_e32 v39, 0
	v_mov_b32_e32 v43, 0
	;; [unrolled: 1-line block ×3, first 2 shown]
	v_ashrrev_i32_e32 v70, 31, v69
	s_and_not1_b32 vcc_lo, exec_lo, s50
	s_wait_alu 0xfffe
	s_cbranch_vccnz .LBB115_58
; %bb.8:                                ;   in Loop: Header=BB115_7 Depth=2
	v_ashrrev_i32_e32 v31, 31, v30
	v_mad_co_u64_u32 v[32:33], null, s14, v30, v[24:25]
	v_mul_lo_u32 v34, s15, v30
	v_mov_b32_e32 v44, 0
	s_delay_alu instid0(VALU_DEP_4)
	v_lshlrev_b64_e32 v[2:3], 4, v[30:31]
	v_mul_lo_u32 v31, s14, v31
	v_mov_b32_e32 v42, 0
	v_mov_b32_e32 v38, 0
	v_dual_mov_b32 v50, 0 :: v_dual_mov_b32 v45, 0
	v_mov_b32_e32 v46, 0
	v_add_co_u32 v35, vcc_lo, 0x100, v2
	s_wait_alu 0xfffd
	v_add_co_ci_u32_e64 v36, null, 0, v3, vcc_lo
	v_sub_co_u32 v2, vcc_lo, s46, v69
	v_add3_u32 v33, v34, v33, v31
	s_delay_alu instid0(VALU_DEP_3)
	v_mul_lo_u32 v31, s16, v36
	v_mul_lo_u32 v52, s17, v35
	v_mad_co_u64_u32 v[34:35], null, s16, v35, v[24:25]
	s_wait_alu 0xfffd
	v_sub_co_ci_u32_e64 v3, null, s52, v70, vcc_lo
	v_dual_mov_b32 v43, 0 :: v_dual_mov_b32 v40, 0
	v_dual_mov_b32 v39, 0 :: v_dual_mov_b32 v36, 0
	s_delay_alu instid0(VALU_DEP_3)
	v_cmp_lt_i64_e64 s4, 16, v[2:3]
	v_dual_mov_b32 v51, 0 :: v_dual_mov_b32 v48, 0
	v_mov_b32_e32 v47, 0
	v_mov_b32_e32 v41, 0
	;; [unrolled: 1-line block ×4, first 2 shown]
	v_add3_u32 v35, v52, v35, v31
	s_mov_b64 s[36:37], 0
	s_mov_b64 s[44:45], 0
	v_cmp_lt_i64_e32 vcc_lo, 0, v[2:3]
	s_branch .LBB115_10
.LBB115_9:                              ;   in Loop: Header=BB115_10 Depth=3
	s_wait_alu 0xfffe
	s_or_b32 exec_lo, exec_lo, s5
	s_wait_dscnt 0x0
	s_barrier_signal -1
	s_barrier_wait -1
	global_inv scope:SCOPE_SE
	ds_load_b128 v[52:55], v59
	ds_load_b128 v[71:74], v59 offset:16
	ds_load_b128 v[75:78], v59 offset:32
	;; [unrolled: 1-line block ×3, first 2 shown]
	ds_load_b128 v[83:86], v58
	s_add_nc_u64 s[44:45], s[44:45], 32
	s_add_nc_u64 s[36:37], s[36:37], 0x200
	s_wait_alu 0xfffe
	s_sub_co_i32 s5, s44, 32
	s_wait_alu 0xfffe
	s_cmp_ge_i32 s5, s49
	s_wait_dscnt 0x0
	v_mul_f64_e32 v[2:3], v[54:55], v[85:86]
	v_mul_f64_e32 v[87:88], v[52:53], v[85:86]
	s_delay_alu instid0(VALU_DEP_2) | instskip(NEXT) | instid1(VALU_DEP_2)
	v_fma_f64 v[2:3], v[52:53], v[83:84], -v[2:3]
	v_fma_f64 v[87:88], v[54:55], v[83:84], v[87:88]
	s_delay_alu instid0(VALU_DEP_2) | instskip(NEXT) | instid1(VALU_DEP_2)
	v_add_f64_e32 v[2:3], v[48:49], v[2:3]
	v_add_f64_e32 v[87:88], v[87:88], v[50:51]
	ds_load_b128 v[48:51], v58 offset:256
	s_wait_dscnt 0x0
	v_mul_f64_e32 v[89:90], v[54:55], v[50:51]
	s_delay_alu instid0(VALU_DEP_1) | instskip(SKIP_1) | instid1(VALU_DEP_1)
	v_fma_f64 v[89:90], v[52:53], v[48:49], -v[89:90]
	v_mul_f64_e32 v[52:53], v[52:53], v[50:51]
	v_fma_f64 v[52:53], v[54:55], v[48:49], v[52:53]
	s_delay_alu instid0(VALU_DEP_3) | instskip(NEXT) | instid1(VALU_DEP_2)
	v_add_f64_e32 v[54:55], v[36:37], v[89:90]
	v_add_f64_e32 v[52:53], v[52:53], v[38:39]
	ds_load_b128 v[36:39], v59 offset:8192
	s_wait_dscnt 0x0
	v_mul_f64_e32 v[89:90], v[38:39], v[85:86]
	v_mul_f64_e32 v[85:86], v[36:37], v[85:86]
	s_delay_alu instid0(VALU_DEP_2) | instskip(NEXT) | instid1(VALU_DEP_2)
	v_fma_f64 v[89:90], v[36:37], v[83:84], -v[89:90]
	v_fma_f64 v[83:84], v[38:39], v[83:84], v[85:86]
	s_delay_alu instid0(VALU_DEP_2) | instskip(SKIP_1) | instid1(VALU_DEP_3)
	v_add_f64_e32 v[85:86], v[40:41], v[89:90]
	v_mul_f64_e32 v[40:41], v[38:39], v[50:51]
	v_add_f64_e32 v[83:84], v[83:84], v[42:43]
	s_delay_alu instid0(VALU_DEP_2) | instskip(SKIP_1) | instid1(VALU_DEP_1)
	v_fma_f64 v[40:41], v[36:37], v[48:49], -v[40:41]
	v_mul_f64_e32 v[36:37], v[36:37], v[50:51]
	v_fma_f64 v[36:37], v[38:39], v[48:49], v[36:37]
	s_delay_alu instid0(VALU_DEP_3) | instskip(NEXT) | instid1(VALU_DEP_2)
	v_add_f64_e32 v[48:49], v[46:47], v[40:41]
	v_add_f64_e32 v[50:51], v[36:37], v[44:45]
	ds_load_b128 v[36:39], v58 offset:512
	s_wait_dscnt 0x0
	v_mul_f64_e32 v[40:41], v[73:74], v[38:39]
	v_mul_f64_e32 v[42:43], v[71:72], v[38:39]
	s_delay_alu instid0(VALU_DEP_2) | instskip(NEXT) | instid1(VALU_DEP_2)
	v_fma_f64 v[40:41], v[71:72], v[36:37], -v[40:41]
	v_fma_f64 v[42:43], v[73:74], v[36:37], v[42:43]
	s_delay_alu instid0(VALU_DEP_2) | instskip(NEXT) | instid1(VALU_DEP_2)
	v_add_f64_e32 v[2:3], v[2:3], v[40:41]
	v_add_f64_e32 v[87:88], v[42:43], v[87:88]
	ds_load_b128 v[40:43], v58 offset:768
	s_wait_dscnt 0x0
	v_mul_f64_e32 v[44:45], v[73:74], v[42:43]
	v_mul_f64_e32 v[46:47], v[71:72], v[42:43]
	s_delay_alu instid0(VALU_DEP_2) | instskip(NEXT) | instid1(VALU_DEP_2)
	v_fma_f64 v[44:45], v[71:72], v[40:41], -v[44:45]
	v_fma_f64 v[46:47], v[73:74], v[40:41], v[46:47]
	s_delay_alu instid0(VALU_DEP_2) | instskip(NEXT) | instid1(VALU_DEP_2)
	v_add_f64_e32 v[54:55], v[54:55], v[44:45]
	v_add_f64_e32 v[52:53], v[46:47], v[52:53]
	ds_load_b128 v[44:47], v59 offset:8208
	s_wait_dscnt 0x0
	v_mul_f64_e32 v[71:72], v[46:47], v[38:39]
	v_mul_f64_e32 v[38:39], v[44:45], v[38:39]
	s_delay_alu instid0(VALU_DEP_2) | instskip(NEXT) | instid1(VALU_DEP_2)
	v_fma_f64 v[71:72], v[44:45], v[36:37], -v[71:72]
	v_fma_f64 v[36:37], v[46:47], v[36:37], v[38:39]
	v_mul_f64_e32 v[38:39], v[44:45], v[42:43]
	s_delay_alu instid0(VALU_DEP_3) | instskip(NEXT) | instid1(VALU_DEP_3)
	v_add_f64_e32 v[71:72], v[85:86], v[71:72]
	v_add_f64_e32 v[73:74], v[36:37], v[83:84]
	v_mul_f64_e32 v[36:37], v[46:47], v[42:43]
	s_delay_alu instid0(VALU_DEP_4) | instskip(NEXT) | instid1(VALU_DEP_2)
	v_fma_f64 v[38:39], v[46:47], v[40:41], v[38:39]
	v_fma_f64 v[36:37], v[44:45], v[40:41], -v[36:37]
	s_delay_alu instid0(VALU_DEP_2) | instskip(NEXT) | instid1(VALU_DEP_2)
	v_add_f64_e32 v[50:51], v[38:39], v[50:51]
	v_add_f64_e32 v[48:49], v[48:49], v[36:37]
	ds_load_b128 v[36:39], v58 offset:1024
	s_wait_dscnt 0x0
	v_mul_f64_e32 v[40:41], v[77:78], v[38:39]
	v_mul_f64_e32 v[42:43], v[75:76], v[38:39]
	s_delay_alu instid0(VALU_DEP_2) | instskip(NEXT) | instid1(VALU_DEP_2)
	v_fma_f64 v[40:41], v[75:76], v[36:37], -v[40:41]
	v_fma_f64 v[42:43], v[77:78], v[36:37], v[42:43]
	s_delay_alu instid0(VALU_DEP_2) | instskip(NEXT) | instid1(VALU_DEP_2)
	v_add_f64_e32 v[2:3], v[2:3], v[40:41]
	v_add_f64_e32 v[83:84], v[42:43], v[87:88]
	ds_load_b128 v[40:43], v58 offset:1280
	s_wait_dscnt 0x0
	v_mul_f64_e32 v[44:45], v[77:78], v[42:43]
	v_mul_f64_e32 v[46:47], v[75:76], v[42:43]
	s_delay_alu instid0(VALU_DEP_2) | instskip(NEXT) | instid1(VALU_DEP_2)
	v_fma_f64 v[44:45], v[75:76], v[40:41], -v[44:45]
	v_fma_f64 v[46:47], v[77:78], v[40:41], v[46:47]
	s_delay_alu instid0(VALU_DEP_2) | instskip(NEXT) | instid1(VALU_DEP_2)
	v_add_f64_e32 v[54:55], v[54:55], v[44:45]
	v_add_f64_e32 v[52:53], v[46:47], v[52:53]
	ds_load_b128 v[44:47], v59 offset:8224
	s_wait_dscnt 0x0
	v_mul_f64_e32 v[75:76], v[46:47], v[38:39]
	v_mul_f64_e32 v[38:39], v[44:45], v[38:39]
	s_delay_alu instid0(VALU_DEP_2) | instskip(NEXT) | instid1(VALU_DEP_2)
	v_fma_f64 v[75:76], v[44:45], v[36:37], -v[75:76]
	v_fma_f64 v[36:37], v[46:47], v[36:37], v[38:39]
	v_mul_f64_e32 v[38:39], v[44:45], v[42:43]
	s_delay_alu instid0(VALU_DEP_3) | instskip(NEXT) | instid1(VALU_DEP_3)
	v_add_f64_e32 v[71:72], v[71:72], v[75:76]
	v_add_f64_e32 v[73:74], v[36:37], v[73:74]
	v_mul_f64_e32 v[36:37], v[46:47], v[42:43]
	s_delay_alu instid0(VALU_DEP_4) | instskip(NEXT) | instid1(VALU_DEP_2)
	v_fma_f64 v[38:39], v[46:47], v[40:41], v[38:39]
	v_fma_f64 v[36:37], v[44:45], v[40:41], -v[36:37]
	s_delay_alu instid0(VALU_DEP_2) | instskip(NEXT) | instid1(VALU_DEP_2)
	;; [unrolled: 38-line block ×3, first 2 shown]
	v_add_f64_e32 v[50:51], v[38:39], v[50:51]
	v_add_f64_e32 v[48:49], v[48:49], v[36:37]
	ds_load_b128 v[36:39], v59 offset:64
	ds_load_b128 v[40:43], v58 offset:2048
	s_wait_dscnt 0x0
	v_mul_f64_e32 v[44:45], v[38:39], v[42:43]
	v_mul_f64_e32 v[46:47], v[36:37], v[42:43]
	s_delay_alu instid0(VALU_DEP_2) | instskip(NEXT) | instid1(VALU_DEP_2)
	v_fma_f64 v[44:45], v[36:37], v[40:41], -v[44:45]
	v_fma_f64 v[46:47], v[38:39], v[40:41], v[46:47]
	s_delay_alu instid0(VALU_DEP_2) | instskip(NEXT) | instid1(VALU_DEP_2)
	v_add_f64_e32 v[2:3], v[2:3], v[44:45]
	v_add_f64_e32 v[75:76], v[46:47], v[75:76]
	ds_load_b128 v[44:47], v58 offset:2304
	s_wait_dscnt 0x0
	v_mul_f64_e32 v[77:78], v[38:39], v[46:47]
	s_delay_alu instid0(VALU_DEP_1) | instskip(SKIP_1) | instid1(VALU_DEP_2)
	v_fma_f64 v[77:78], v[36:37], v[44:45], -v[77:78]
	v_mul_f64_e32 v[36:37], v[36:37], v[46:47]
	v_add_f64_e32 v[54:55], v[54:55], v[77:78]
	s_delay_alu instid0(VALU_DEP_2) | instskip(NEXT) | instid1(VALU_DEP_1)
	v_fma_f64 v[36:37], v[38:39], v[44:45], v[36:37]
	v_add_f64_e32 v[52:53], v[36:37], v[52:53]
	ds_load_b128 v[36:39], v59 offset:8256
	s_wait_dscnt 0x0
	v_mul_f64_e32 v[77:78], v[38:39], v[42:43]
	v_mul_f64_e32 v[42:43], v[36:37], v[42:43]
	s_delay_alu instid0(VALU_DEP_2) | instskip(NEXT) | instid1(VALU_DEP_2)
	v_fma_f64 v[77:78], v[36:37], v[40:41], -v[77:78]
	v_fma_f64 v[40:41], v[38:39], v[40:41], v[42:43]
	s_delay_alu instid0(VALU_DEP_2) | instskip(NEXT) | instid1(VALU_DEP_2)
	v_add_f64_e32 v[71:72], v[71:72], v[77:78]
	v_add_f64_e32 v[73:74], v[40:41], v[73:74]
	v_mul_f64_e32 v[40:41], v[38:39], v[46:47]
	s_delay_alu instid0(VALU_DEP_1) | instskip(SKIP_1) | instid1(VALU_DEP_2)
	v_fma_f64 v[40:41], v[36:37], v[44:45], -v[40:41]
	v_mul_f64_e32 v[36:37], v[36:37], v[46:47]
	v_add_f64_e32 v[48:49], v[48:49], v[40:41]
	s_delay_alu instid0(VALU_DEP_2) | instskip(NEXT) | instid1(VALU_DEP_1)
	v_fma_f64 v[36:37], v[38:39], v[44:45], v[36:37]
	v_add_f64_e32 v[50:51], v[36:37], v[50:51]
	ds_load_b128 v[36:39], v59 offset:80
	ds_load_b128 v[40:43], v58 offset:2560
	s_wait_dscnt 0x0
	v_mul_f64_e32 v[44:45], v[38:39], v[42:43]
	v_mul_f64_e32 v[46:47], v[36:37], v[42:43]
	s_delay_alu instid0(VALU_DEP_2) | instskip(NEXT) | instid1(VALU_DEP_2)
	v_fma_f64 v[44:45], v[36:37], v[40:41], -v[44:45]
	v_fma_f64 v[46:47], v[38:39], v[40:41], v[46:47]
	s_delay_alu instid0(VALU_DEP_2) | instskip(NEXT) | instid1(VALU_DEP_2)
	v_add_f64_e32 v[2:3], v[2:3], v[44:45]
	v_add_f64_e32 v[75:76], v[46:47], v[75:76]
	ds_load_b128 v[44:47], v58 offset:2816
	s_wait_dscnt 0x0
	v_mul_f64_e32 v[77:78], v[38:39], v[46:47]
	s_delay_alu instid0(VALU_DEP_1) | instskip(SKIP_1) | instid1(VALU_DEP_2)
	v_fma_f64 v[77:78], v[36:37], v[44:45], -v[77:78]
	v_mul_f64_e32 v[36:37], v[36:37], v[46:47]
	v_add_f64_e32 v[54:55], v[54:55], v[77:78]
	s_delay_alu instid0(VALU_DEP_2) | instskip(NEXT) | instid1(VALU_DEP_1)
	v_fma_f64 v[36:37], v[38:39], v[44:45], v[36:37]
	v_add_f64_e32 v[52:53], v[36:37], v[52:53]
	ds_load_b128 v[36:39], v59 offset:8272
	s_wait_dscnt 0x0
	v_mul_f64_e32 v[77:78], v[38:39], v[42:43]
	v_mul_f64_e32 v[42:43], v[36:37], v[42:43]
	s_delay_alu instid0(VALU_DEP_2) | instskip(NEXT) | instid1(VALU_DEP_2)
	v_fma_f64 v[77:78], v[36:37], v[40:41], -v[77:78]
	v_fma_f64 v[40:41], v[38:39], v[40:41], v[42:43]
	s_delay_alu instid0(VALU_DEP_2) | instskip(NEXT) | instid1(VALU_DEP_2)
	v_add_f64_e32 v[71:72], v[71:72], v[77:78]
	v_add_f64_e32 v[73:74], v[40:41], v[73:74]
	v_mul_f64_e32 v[40:41], v[38:39], v[46:47]
	s_delay_alu instid0(VALU_DEP_1) | instskip(SKIP_1) | instid1(VALU_DEP_2)
	v_fma_f64 v[40:41], v[36:37], v[44:45], -v[40:41]
	v_mul_f64_e32 v[36:37], v[36:37], v[46:47]
	v_add_f64_e32 v[48:49], v[48:49], v[40:41]
	s_delay_alu instid0(VALU_DEP_2) | instskip(NEXT) | instid1(VALU_DEP_1)
	v_fma_f64 v[36:37], v[38:39], v[44:45], v[36:37]
	v_add_f64_e32 v[50:51], v[36:37], v[50:51]
	ds_load_b128 v[36:39], v59 offset:96
	ds_load_b128 v[40:43], v58 offset:3072
	s_wait_dscnt 0x0
	v_mul_f64_e32 v[44:45], v[38:39], v[42:43]
	v_mul_f64_e32 v[46:47], v[36:37], v[42:43]
	s_delay_alu instid0(VALU_DEP_2) | instskip(NEXT) | instid1(VALU_DEP_2)
	v_fma_f64 v[44:45], v[36:37], v[40:41], -v[44:45]
	v_fma_f64 v[46:47], v[38:39], v[40:41], v[46:47]
	s_delay_alu instid0(VALU_DEP_2) | instskip(NEXT) | instid1(VALU_DEP_2)
	v_add_f64_e32 v[2:3], v[2:3], v[44:45]
	v_add_f64_e32 v[75:76], v[46:47], v[75:76]
	ds_load_b128 v[44:47], v58 offset:3328
	s_wait_dscnt 0x0
	v_mul_f64_e32 v[77:78], v[38:39], v[46:47]
	s_delay_alu instid0(VALU_DEP_1) | instskip(SKIP_1) | instid1(VALU_DEP_2)
	v_fma_f64 v[77:78], v[36:37], v[44:45], -v[77:78]
	v_mul_f64_e32 v[36:37], v[36:37], v[46:47]
	v_add_f64_e32 v[54:55], v[54:55], v[77:78]
	s_delay_alu instid0(VALU_DEP_2) | instskip(NEXT) | instid1(VALU_DEP_1)
	v_fma_f64 v[36:37], v[38:39], v[44:45], v[36:37]
	v_add_f64_e32 v[52:53], v[36:37], v[52:53]
	ds_load_b128 v[36:39], v59 offset:8288
	s_wait_dscnt 0x0
	v_mul_f64_e32 v[77:78], v[38:39], v[42:43]
	v_mul_f64_e32 v[42:43], v[36:37], v[42:43]
	s_delay_alu instid0(VALU_DEP_2) | instskip(NEXT) | instid1(VALU_DEP_2)
	v_fma_f64 v[77:78], v[36:37], v[40:41], -v[77:78]
	v_fma_f64 v[40:41], v[38:39], v[40:41], v[42:43]
	s_delay_alu instid0(VALU_DEP_2) | instskip(NEXT) | instid1(VALU_DEP_2)
	v_add_f64_e32 v[71:72], v[71:72], v[77:78]
	v_add_f64_e32 v[73:74], v[40:41], v[73:74]
	v_mul_f64_e32 v[40:41], v[38:39], v[46:47]
	s_delay_alu instid0(VALU_DEP_1) | instskip(SKIP_1) | instid1(VALU_DEP_2)
	v_fma_f64 v[40:41], v[36:37], v[44:45], -v[40:41]
	v_mul_f64_e32 v[36:37], v[36:37], v[46:47]
	v_add_f64_e32 v[48:49], v[48:49], v[40:41]
	s_delay_alu instid0(VALU_DEP_2) | instskip(NEXT) | instid1(VALU_DEP_1)
	v_fma_f64 v[36:37], v[38:39], v[44:45], v[36:37]
	v_add_f64_e32 v[50:51], v[36:37], v[50:51]
	ds_load_b128 v[36:39], v59 offset:112
	ds_load_b128 v[40:43], v58 offset:3584
	s_wait_dscnt 0x0
	v_mul_f64_e32 v[44:45], v[38:39], v[42:43]
	v_mul_f64_e32 v[46:47], v[36:37], v[42:43]
	s_delay_alu instid0(VALU_DEP_2) | instskip(NEXT) | instid1(VALU_DEP_2)
	v_fma_f64 v[44:45], v[36:37], v[40:41], -v[44:45]
	v_fma_f64 v[46:47], v[38:39], v[40:41], v[46:47]
	s_delay_alu instid0(VALU_DEP_2) | instskip(NEXT) | instid1(VALU_DEP_2)
	v_add_f64_e32 v[2:3], v[2:3], v[44:45]
	v_add_f64_e32 v[75:76], v[46:47], v[75:76]
	ds_load_b128 v[44:47], v58 offset:3840
	s_wait_dscnt 0x0
	v_mul_f64_e32 v[77:78], v[38:39], v[46:47]
	s_delay_alu instid0(VALU_DEP_1) | instskip(SKIP_1) | instid1(VALU_DEP_2)
	v_fma_f64 v[77:78], v[36:37], v[44:45], -v[77:78]
	v_mul_f64_e32 v[36:37], v[36:37], v[46:47]
	v_add_f64_e32 v[54:55], v[54:55], v[77:78]
	s_delay_alu instid0(VALU_DEP_2) | instskip(NEXT) | instid1(VALU_DEP_1)
	v_fma_f64 v[36:37], v[38:39], v[44:45], v[36:37]
	v_add_f64_e32 v[52:53], v[36:37], v[52:53]
	ds_load_b128 v[36:39], v59 offset:8304
	s_wait_dscnt 0x0
	v_mul_f64_e32 v[77:78], v[38:39], v[42:43]
	v_mul_f64_e32 v[42:43], v[36:37], v[42:43]
	s_delay_alu instid0(VALU_DEP_2) | instskip(NEXT) | instid1(VALU_DEP_2)
	v_fma_f64 v[77:78], v[36:37], v[40:41], -v[77:78]
	v_fma_f64 v[40:41], v[38:39], v[40:41], v[42:43]
	s_delay_alu instid0(VALU_DEP_2) | instskip(NEXT) | instid1(VALU_DEP_2)
	v_add_f64_e32 v[71:72], v[71:72], v[77:78]
	v_add_f64_e32 v[73:74], v[40:41], v[73:74]
	v_mul_f64_e32 v[40:41], v[38:39], v[46:47]
	s_delay_alu instid0(VALU_DEP_1) | instskip(SKIP_1) | instid1(VALU_DEP_2)
	v_fma_f64 v[40:41], v[36:37], v[44:45], -v[40:41]
	v_mul_f64_e32 v[36:37], v[36:37], v[46:47]
	v_add_f64_e32 v[48:49], v[48:49], v[40:41]
	s_delay_alu instid0(VALU_DEP_2) | instskip(NEXT) | instid1(VALU_DEP_1)
	v_fma_f64 v[36:37], v[38:39], v[44:45], v[36:37]
	v_add_f64_e32 v[50:51], v[36:37], v[50:51]
	ds_load_b128 v[36:39], v59 offset:128
	ds_load_b128 v[40:43], v58 offset:4096
	s_wait_dscnt 0x0
	v_mul_f64_e32 v[44:45], v[38:39], v[42:43]
	v_mul_f64_e32 v[46:47], v[36:37], v[42:43]
	s_delay_alu instid0(VALU_DEP_2) | instskip(NEXT) | instid1(VALU_DEP_2)
	v_fma_f64 v[44:45], v[36:37], v[40:41], -v[44:45]
	v_fma_f64 v[46:47], v[38:39], v[40:41], v[46:47]
	s_delay_alu instid0(VALU_DEP_2) | instskip(NEXT) | instid1(VALU_DEP_2)
	v_add_f64_e32 v[2:3], v[2:3], v[44:45]
	v_add_f64_e32 v[75:76], v[46:47], v[75:76]
	ds_load_b128 v[44:47], v58 offset:4352
	s_wait_dscnt 0x0
	v_mul_f64_e32 v[77:78], v[38:39], v[46:47]
	s_delay_alu instid0(VALU_DEP_1) | instskip(SKIP_1) | instid1(VALU_DEP_2)
	v_fma_f64 v[77:78], v[36:37], v[44:45], -v[77:78]
	v_mul_f64_e32 v[36:37], v[36:37], v[46:47]
	v_add_f64_e32 v[54:55], v[54:55], v[77:78]
	s_delay_alu instid0(VALU_DEP_2) | instskip(NEXT) | instid1(VALU_DEP_1)
	v_fma_f64 v[36:37], v[38:39], v[44:45], v[36:37]
	v_add_f64_e32 v[52:53], v[36:37], v[52:53]
	ds_load_b128 v[36:39], v59 offset:8320
	s_wait_dscnt 0x0
	v_mul_f64_e32 v[77:78], v[38:39], v[42:43]
	v_mul_f64_e32 v[42:43], v[36:37], v[42:43]
	s_delay_alu instid0(VALU_DEP_2) | instskip(NEXT) | instid1(VALU_DEP_2)
	v_fma_f64 v[77:78], v[36:37], v[40:41], -v[77:78]
	v_fma_f64 v[40:41], v[38:39], v[40:41], v[42:43]
	s_delay_alu instid0(VALU_DEP_2) | instskip(NEXT) | instid1(VALU_DEP_2)
	v_add_f64_e32 v[71:72], v[71:72], v[77:78]
	v_add_f64_e32 v[73:74], v[40:41], v[73:74]
	v_mul_f64_e32 v[40:41], v[38:39], v[46:47]
	s_delay_alu instid0(VALU_DEP_1) | instskip(SKIP_1) | instid1(VALU_DEP_2)
	v_fma_f64 v[40:41], v[36:37], v[44:45], -v[40:41]
	v_mul_f64_e32 v[36:37], v[36:37], v[46:47]
	v_add_f64_e32 v[48:49], v[48:49], v[40:41]
	s_delay_alu instid0(VALU_DEP_2) | instskip(NEXT) | instid1(VALU_DEP_1)
	v_fma_f64 v[36:37], v[38:39], v[44:45], v[36:37]
	v_add_f64_e32 v[50:51], v[36:37], v[50:51]
	ds_load_b128 v[36:39], v59 offset:144
	ds_load_b128 v[40:43], v58 offset:4608
	s_wait_dscnt 0x0
	v_mul_f64_e32 v[44:45], v[38:39], v[42:43]
	v_mul_f64_e32 v[46:47], v[36:37], v[42:43]
	s_delay_alu instid0(VALU_DEP_2) | instskip(NEXT) | instid1(VALU_DEP_2)
	v_fma_f64 v[44:45], v[36:37], v[40:41], -v[44:45]
	v_fma_f64 v[46:47], v[38:39], v[40:41], v[46:47]
	s_delay_alu instid0(VALU_DEP_2) | instskip(NEXT) | instid1(VALU_DEP_2)
	v_add_f64_e32 v[2:3], v[2:3], v[44:45]
	v_add_f64_e32 v[75:76], v[46:47], v[75:76]
	ds_load_b128 v[44:47], v58 offset:4864
	s_wait_dscnt 0x0
	v_mul_f64_e32 v[77:78], v[38:39], v[46:47]
	s_delay_alu instid0(VALU_DEP_1) | instskip(SKIP_1) | instid1(VALU_DEP_2)
	v_fma_f64 v[77:78], v[36:37], v[44:45], -v[77:78]
	v_mul_f64_e32 v[36:37], v[36:37], v[46:47]
	v_add_f64_e32 v[54:55], v[54:55], v[77:78]
	s_delay_alu instid0(VALU_DEP_2) | instskip(NEXT) | instid1(VALU_DEP_1)
	v_fma_f64 v[36:37], v[38:39], v[44:45], v[36:37]
	v_add_f64_e32 v[52:53], v[36:37], v[52:53]
	ds_load_b128 v[36:39], v59 offset:8336
	s_wait_dscnt 0x0
	v_mul_f64_e32 v[77:78], v[38:39], v[42:43]
	v_mul_f64_e32 v[42:43], v[36:37], v[42:43]
	s_delay_alu instid0(VALU_DEP_2) | instskip(NEXT) | instid1(VALU_DEP_2)
	v_fma_f64 v[77:78], v[36:37], v[40:41], -v[77:78]
	v_fma_f64 v[40:41], v[38:39], v[40:41], v[42:43]
	s_delay_alu instid0(VALU_DEP_2) | instskip(NEXT) | instid1(VALU_DEP_2)
	v_add_f64_e32 v[71:72], v[71:72], v[77:78]
	v_add_f64_e32 v[73:74], v[40:41], v[73:74]
	v_mul_f64_e32 v[40:41], v[38:39], v[46:47]
	s_delay_alu instid0(VALU_DEP_1) | instskip(SKIP_1) | instid1(VALU_DEP_2)
	v_fma_f64 v[40:41], v[36:37], v[44:45], -v[40:41]
	v_mul_f64_e32 v[36:37], v[36:37], v[46:47]
	v_add_f64_e32 v[48:49], v[48:49], v[40:41]
	s_delay_alu instid0(VALU_DEP_2) | instskip(NEXT) | instid1(VALU_DEP_1)
	v_fma_f64 v[36:37], v[38:39], v[44:45], v[36:37]
	v_add_f64_e32 v[50:51], v[36:37], v[50:51]
	ds_load_b128 v[36:39], v59 offset:160
	ds_load_b128 v[40:43], v58 offset:5120
	s_wait_dscnt 0x0
	v_mul_f64_e32 v[44:45], v[38:39], v[42:43]
	v_mul_f64_e32 v[46:47], v[36:37], v[42:43]
	s_delay_alu instid0(VALU_DEP_2) | instskip(NEXT) | instid1(VALU_DEP_2)
	v_fma_f64 v[44:45], v[36:37], v[40:41], -v[44:45]
	v_fma_f64 v[46:47], v[38:39], v[40:41], v[46:47]
	s_delay_alu instid0(VALU_DEP_2) | instskip(NEXT) | instid1(VALU_DEP_2)
	v_add_f64_e32 v[2:3], v[2:3], v[44:45]
	v_add_f64_e32 v[75:76], v[46:47], v[75:76]
	ds_load_b128 v[44:47], v58 offset:5376
	s_wait_dscnt 0x0
	v_mul_f64_e32 v[77:78], v[38:39], v[46:47]
	s_delay_alu instid0(VALU_DEP_1) | instskip(SKIP_1) | instid1(VALU_DEP_2)
	v_fma_f64 v[77:78], v[36:37], v[44:45], -v[77:78]
	v_mul_f64_e32 v[36:37], v[36:37], v[46:47]
	v_add_f64_e32 v[54:55], v[54:55], v[77:78]
	s_delay_alu instid0(VALU_DEP_2) | instskip(NEXT) | instid1(VALU_DEP_1)
	v_fma_f64 v[36:37], v[38:39], v[44:45], v[36:37]
	v_add_f64_e32 v[52:53], v[36:37], v[52:53]
	ds_load_b128 v[36:39], v59 offset:8352
	s_wait_dscnt 0x0
	v_mul_f64_e32 v[77:78], v[38:39], v[42:43]
	v_mul_f64_e32 v[42:43], v[36:37], v[42:43]
	s_delay_alu instid0(VALU_DEP_2) | instskip(NEXT) | instid1(VALU_DEP_2)
	v_fma_f64 v[77:78], v[36:37], v[40:41], -v[77:78]
	v_fma_f64 v[40:41], v[38:39], v[40:41], v[42:43]
	s_delay_alu instid0(VALU_DEP_2) | instskip(NEXT) | instid1(VALU_DEP_2)
	v_add_f64_e32 v[71:72], v[71:72], v[77:78]
	v_add_f64_e32 v[73:74], v[40:41], v[73:74]
	v_mul_f64_e32 v[40:41], v[38:39], v[46:47]
	s_delay_alu instid0(VALU_DEP_1) | instskip(SKIP_1) | instid1(VALU_DEP_2)
	v_fma_f64 v[40:41], v[36:37], v[44:45], -v[40:41]
	v_mul_f64_e32 v[36:37], v[36:37], v[46:47]
	v_add_f64_e32 v[48:49], v[48:49], v[40:41]
	s_delay_alu instid0(VALU_DEP_2) | instskip(NEXT) | instid1(VALU_DEP_1)
	v_fma_f64 v[36:37], v[38:39], v[44:45], v[36:37]
	v_add_f64_e32 v[50:51], v[36:37], v[50:51]
	ds_load_b128 v[36:39], v59 offset:176
	ds_load_b128 v[40:43], v58 offset:5632
	s_wait_dscnt 0x0
	v_mul_f64_e32 v[44:45], v[38:39], v[42:43]
	v_mul_f64_e32 v[46:47], v[36:37], v[42:43]
	s_delay_alu instid0(VALU_DEP_2) | instskip(NEXT) | instid1(VALU_DEP_2)
	v_fma_f64 v[44:45], v[36:37], v[40:41], -v[44:45]
	v_fma_f64 v[46:47], v[38:39], v[40:41], v[46:47]
	s_delay_alu instid0(VALU_DEP_2) | instskip(NEXT) | instid1(VALU_DEP_2)
	v_add_f64_e32 v[2:3], v[2:3], v[44:45]
	v_add_f64_e32 v[75:76], v[46:47], v[75:76]
	ds_load_b128 v[44:47], v58 offset:5888
	s_wait_dscnt 0x0
	v_mul_f64_e32 v[77:78], v[38:39], v[46:47]
	s_delay_alu instid0(VALU_DEP_1) | instskip(SKIP_1) | instid1(VALU_DEP_2)
	v_fma_f64 v[77:78], v[36:37], v[44:45], -v[77:78]
	v_mul_f64_e32 v[36:37], v[36:37], v[46:47]
	v_add_f64_e32 v[54:55], v[54:55], v[77:78]
	s_delay_alu instid0(VALU_DEP_2) | instskip(NEXT) | instid1(VALU_DEP_1)
	v_fma_f64 v[36:37], v[38:39], v[44:45], v[36:37]
	v_add_f64_e32 v[52:53], v[36:37], v[52:53]
	ds_load_b128 v[36:39], v59 offset:8368
	s_wait_dscnt 0x0
	v_mul_f64_e32 v[77:78], v[38:39], v[42:43]
	v_mul_f64_e32 v[42:43], v[36:37], v[42:43]
	s_delay_alu instid0(VALU_DEP_2) | instskip(NEXT) | instid1(VALU_DEP_2)
	v_fma_f64 v[77:78], v[36:37], v[40:41], -v[77:78]
	v_fma_f64 v[40:41], v[38:39], v[40:41], v[42:43]
	s_delay_alu instid0(VALU_DEP_2) | instskip(NEXT) | instid1(VALU_DEP_2)
	v_add_f64_e32 v[71:72], v[71:72], v[77:78]
	v_add_f64_e32 v[73:74], v[40:41], v[73:74]
	v_mul_f64_e32 v[40:41], v[38:39], v[46:47]
	s_delay_alu instid0(VALU_DEP_1) | instskip(SKIP_1) | instid1(VALU_DEP_2)
	v_fma_f64 v[40:41], v[36:37], v[44:45], -v[40:41]
	v_mul_f64_e32 v[36:37], v[36:37], v[46:47]
	v_add_f64_e32 v[48:49], v[48:49], v[40:41]
	s_delay_alu instid0(VALU_DEP_2) | instskip(NEXT) | instid1(VALU_DEP_1)
	v_fma_f64 v[36:37], v[38:39], v[44:45], v[36:37]
	v_add_f64_e32 v[50:51], v[36:37], v[50:51]
	ds_load_b128 v[36:39], v59 offset:192
	ds_load_b128 v[40:43], v58 offset:6144
	s_wait_dscnt 0x0
	v_mul_f64_e32 v[44:45], v[38:39], v[42:43]
	v_mul_f64_e32 v[46:47], v[36:37], v[42:43]
	s_delay_alu instid0(VALU_DEP_2) | instskip(NEXT) | instid1(VALU_DEP_2)
	v_fma_f64 v[44:45], v[36:37], v[40:41], -v[44:45]
	v_fma_f64 v[46:47], v[38:39], v[40:41], v[46:47]
	s_delay_alu instid0(VALU_DEP_2) | instskip(NEXT) | instid1(VALU_DEP_2)
	v_add_f64_e32 v[2:3], v[2:3], v[44:45]
	v_add_f64_e32 v[75:76], v[46:47], v[75:76]
	ds_load_b128 v[44:47], v58 offset:6400
	s_wait_dscnt 0x0
	v_mul_f64_e32 v[77:78], v[38:39], v[46:47]
	s_delay_alu instid0(VALU_DEP_1) | instskip(SKIP_1) | instid1(VALU_DEP_2)
	v_fma_f64 v[77:78], v[36:37], v[44:45], -v[77:78]
	v_mul_f64_e32 v[36:37], v[36:37], v[46:47]
	v_add_f64_e32 v[54:55], v[54:55], v[77:78]
	s_delay_alu instid0(VALU_DEP_2) | instskip(NEXT) | instid1(VALU_DEP_1)
	v_fma_f64 v[36:37], v[38:39], v[44:45], v[36:37]
	v_add_f64_e32 v[52:53], v[36:37], v[52:53]
	ds_load_b128 v[36:39], v59 offset:8384
	s_wait_dscnt 0x0
	v_mul_f64_e32 v[77:78], v[38:39], v[42:43]
	v_mul_f64_e32 v[42:43], v[36:37], v[42:43]
	s_delay_alu instid0(VALU_DEP_2) | instskip(NEXT) | instid1(VALU_DEP_2)
	v_fma_f64 v[77:78], v[36:37], v[40:41], -v[77:78]
	v_fma_f64 v[40:41], v[38:39], v[40:41], v[42:43]
	s_delay_alu instid0(VALU_DEP_2) | instskip(NEXT) | instid1(VALU_DEP_2)
	v_add_f64_e32 v[71:72], v[71:72], v[77:78]
	v_add_f64_e32 v[73:74], v[40:41], v[73:74]
	v_mul_f64_e32 v[40:41], v[38:39], v[46:47]
	s_delay_alu instid0(VALU_DEP_1) | instskip(SKIP_1) | instid1(VALU_DEP_2)
	v_fma_f64 v[40:41], v[36:37], v[44:45], -v[40:41]
	v_mul_f64_e32 v[36:37], v[36:37], v[46:47]
	v_add_f64_e32 v[48:49], v[48:49], v[40:41]
	s_delay_alu instid0(VALU_DEP_2) | instskip(NEXT) | instid1(VALU_DEP_1)
	v_fma_f64 v[36:37], v[38:39], v[44:45], v[36:37]
	v_add_f64_e32 v[50:51], v[36:37], v[50:51]
	ds_load_b128 v[36:39], v59 offset:208
	ds_load_b128 v[40:43], v58 offset:6656
	s_wait_dscnt 0x0
	v_mul_f64_e32 v[44:45], v[38:39], v[42:43]
	v_mul_f64_e32 v[46:47], v[36:37], v[42:43]
	s_delay_alu instid0(VALU_DEP_2) | instskip(NEXT) | instid1(VALU_DEP_2)
	v_fma_f64 v[44:45], v[36:37], v[40:41], -v[44:45]
	v_fma_f64 v[46:47], v[38:39], v[40:41], v[46:47]
	s_delay_alu instid0(VALU_DEP_2) | instskip(NEXT) | instid1(VALU_DEP_2)
	v_add_f64_e32 v[2:3], v[2:3], v[44:45]
	v_add_f64_e32 v[75:76], v[46:47], v[75:76]
	ds_load_b128 v[44:47], v58 offset:6912
	s_wait_dscnt 0x0
	v_mul_f64_e32 v[77:78], v[38:39], v[46:47]
	s_delay_alu instid0(VALU_DEP_1) | instskip(SKIP_1) | instid1(VALU_DEP_2)
	v_fma_f64 v[77:78], v[36:37], v[44:45], -v[77:78]
	v_mul_f64_e32 v[36:37], v[36:37], v[46:47]
	v_add_f64_e32 v[54:55], v[54:55], v[77:78]
	s_delay_alu instid0(VALU_DEP_2) | instskip(NEXT) | instid1(VALU_DEP_1)
	v_fma_f64 v[36:37], v[38:39], v[44:45], v[36:37]
	v_add_f64_e32 v[52:53], v[36:37], v[52:53]
	ds_load_b128 v[36:39], v59 offset:8400
	s_wait_dscnt 0x0
	v_mul_f64_e32 v[77:78], v[38:39], v[42:43]
	v_mul_f64_e32 v[42:43], v[36:37], v[42:43]
	s_delay_alu instid0(VALU_DEP_2) | instskip(NEXT) | instid1(VALU_DEP_2)
	v_fma_f64 v[77:78], v[36:37], v[40:41], -v[77:78]
	v_fma_f64 v[40:41], v[38:39], v[40:41], v[42:43]
	s_delay_alu instid0(VALU_DEP_2) | instskip(NEXT) | instid1(VALU_DEP_2)
	v_add_f64_e32 v[71:72], v[71:72], v[77:78]
	v_add_f64_e32 v[73:74], v[40:41], v[73:74]
	v_mul_f64_e32 v[40:41], v[38:39], v[46:47]
	s_delay_alu instid0(VALU_DEP_1) | instskip(SKIP_1) | instid1(VALU_DEP_2)
	v_fma_f64 v[40:41], v[36:37], v[44:45], -v[40:41]
	v_mul_f64_e32 v[36:37], v[36:37], v[46:47]
	v_add_f64_e32 v[48:49], v[48:49], v[40:41]
	s_delay_alu instid0(VALU_DEP_2) | instskip(NEXT) | instid1(VALU_DEP_1)
	v_fma_f64 v[36:37], v[38:39], v[44:45], v[36:37]
	v_add_f64_e32 v[50:51], v[36:37], v[50:51]
	ds_load_b128 v[36:39], v59 offset:224
	ds_load_b128 v[40:43], v58 offset:7168
	s_wait_dscnt 0x0
	v_mul_f64_e32 v[44:45], v[38:39], v[42:43]
	v_mul_f64_e32 v[46:47], v[36:37], v[42:43]
	s_delay_alu instid0(VALU_DEP_2) | instskip(NEXT) | instid1(VALU_DEP_2)
	v_fma_f64 v[44:45], v[36:37], v[40:41], -v[44:45]
	v_fma_f64 v[46:47], v[38:39], v[40:41], v[46:47]
	s_delay_alu instid0(VALU_DEP_2) | instskip(NEXT) | instid1(VALU_DEP_2)
	v_add_f64_e32 v[2:3], v[2:3], v[44:45]
	v_add_f64_e32 v[75:76], v[46:47], v[75:76]
	ds_load_b128 v[44:47], v58 offset:7424
	s_wait_dscnt 0x0
	v_mul_f64_e32 v[77:78], v[38:39], v[46:47]
	s_delay_alu instid0(VALU_DEP_1) | instskip(SKIP_1) | instid1(VALU_DEP_2)
	v_fma_f64 v[77:78], v[36:37], v[44:45], -v[77:78]
	v_mul_f64_e32 v[36:37], v[36:37], v[46:47]
	v_add_f64_e32 v[54:55], v[54:55], v[77:78]
	s_delay_alu instid0(VALU_DEP_2) | instskip(NEXT) | instid1(VALU_DEP_1)
	v_fma_f64 v[36:37], v[38:39], v[44:45], v[36:37]
	v_add_f64_e32 v[52:53], v[36:37], v[52:53]
	ds_load_b128 v[36:39], v59 offset:8416
	s_wait_dscnt 0x0
	v_mul_f64_e32 v[77:78], v[38:39], v[42:43]
	v_mul_f64_e32 v[42:43], v[36:37], v[42:43]
	s_delay_alu instid0(VALU_DEP_2) | instskip(NEXT) | instid1(VALU_DEP_2)
	v_fma_f64 v[77:78], v[36:37], v[40:41], -v[77:78]
	v_fma_f64 v[40:41], v[38:39], v[40:41], v[42:43]
	s_delay_alu instid0(VALU_DEP_2) | instskip(NEXT) | instid1(VALU_DEP_2)
	v_add_f64_e32 v[71:72], v[71:72], v[77:78]
	v_add_f64_e32 v[73:74], v[40:41], v[73:74]
	v_mul_f64_e32 v[40:41], v[38:39], v[46:47]
	s_delay_alu instid0(VALU_DEP_1) | instskip(SKIP_1) | instid1(VALU_DEP_2)
	v_fma_f64 v[40:41], v[36:37], v[44:45], -v[40:41]
	v_mul_f64_e32 v[36:37], v[36:37], v[46:47]
	v_add_f64_e32 v[48:49], v[48:49], v[40:41]
	s_delay_alu instid0(VALU_DEP_2) | instskip(NEXT) | instid1(VALU_DEP_1)
	v_fma_f64 v[36:37], v[38:39], v[44:45], v[36:37]
	v_add_f64_e32 v[50:51], v[36:37], v[50:51]
	ds_load_b128 v[36:39], v59 offset:240
	ds_load_b128 v[40:43], v58 offset:7680
	s_wait_dscnt 0x0
	v_mul_f64_e32 v[44:45], v[38:39], v[42:43]
	v_mul_f64_e32 v[46:47], v[36:37], v[42:43]
	s_delay_alu instid0(VALU_DEP_2) | instskip(NEXT) | instid1(VALU_DEP_2)
	v_fma_f64 v[44:45], v[36:37], v[40:41], -v[44:45]
	v_fma_f64 v[46:47], v[38:39], v[40:41], v[46:47]
	s_delay_alu instid0(VALU_DEP_2) | instskip(NEXT) | instid1(VALU_DEP_2)
	v_add_f64_e32 v[2:3], v[2:3], v[44:45]
	v_add_f64_e32 v[75:76], v[46:47], v[75:76]
	ds_load_b128 v[44:47], v58 offset:7936
	s_wait_dscnt 0x0
	v_mul_f64_e32 v[77:78], v[38:39], v[46:47]
	s_delay_alu instid0(VALU_DEP_1) | instskip(SKIP_1) | instid1(VALU_DEP_2)
	v_fma_f64 v[77:78], v[36:37], v[44:45], -v[77:78]
	v_mul_f64_e32 v[36:37], v[36:37], v[46:47]
	v_add_f64_e32 v[54:55], v[54:55], v[77:78]
	s_delay_alu instid0(VALU_DEP_2) | instskip(NEXT) | instid1(VALU_DEP_1)
	v_fma_f64 v[36:37], v[38:39], v[44:45], v[36:37]
	v_add_f64_e32 v[52:53], v[36:37], v[52:53]
	ds_load_b128 v[36:39], v59 offset:8432
	s_wait_dscnt 0x0
	v_mul_f64_e32 v[77:78], v[38:39], v[42:43]
	v_mul_f64_e32 v[42:43], v[36:37], v[42:43]
	s_delay_alu instid0(VALU_DEP_2) | instskip(NEXT) | instid1(VALU_DEP_2)
	v_fma_f64 v[77:78], v[36:37], v[40:41], -v[77:78]
	v_fma_f64 v[40:41], v[38:39], v[40:41], v[42:43]
	s_delay_alu instid0(VALU_DEP_2) | instskip(NEXT) | instid1(VALU_DEP_2)
	v_add_f64_e32 v[71:72], v[71:72], v[77:78]
	v_add_f64_e32 v[73:74], v[40:41], v[73:74]
	v_mul_f64_e32 v[40:41], v[38:39], v[46:47]
	s_delay_alu instid0(VALU_DEP_1) | instskip(SKIP_1) | instid1(VALU_DEP_2)
	v_fma_f64 v[40:41], v[36:37], v[44:45], -v[40:41]
	v_mul_f64_e32 v[36:37], v[36:37], v[46:47]
	v_add_f64_e32 v[48:49], v[48:49], v[40:41]
	s_delay_alu instid0(VALU_DEP_2) | instskip(NEXT) | instid1(VALU_DEP_1)
	v_fma_f64 v[36:37], v[38:39], v[44:45], v[36:37]
	v_add_f64_e32 v[50:51], v[36:37], v[50:51]
	ds_load_b128 v[36:39], v59 offset:256
	ds_load_b128 v[40:43], v58 offset:8192
	s_wait_dscnt 0x0
	v_mul_f64_e32 v[44:45], v[38:39], v[42:43]
	v_mul_f64_e32 v[46:47], v[36:37], v[42:43]
	s_delay_alu instid0(VALU_DEP_2) | instskip(NEXT) | instid1(VALU_DEP_2)
	v_fma_f64 v[44:45], v[36:37], v[40:41], -v[44:45]
	v_fma_f64 v[46:47], v[38:39], v[40:41], v[46:47]
	s_delay_alu instid0(VALU_DEP_2) | instskip(NEXT) | instid1(VALU_DEP_2)
	v_add_f64_e32 v[2:3], v[2:3], v[44:45]
	v_add_f64_e32 v[75:76], v[46:47], v[75:76]
	ds_load_b128 v[44:47], v58 offset:8448
	s_wait_dscnt 0x0
	v_mul_f64_e32 v[77:78], v[38:39], v[46:47]
	s_delay_alu instid0(VALU_DEP_1) | instskip(SKIP_1) | instid1(VALU_DEP_2)
	v_fma_f64 v[77:78], v[36:37], v[44:45], -v[77:78]
	v_mul_f64_e32 v[36:37], v[36:37], v[46:47]
	v_add_f64_e32 v[54:55], v[54:55], v[77:78]
	s_delay_alu instid0(VALU_DEP_2) | instskip(NEXT) | instid1(VALU_DEP_1)
	v_fma_f64 v[36:37], v[38:39], v[44:45], v[36:37]
	v_add_f64_e32 v[52:53], v[36:37], v[52:53]
	ds_load_b128 v[36:39], v59 offset:8448
	s_wait_dscnt 0x0
	v_mul_f64_e32 v[77:78], v[38:39], v[42:43]
	v_mul_f64_e32 v[42:43], v[36:37], v[42:43]
	s_delay_alu instid0(VALU_DEP_2) | instskip(NEXT) | instid1(VALU_DEP_2)
	v_fma_f64 v[77:78], v[36:37], v[40:41], -v[77:78]
	v_fma_f64 v[40:41], v[38:39], v[40:41], v[42:43]
	s_delay_alu instid0(VALU_DEP_2) | instskip(NEXT) | instid1(VALU_DEP_2)
	v_add_f64_e32 v[71:72], v[71:72], v[77:78]
	v_add_f64_e32 v[73:74], v[40:41], v[73:74]
	v_mul_f64_e32 v[40:41], v[38:39], v[46:47]
	s_delay_alu instid0(VALU_DEP_1) | instskip(SKIP_1) | instid1(VALU_DEP_2)
	v_fma_f64 v[40:41], v[36:37], v[44:45], -v[40:41]
	v_mul_f64_e32 v[36:37], v[36:37], v[46:47]
	v_add_f64_e32 v[48:49], v[48:49], v[40:41]
	s_delay_alu instid0(VALU_DEP_2) | instskip(NEXT) | instid1(VALU_DEP_1)
	v_fma_f64 v[36:37], v[38:39], v[44:45], v[36:37]
	v_add_f64_e32 v[50:51], v[36:37], v[50:51]
	ds_load_b128 v[36:39], v59 offset:272
	ds_load_b128 v[40:43], v58 offset:8704
	s_wait_dscnt 0x0
	v_mul_f64_e32 v[44:45], v[38:39], v[42:43]
	v_mul_f64_e32 v[46:47], v[36:37], v[42:43]
	s_delay_alu instid0(VALU_DEP_2) | instskip(NEXT) | instid1(VALU_DEP_2)
	v_fma_f64 v[44:45], v[36:37], v[40:41], -v[44:45]
	v_fma_f64 v[46:47], v[38:39], v[40:41], v[46:47]
	s_delay_alu instid0(VALU_DEP_2) | instskip(NEXT) | instid1(VALU_DEP_2)
	v_add_f64_e32 v[2:3], v[2:3], v[44:45]
	v_add_f64_e32 v[75:76], v[46:47], v[75:76]
	ds_load_b128 v[44:47], v58 offset:8960
	s_wait_dscnt 0x0
	v_mul_f64_e32 v[77:78], v[38:39], v[46:47]
	s_delay_alu instid0(VALU_DEP_1) | instskip(SKIP_1) | instid1(VALU_DEP_2)
	v_fma_f64 v[77:78], v[36:37], v[44:45], -v[77:78]
	v_mul_f64_e32 v[36:37], v[36:37], v[46:47]
	v_add_f64_e32 v[54:55], v[54:55], v[77:78]
	s_delay_alu instid0(VALU_DEP_2) | instskip(NEXT) | instid1(VALU_DEP_1)
	v_fma_f64 v[36:37], v[38:39], v[44:45], v[36:37]
	v_add_f64_e32 v[52:53], v[36:37], v[52:53]
	ds_load_b128 v[36:39], v59 offset:8464
	s_wait_dscnt 0x0
	v_mul_f64_e32 v[77:78], v[38:39], v[42:43]
	v_mul_f64_e32 v[42:43], v[36:37], v[42:43]
	s_delay_alu instid0(VALU_DEP_2) | instskip(NEXT) | instid1(VALU_DEP_2)
	v_fma_f64 v[77:78], v[36:37], v[40:41], -v[77:78]
	v_fma_f64 v[40:41], v[38:39], v[40:41], v[42:43]
	s_delay_alu instid0(VALU_DEP_2) | instskip(NEXT) | instid1(VALU_DEP_2)
	v_add_f64_e32 v[71:72], v[71:72], v[77:78]
	v_add_f64_e32 v[73:74], v[40:41], v[73:74]
	v_mul_f64_e32 v[40:41], v[38:39], v[46:47]
	s_delay_alu instid0(VALU_DEP_1) | instskip(SKIP_1) | instid1(VALU_DEP_2)
	v_fma_f64 v[40:41], v[36:37], v[44:45], -v[40:41]
	v_mul_f64_e32 v[36:37], v[36:37], v[46:47]
	v_add_f64_e32 v[48:49], v[48:49], v[40:41]
	s_delay_alu instid0(VALU_DEP_2) | instskip(NEXT) | instid1(VALU_DEP_1)
	v_fma_f64 v[36:37], v[38:39], v[44:45], v[36:37]
	v_add_f64_e32 v[50:51], v[36:37], v[50:51]
	ds_load_b128 v[36:39], v59 offset:288
	ds_load_b128 v[40:43], v58 offset:9216
	s_wait_dscnt 0x0
	v_mul_f64_e32 v[44:45], v[38:39], v[42:43]
	v_mul_f64_e32 v[46:47], v[36:37], v[42:43]
	s_delay_alu instid0(VALU_DEP_2) | instskip(NEXT) | instid1(VALU_DEP_2)
	v_fma_f64 v[44:45], v[36:37], v[40:41], -v[44:45]
	v_fma_f64 v[46:47], v[38:39], v[40:41], v[46:47]
	s_delay_alu instid0(VALU_DEP_2) | instskip(NEXT) | instid1(VALU_DEP_2)
	v_add_f64_e32 v[2:3], v[2:3], v[44:45]
	v_add_f64_e32 v[75:76], v[46:47], v[75:76]
	ds_load_b128 v[44:47], v58 offset:9472
	s_wait_dscnt 0x0
	v_mul_f64_e32 v[77:78], v[38:39], v[46:47]
	s_delay_alu instid0(VALU_DEP_1) | instskip(SKIP_1) | instid1(VALU_DEP_2)
	v_fma_f64 v[77:78], v[36:37], v[44:45], -v[77:78]
	v_mul_f64_e32 v[36:37], v[36:37], v[46:47]
	v_add_f64_e32 v[54:55], v[54:55], v[77:78]
	s_delay_alu instid0(VALU_DEP_2) | instskip(NEXT) | instid1(VALU_DEP_1)
	v_fma_f64 v[36:37], v[38:39], v[44:45], v[36:37]
	v_add_f64_e32 v[52:53], v[36:37], v[52:53]
	ds_load_b128 v[36:39], v59 offset:8480
	s_wait_dscnt 0x0
	v_mul_f64_e32 v[77:78], v[38:39], v[42:43]
	v_mul_f64_e32 v[42:43], v[36:37], v[42:43]
	s_delay_alu instid0(VALU_DEP_2) | instskip(NEXT) | instid1(VALU_DEP_2)
	v_fma_f64 v[77:78], v[36:37], v[40:41], -v[77:78]
	v_fma_f64 v[40:41], v[38:39], v[40:41], v[42:43]
	s_delay_alu instid0(VALU_DEP_2) | instskip(NEXT) | instid1(VALU_DEP_2)
	v_add_f64_e32 v[71:72], v[71:72], v[77:78]
	v_add_f64_e32 v[73:74], v[40:41], v[73:74]
	v_mul_f64_e32 v[40:41], v[38:39], v[46:47]
	s_delay_alu instid0(VALU_DEP_1) | instskip(SKIP_1) | instid1(VALU_DEP_2)
	v_fma_f64 v[40:41], v[36:37], v[44:45], -v[40:41]
	v_mul_f64_e32 v[36:37], v[36:37], v[46:47]
	v_add_f64_e32 v[48:49], v[48:49], v[40:41]
	s_delay_alu instid0(VALU_DEP_2) | instskip(NEXT) | instid1(VALU_DEP_1)
	v_fma_f64 v[36:37], v[38:39], v[44:45], v[36:37]
	v_add_f64_e32 v[50:51], v[36:37], v[50:51]
	ds_load_b128 v[36:39], v59 offset:304
	ds_load_b128 v[40:43], v58 offset:9728
	s_wait_dscnt 0x0
	v_mul_f64_e32 v[44:45], v[38:39], v[42:43]
	v_mul_f64_e32 v[46:47], v[36:37], v[42:43]
	s_delay_alu instid0(VALU_DEP_2) | instskip(NEXT) | instid1(VALU_DEP_2)
	v_fma_f64 v[44:45], v[36:37], v[40:41], -v[44:45]
	v_fma_f64 v[46:47], v[38:39], v[40:41], v[46:47]
	s_delay_alu instid0(VALU_DEP_2) | instskip(NEXT) | instid1(VALU_DEP_2)
	v_add_f64_e32 v[2:3], v[2:3], v[44:45]
	v_add_f64_e32 v[75:76], v[46:47], v[75:76]
	ds_load_b128 v[44:47], v58 offset:9984
	s_wait_dscnt 0x0
	v_mul_f64_e32 v[77:78], v[38:39], v[46:47]
	s_delay_alu instid0(VALU_DEP_1) | instskip(SKIP_1) | instid1(VALU_DEP_2)
	v_fma_f64 v[77:78], v[36:37], v[44:45], -v[77:78]
	v_mul_f64_e32 v[36:37], v[36:37], v[46:47]
	v_add_f64_e32 v[54:55], v[54:55], v[77:78]
	s_delay_alu instid0(VALU_DEP_2) | instskip(NEXT) | instid1(VALU_DEP_1)
	v_fma_f64 v[36:37], v[38:39], v[44:45], v[36:37]
	v_add_f64_e32 v[52:53], v[36:37], v[52:53]
	ds_load_b128 v[36:39], v59 offset:8496
	s_wait_dscnt 0x0
	v_mul_f64_e32 v[77:78], v[38:39], v[42:43]
	v_mul_f64_e32 v[42:43], v[36:37], v[42:43]
	s_delay_alu instid0(VALU_DEP_2) | instskip(NEXT) | instid1(VALU_DEP_2)
	v_fma_f64 v[77:78], v[36:37], v[40:41], -v[77:78]
	v_fma_f64 v[40:41], v[38:39], v[40:41], v[42:43]
	s_delay_alu instid0(VALU_DEP_2) | instskip(NEXT) | instid1(VALU_DEP_2)
	v_add_f64_e32 v[71:72], v[71:72], v[77:78]
	v_add_f64_e32 v[73:74], v[40:41], v[73:74]
	v_mul_f64_e32 v[40:41], v[38:39], v[46:47]
	s_delay_alu instid0(VALU_DEP_1) | instskip(SKIP_1) | instid1(VALU_DEP_2)
	v_fma_f64 v[40:41], v[36:37], v[44:45], -v[40:41]
	v_mul_f64_e32 v[36:37], v[36:37], v[46:47]
	v_add_f64_e32 v[48:49], v[48:49], v[40:41]
	s_delay_alu instid0(VALU_DEP_2) | instskip(NEXT) | instid1(VALU_DEP_1)
	v_fma_f64 v[36:37], v[38:39], v[44:45], v[36:37]
	v_add_f64_e32 v[50:51], v[36:37], v[50:51]
	ds_load_b128 v[36:39], v59 offset:320
	ds_load_b128 v[40:43], v58 offset:10240
	s_wait_dscnt 0x0
	v_mul_f64_e32 v[44:45], v[38:39], v[42:43]
	v_mul_f64_e32 v[46:47], v[36:37], v[42:43]
	s_delay_alu instid0(VALU_DEP_2) | instskip(NEXT) | instid1(VALU_DEP_2)
	v_fma_f64 v[44:45], v[36:37], v[40:41], -v[44:45]
	v_fma_f64 v[46:47], v[38:39], v[40:41], v[46:47]
	s_delay_alu instid0(VALU_DEP_2) | instskip(NEXT) | instid1(VALU_DEP_2)
	v_add_f64_e32 v[2:3], v[2:3], v[44:45]
	v_add_f64_e32 v[75:76], v[46:47], v[75:76]
	ds_load_b128 v[44:47], v58 offset:10496
	s_wait_dscnt 0x0
	v_mul_f64_e32 v[77:78], v[38:39], v[46:47]
	s_delay_alu instid0(VALU_DEP_1) | instskip(SKIP_1) | instid1(VALU_DEP_2)
	v_fma_f64 v[77:78], v[36:37], v[44:45], -v[77:78]
	v_mul_f64_e32 v[36:37], v[36:37], v[46:47]
	v_add_f64_e32 v[54:55], v[54:55], v[77:78]
	s_delay_alu instid0(VALU_DEP_2) | instskip(NEXT) | instid1(VALU_DEP_1)
	v_fma_f64 v[36:37], v[38:39], v[44:45], v[36:37]
	v_add_f64_e32 v[52:53], v[36:37], v[52:53]
	ds_load_b128 v[36:39], v59 offset:8512
	s_wait_dscnt 0x0
	v_mul_f64_e32 v[77:78], v[38:39], v[42:43]
	v_mul_f64_e32 v[42:43], v[36:37], v[42:43]
	s_delay_alu instid0(VALU_DEP_2) | instskip(NEXT) | instid1(VALU_DEP_2)
	v_fma_f64 v[77:78], v[36:37], v[40:41], -v[77:78]
	v_fma_f64 v[40:41], v[38:39], v[40:41], v[42:43]
	s_delay_alu instid0(VALU_DEP_2) | instskip(NEXT) | instid1(VALU_DEP_2)
	v_add_f64_e32 v[71:72], v[71:72], v[77:78]
	v_add_f64_e32 v[73:74], v[40:41], v[73:74]
	v_mul_f64_e32 v[40:41], v[38:39], v[46:47]
	s_delay_alu instid0(VALU_DEP_1) | instskip(SKIP_1) | instid1(VALU_DEP_2)
	v_fma_f64 v[40:41], v[36:37], v[44:45], -v[40:41]
	v_mul_f64_e32 v[36:37], v[36:37], v[46:47]
	v_add_f64_e32 v[48:49], v[48:49], v[40:41]
	s_delay_alu instid0(VALU_DEP_2) | instskip(NEXT) | instid1(VALU_DEP_1)
	v_fma_f64 v[36:37], v[38:39], v[44:45], v[36:37]
	v_add_f64_e32 v[50:51], v[36:37], v[50:51]
	ds_load_b128 v[36:39], v59 offset:336
	ds_load_b128 v[40:43], v58 offset:10752
	s_wait_dscnt 0x0
	v_mul_f64_e32 v[44:45], v[38:39], v[42:43]
	v_mul_f64_e32 v[46:47], v[36:37], v[42:43]
	s_delay_alu instid0(VALU_DEP_2) | instskip(NEXT) | instid1(VALU_DEP_2)
	v_fma_f64 v[44:45], v[36:37], v[40:41], -v[44:45]
	v_fma_f64 v[46:47], v[38:39], v[40:41], v[46:47]
	s_delay_alu instid0(VALU_DEP_2) | instskip(NEXT) | instid1(VALU_DEP_2)
	v_add_f64_e32 v[2:3], v[2:3], v[44:45]
	v_add_f64_e32 v[75:76], v[46:47], v[75:76]
	ds_load_b128 v[44:47], v58 offset:11008
	s_wait_dscnt 0x0
	v_mul_f64_e32 v[77:78], v[38:39], v[46:47]
	s_delay_alu instid0(VALU_DEP_1) | instskip(SKIP_1) | instid1(VALU_DEP_2)
	v_fma_f64 v[77:78], v[36:37], v[44:45], -v[77:78]
	v_mul_f64_e32 v[36:37], v[36:37], v[46:47]
	v_add_f64_e32 v[54:55], v[54:55], v[77:78]
	s_delay_alu instid0(VALU_DEP_2) | instskip(NEXT) | instid1(VALU_DEP_1)
	v_fma_f64 v[36:37], v[38:39], v[44:45], v[36:37]
	v_add_f64_e32 v[52:53], v[36:37], v[52:53]
	ds_load_b128 v[36:39], v59 offset:8528
	s_wait_dscnt 0x0
	v_mul_f64_e32 v[77:78], v[38:39], v[42:43]
	v_mul_f64_e32 v[42:43], v[36:37], v[42:43]
	s_delay_alu instid0(VALU_DEP_2) | instskip(NEXT) | instid1(VALU_DEP_2)
	v_fma_f64 v[77:78], v[36:37], v[40:41], -v[77:78]
	v_fma_f64 v[40:41], v[38:39], v[40:41], v[42:43]
	s_delay_alu instid0(VALU_DEP_2) | instskip(NEXT) | instid1(VALU_DEP_2)
	v_add_f64_e32 v[71:72], v[71:72], v[77:78]
	v_add_f64_e32 v[73:74], v[40:41], v[73:74]
	v_mul_f64_e32 v[40:41], v[38:39], v[46:47]
	s_delay_alu instid0(VALU_DEP_1) | instskip(SKIP_1) | instid1(VALU_DEP_2)
	v_fma_f64 v[40:41], v[36:37], v[44:45], -v[40:41]
	v_mul_f64_e32 v[36:37], v[36:37], v[46:47]
	v_add_f64_e32 v[48:49], v[48:49], v[40:41]
	s_delay_alu instid0(VALU_DEP_2) | instskip(NEXT) | instid1(VALU_DEP_1)
	v_fma_f64 v[36:37], v[38:39], v[44:45], v[36:37]
	v_add_f64_e32 v[50:51], v[36:37], v[50:51]
	ds_load_b128 v[36:39], v59 offset:352
	ds_load_b128 v[40:43], v58 offset:11264
	s_wait_dscnt 0x0
	v_mul_f64_e32 v[44:45], v[38:39], v[42:43]
	v_mul_f64_e32 v[46:47], v[36:37], v[42:43]
	s_delay_alu instid0(VALU_DEP_2) | instskip(NEXT) | instid1(VALU_DEP_2)
	v_fma_f64 v[44:45], v[36:37], v[40:41], -v[44:45]
	v_fma_f64 v[46:47], v[38:39], v[40:41], v[46:47]
	s_delay_alu instid0(VALU_DEP_2) | instskip(NEXT) | instid1(VALU_DEP_2)
	v_add_f64_e32 v[2:3], v[2:3], v[44:45]
	v_add_f64_e32 v[75:76], v[46:47], v[75:76]
	ds_load_b128 v[44:47], v58 offset:11520
	s_wait_dscnt 0x0
	v_mul_f64_e32 v[77:78], v[38:39], v[46:47]
	s_delay_alu instid0(VALU_DEP_1) | instskip(SKIP_1) | instid1(VALU_DEP_2)
	v_fma_f64 v[77:78], v[36:37], v[44:45], -v[77:78]
	v_mul_f64_e32 v[36:37], v[36:37], v[46:47]
	v_add_f64_e32 v[54:55], v[54:55], v[77:78]
	s_delay_alu instid0(VALU_DEP_2) | instskip(NEXT) | instid1(VALU_DEP_1)
	v_fma_f64 v[36:37], v[38:39], v[44:45], v[36:37]
	v_add_f64_e32 v[52:53], v[36:37], v[52:53]
	ds_load_b128 v[36:39], v59 offset:8544
	s_wait_dscnt 0x0
	v_mul_f64_e32 v[77:78], v[38:39], v[42:43]
	v_mul_f64_e32 v[42:43], v[36:37], v[42:43]
	s_delay_alu instid0(VALU_DEP_2) | instskip(NEXT) | instid1(VALU_DEP_2)
	v_fma_f64 v[77:78], v[36:37], v[40:41], -v[77:78]
	v_fma_f64 v[40:41], v[38:39], v[40:41], v[42:43]
	s_delay_alu instid0(VALU_DEP_2) | instskip(NEXT) | instid1(VALU_DEP_2)
	v_add_f64_e32 v[71:72], v[71:72], v[77:78]
	v_add_f64_e32 v[73:74], v[40:41], v[73:74]
	v_mul_f64_e32 v[40:41], v[38:39], v[46:47]
	s_delay_alu instid0(VALU_DEP_1) | instskip(SKIP_1) | instid1(VALU_DEP_2)
	v_fma_f64 v[40:41], v[36:37], v[44:45], -v[40:41]
	v_mul_f64_e32 v[36:37], v[36:37], v[46:47]
	v_add_f64_e32 v[48:49], v[48:49], v[40:41]
	s_delay_alu instid0(VALU_DEP_2) | instskip(NEXT) | instid1(VALU_DEP_1)
	v_fma_f64 v[36:37], v[38:39], v[44:45], v[36:37]
	v_add_f64_e32 v[50:51], v[36:37], v[50:51]
	ds_load_b128 v[36:39], v59 offset:368
	ds_load_b128 v[40:43], v58 offset:11776
	s_wait_dscnt 0x0
	v_mul_f64_e32 v[44:45], v[38:39], v[42:43]
	v_mul_f64_e32 v[46:47], v[36:37], v[42:43]
	s_delay_alu instid0(VALU_DEP_2) | instskip(NEXT) | instid1(VALU_DEP_2)
	v_fma_f64 v[44:45], v[36:37], v[40:41], -v[44:45]
	v_fma_f64 v[46:47], v[38:39], v[40:41], v[46:47]
	s_delay_alu instid0(VALU_DEP_2) | instskip(NEXT) | instid1(VALU_DEP_2)
	v_add_f64_e32 v[2:3], v[2:3], v[44:45]
	v_add_f64_e32 v[75:76], v[46:47], v[75:76]
	ds_load_b128 v[44:47], v58 offset:12032
	s_wait_dscnt 0x0
	v_mul_f64_e32 v[77:78], v[38:39], v[46:47]
	s_delay_alu instid0(VALU_DEP_1) | instskip(SKIP_1) | instid1(VALU_DEP_2)
	v_fma_f64 v[77:78], v[36:37], v[44:45], -v[77:78]
	v_mul_f64_e32 v[36:37], v[36:37], v[46:47]
	v_add_f64_e32 v[54:55], v[54:55], v[77:78]
	s_delay_alu instid0(VALU_DEP_2) | instskip(NEXT) | instid1(VALU_DEP_1)
	v_fma_f64 v[36:37], v[38:39], v[44:45], v[36:37]
	v_add_f64_e32 v[52:53], v[36:37], v[52:53]
	ds_load_b128 v[36:39], v59 offset:8560
	s_wait_dscnt 0x0
	v_mul_f64_e32 v[77:78], v[38:39], v[42:43]
	v_mul_f64_e32 v[42:43], v[36:37], v[42:43]
	s_delay_alu instid0(VALU_DEP_2) | instskip(NEXT) | instid1(VALU_DEP_2)
	v_fma_f64 v[77:78], v[36:37], v[40:41], -v[77:78]
	v_fma_f64 v[40:41], v[38:39], v[40:41], v[42:43]
	s_delay_alu instid0(VALU_DEP_2) | instskip(NEXT) | instid1(VALU_DEP_2)
	v_add_f64_e32 v[71:72], v[71:72], v[77:78]
	v_add_f64_e32 v[73:74], v[40:41], v[73:74]
	v_mul_f64_e32 v[40:41], v[38:39], v[46:47]
	s_delay_alu instid0(VALU_DEP_1) | instskip(SKIP_1) | instid1(VALU_DEP_2)
	v_fma_f64 v[40:41], v[36:37], v[44:45], -v[40:41]
	v_mul_f64_e32 v[36:37], v[36:37], v[46:47]
	v_add_f64_e32 v[48:49], v[48:49], v[40:41]
	s_delay_alu instid0(VALU_DEP_2) | instskip(NEXT) | instid1(VALU_DEP_1)
	v_fma_f64 v[36:37], v[38:39], v[44:45], v[36:37]
	v_add_f64_e32 v[50:51], v[36:37], v[50:51]
	ds_load_b128 v[36:39], v59 offset:384
	ds_load_b128 v[40:43], v58 offset:12288
	s_wait_dscnt 0x0
	v_mul_f64_e32 v[44:45], v[38:39], v[42:43]
	v_mul_f64_e32 v[46:47], v[36:37], v[42:43]
	s_delay_alu instid0(VALU_DEP_2) | instskip(NEXT) | instid1(VALU_DEP_2)
	v_fma_f64 v[44:45], v[36:37], v[40:41], -v[44:45]
	v_fma_f64 v[46:47], v[38:39], v[40:41], v[46:47]
	s_delay_alu instid0(VALU_DEP_2) | instskip(NEXT) | instid1(VALU_DEP_2)
	v_add_f64_e32 v[2:3], v[2:3], v[44:45]
	v_add_f64_e32 v[75:76], v[46:47], v[75:76]
	ds_load_b128 v[44:47], v58 offset:12544
	s_wait_dscnt 0x0
	v_mul_f64_e32 v[77:78], v[38:39], v[46:47]
	s_delay_alu instid0(VALU_DEP_1) | instskip(SKIP_1) | instid1(VALU_DEP_2)
	v_fma_f64 v[77:78], v[36:37], v[44:45], -v[77:78]
	v_mul_f64_e32 v[36:37], v[36:37], v[46:47]
	v_add_f64_e32 v[54:55], v[54:55], v[77:78]
	s_delay_alu instid0(VALU_DEP_2) | instskip(NEXT) | instid1(VALU_DEP_1)
	v_fma_f64 v[36:37], v[38:39], v[44:45], v[36:37]
	v_add_f64_e32 v[52:53], v[36:37], v[52:53]
	ds_load_b128 v[36:39], v59 offset:8576
	s_wait_dscnt 0x0
	v_mul_f64_e32 v[77:78], v[38:39], v[42:43]
	v_mul_f64_e32 v[42:43], v[36:37], v[42:43]
	s_delay_alu instid0(VALU_DEP_2) | instskip(NEXT) | instid1(VALU_DEP_2)
	v_fma_f64 v[77:78], v[36:37], v[40:41], -v[77:78]
	v_fma_f64 v[40:41], v[38:39], v[40:41], v[42:43]
	s_delay_alu instid0(VALU_DEP_2) | instskip(NEXT) | instid1(VALU_DEP_2)
	v_add_f64_e32 v[71:72], v[71:72], v[77:78]
	v_add_f64_e32 v[73:74], v[40:41], v[73:74]
	v_mul_f64_e32 v[40:41], v[38:39], v[46:47]
	s_delay_alu instid0(VALU_DEP_1) | instskip(SKIP_1) | instid1(VALU_DEP_2)
	v_fma_f64 v[40:41], v[36:37], v[44:45], -v[40:41]
	v_mul_f64_e32 v[36:37], v[36:37], v[46:47]
	v_add_f64_e32 v[48:49], v[48:49], v[40:41]
	s_delay_alu instid0(VALU_DEP_2) | instskip(NEXT) | instid1(VALU_DEP_1)
	v_fma_f64 v[36:37], v[38:39], v[44:45], v[36:37]
	v_add_f64_e32 v[50:51], v[36:37], v[50:51]
	ds_load_b128 v[36:39], v59 offset:400
	ds_load_b128 v[40:43], v58 offset:12800
	s_wait_dscnt 0x0
	v_mul_f64_e32 v[44:45], v[38:39], v[42:43]
	v_mul_f64_e32 v[46:47], v[36:37], v[42:43]
	s_delay_alu instid0(VALU_DEP_2) | instskip(NEXT) | instid1(VALU_DEP_2)
	v_fma_f64 v[44:45], v[36:37], v[40:41], -v[44:45]
	v_fma_f64 v[46:47], v[38:39], v[40:41], v[46:47]
	s_delay_alu instid0(VALU_DEP_2) | instskip(NEXT) | instid1(VALU_DEP_2)
	v_add_f64_e32 v[2:3], v[2:3], v[44:45]
	v_add_f64_e32 v[75:76], v[46:47], v[75:76]
	ds_load_b128 v[44:47], v58 offset:13056
	s_wait_dscnt 0x0
	v_mul_f64_e32 v[77:78], v[38:39], v[46:47]
	s_delay_alu instid0(VALU_DEP_1) | instskip(SKIP_1) | instid1(VALU_DEP_2)
	v_fma_f64 v[77:78], v[36:37], v[44:45], -v[77:78]
	v_mul_f64_e32 v[36:37], v[36:37], v[46:47]
	v_add_f64_e32 v[54:55], v[54:55], v[77:78]
	s_delay_alu instid0(VALU_DEP_2) | instskip(NEXT) | instid1(VALU_DEP_1)
	v_fma_f64 v[36:37], v[38:39], v[44:45], v[36:37]
	v_add_f64_e32 v[52:53], v[36:37], v[52:53]
	ds_load_b128 v[36:39], v59 offset:8592
	s_wait_dscnt 0x0
	v_mul_f64_e32 v[77:78], v[38:39], v[42:43]
	v_mul_f64_e32 v[42:43], v[36:37], v[42:43]
	s_delay_alu instid0(VALU_DEP_2) | instskip(NEXT) | instid1(VALU_DEP_2)
	v_fma_f64 v[77:78], v[36:37], v[40:41], -v[77:78]
	v_fma_f64 v[40:41], v[38:39], v[40:41], v[42:43]
	s_delay_alu instid0(VALU_DEP_2) | instskip(NEXT) | instid1(VALU_DEP_2)
	v_add_f64_e32 v[71:72], v[71:72], v[77:78]
	v_add_f64_e32 v[73:74], v[40:41], v[73:74]
	v_mul_f64_e32 v[40:41], v[38:39], v[46:47]
	s_delay_alu instid0(VALU_DEP_1) | instskip(SKIP_1) | instid1(VALU_DEP_2)
	v_fma_f64 v[40:41], v[36:37], v[44:45], -v[40:41]
	v_mul_f64_e32 v[36:37], v[36:37], v[46:47]
	v_add_f64_e32 v[48:49], v[48:49], v[40:41]
	s_delay_alu instid0(VALU_DEP_2) | instskip(NEXT) | instid1(VALU_DEP_1)
	v_fma_f64 v[36:37], v[38:39], v[44:45], v[36:37]
	v_add_f64_e32 v[50:51], v[36:37], v[50:51]
	ds_load_b128 v[36:39], v59 offset:416
	ds_load_b128 v[40:43], v58 offset:13312
	s_wait_dscnt 0x0
	v_mul_f64_e32 v[44:45], v[38:39], v[42:43]
	v_mul_f64_e32 v[46:47], v[36:37], v[42:43]
	s_delay_alu instid0(VALU_DEP_2) | instskip(NEXT) | instid1(VALU_DEP_2)
	v_fma_f64 v[44:45], v[36:37], v[40:41], -v[44:45]
	v_fma_f64 v[46:47], v[38:39], v[40:41], v[46:47]
	s_delay_alu instid0(VALU_DEP_2) | instskip(NEXT) | instid1(VALU_DEP_2)
	v_add_f64_e32 v[2:3], v[2:3], v[44:45]
	v_add_f64_e32 v[75:76], v[46:47], v[75:76]
	ds_load_b128 v[44:47], v58 offset:13568
	s_wait_dscnt 0x0
	v_mul_f64_e32 v[77:78], v[38:39], v[46:47]
	s_delay_alu instid0(VALU_DEP_1) | instskip(SKIP_1) | instid1(VALU_DEP_2)
	v_fma_f64 v[77:78], v[36:37], v[44:45], -v[77:78]
	v_mul_f64_e32 v[36:37], v[36:37], v[46:47]
	v_add_f64_e32 v[54:55], v[54:55], v[77:78]
	s_delay_alu instid0(VALU_DEP_2) | instskip(NEXT) | instid1(VALU_DEP_1)
	v_fma_f64 v[36:37], v[38:39], v[44:45], v[36:37]
	v_add_f64_e32 v[52:53], v[36:37], v[52:53]
	ds_load_b128 v[36:39], v59 offset:8608
	s_wait_dscnt 0x0
	v_mul_f64_e32 v[77:78], v[38:39], v[42:43]
	v_mul_f64_e32 v[42:43], v[36:37], v[42:43]
	s_delay_alu instid0(VALU_DEP_2) | instskip(NEXT) | instid1(VALU_DEP_2)
	v_fma_f64 v[77:78], v[36:37], v[40:41], -v[77:78]
	v_fma_f64 v[40:41], v[38:39], v[40:41], v[42:43]
	s_delay_alu instid0(VALU_DEP_2) | instskip(NEXT) | instid1(VALU_DEP_2)
	v_add_f64_e32 v[71:72], v[71:72], v[77:78]
	v_add_f64_e32 v[73:74], v[40:41], v[73:74]
	v_mul_f64_e32 v[40:41], v[38:39], v[46:47]
	s_delay_alu instid0(VALU_DEP_1) | instskip(SKIP_1) | instid1(VALU_DEP_2)
	v_fma_f64 v[40:41], v[36:37], v[44:45], -v[40:41]
	v_mul_f64_e32 v[36:37], v[36:37], v[46:47]
	v_add_f64_e32 v[48:49], v[48:49], v[40:41]
	s_delay_alu instid0(VALU_DEP_2) | instskip(NEXT) | instid1(VALU_DEP_1)
	v_fma_f64 v[36:37], v[38:39], v[44:45], v[36:37]
	v_add_f64_e32 v[50:51], v[36:37], v[50:51]
	ds_load_b128 v[36:39], v59 offset:432
	ds_load_b128 v[40:43], v58 offset:13824
	s_wait_dscnt 0x0
	v_mul_f64_e32 v[44:45], v[38:39], v[42:43]
	v_mul_f64_e32 v[46:47], v[36:37], v[42:43]
	s_delay_alu instid0(VALU_DEP_2) | instskip(NEXT) | instid1(VALU_DEP_2)
	v_fma_f64 v[44:45], v[36:37], v[40:41], -v[44:45]
	v_fma_f64 v[46:47], v[38:39], v[40:41], v[46:47]
	s_delay_alu instid0(VALU_DEP_2) | instskip(NEXT) | instid1(VALU_DEP_2)
	v_add_f64_e32 v[2:3], v[2:3], v[44:45]
	v_add_f64_e32 v[75:76], v[46:47], v[75:76]
	ds_load_b128 v[44:47], v58 offset:14080
	s_wait_dscnt 0x0
	v_mul_f64_e32 v[77:78], v[38:39], v[46:47]
	s_delay_alu instid0(VALU_DEP_1) | instskip(SKIP_1) | instid1(VALU_DEP_2)
	v_fma_f64 v[77:78], v[36:37], v[44:45], -v[77:78]
	v_mul_f64_e32 v[36:37], v[36:37], v[46:47]
	v_add_f64_e32 v[54:55], v[54:55], v[77:78]
	s_delay_alu instid0(VALU_DEP_2) | instskip(NEXT) | instid1(VALU_DEP_1)
	v_fma_f64 v[36:37], v[38:39], v[44:45], v[36:37]
	v_add_f64_e32 v[52:53], v[36:37], v[52:53]
	ds_load_b128 v[36:39], v59 offset:8624
	s_wait_dscnt 0x0
	v_mul_f64_e32 v[77:78], v[38:39], v[42:43]
	v_mul_f64_e32 v[42:43], v[36:37], v[42:43]
	s_delay_alu instid0(VALU_DEP_2) | instskip(NEXT) | instid1(VALU_DEP_2)
	v_fma_f64 v[77:78], v[36:37], v[40:41], -v[77:78]
	v_fma_f64 v[40:41], v[38:39], v[40:41], v[42:43]
	s_delay_alu instid0(VALU_DEP_2) | instskip(NEXT) | instid1(VALU_DEP_2)
	v_add_f64_e32 v[71:72], v[71:72], v[77:78]
	v_add_f64_e32 v[73:74], v[40:41], v[73:74]
	v_mul_f64_e32 v[40:41], v[38:39], v[46:47]
	s_delay_alu instid0(VALU_DEP_1) | instskip(SKIP_1) | instid1(VALU_DEP_2)
	v_fma_f64 v[40:41], v[36:37], v[44:45], -v[40:41]
	v_mul_f64_e32 v[36:37], v[36:37], v[46:47]
	v_add_f64_e32 v[48:49], v[48:49], v[40:41]
	s_delay_alu instid0(VALU_DEP_2) | instskip(NEXT) | instid1(VALU_DEP_1)
	v_fma_f64 v[36:37], v[38:39], v[44:45], v[36:37]
	v_add_f64_e32 v[50:51], v[36:37], v[50:51]
	ds_load_b128 v[36:39], v59 offset:448
	ds_load_b128 v[40:43], v58 offset:14336
	s_wait_dscnt 0x0
	v_mul_f64_e32 v[44:45], v[38:39], v[42:43]
	v_mul_f64_e32 v[46:47], v[36:37], v[42:43]
	s_delay_alu instid0(VALU_DEP_2) | instskip(NEXT) | instid1(VALU_DEP_2)
	v_fma_f64 v[44:45], v[36:37], v[40:41], -v[44:45]
	v_fma_f64 v[46:47], v[38:39], v[40:41], v[46:47]
	s_delay_alu instid0(VALU_DEP_2) | instskip(NEXT) | instid1(VALU_DEP_2)
	v_add_f64_e32 v[2:3], v[2:3], v[44:45]
	v_add_f64_e32 v[75:76], v[46:47], v[75:76]
	ds_load_b128 v[44:47], v58 offset:14592
	s_wait_dscnt 0x0
	v_mul_f64_e32 v[77:78], v[38:39], v[46:47]
	s_delay_alu instid0(VALU_DEP_1) | instskip(SKIP_1) | instid1(VALU_DEP_2)
	v_fma_f64 v[77:78], v[36:37], v[44:45], -v[77:78]
	v_mul_f64_e32 v[36:37], v[36:37], v[46:47]
	v_add_f64_e32 v[54:55], v[54:55], v[77:78]
	s_delay_alu instid0(VALU_DEP_2) | instskip(NEXT) | instid1(VALU_DEP_1)
	v_fma_f64 v[36:37], v[38:39], v[44:45], v[36:37]
	v_add_f64_e32 v[52:53], v[36:37], v[52:53]
	ds_load_b128 v[36:39], v59 offset:8640
	s_wait_dscnt 0x0
	v_mul_f64_e32 v[77:78], v[38:39], v[42:43]
	v_mul_f64_e32 v[42:43], v[36:37], v[42:43]
	s_delay_alu instid0(VALU_DEP_2) | instskip(NEXT) | instid1(VALU_DEP_2)
	v_fma_f64 v[77:78], v[36:37], v[40:41], -v[77:78]
	v_fma_f64 v[40:41], v[38:39], v[40:41], v[42:43]
	s_delay_alu instid0(VALU_DEP_2) | instskip(NEXT) | instid1(VALU_DEP_2)
	v_add_f64_e32 v[71:72], v[71:72], v[77:78]
	v_add_f64_e32 v[73:74], v[40:41], v[73:74]
	v_mul_f64_e32 v[40:41], v[38:39], v[46:47]
	s_delay_alu instid0(VALU_DEP_1) | instskip(SKIP_1) | instid1(VALU_DEP_2)
	v_fma_f64 v[40:41], v[36:37], v[44:45], -v[40:41]
	v_mul_f64_e32 v[36:37], v[36:37], v[46:47]
	v_add_f64_e32 v[48:49], v[48:49], v[40:41]
	s_delay_alu instid0(VALU_DEP_2) | instskip(NEXT) | instid1(VALU_DEP_1)
	v_fma_f64 v[36:37], v[38:39], v[44:45], v[36:37]
	v_add_f64_e32 v[50:51], v[36:37], v[50:51]
	ds_load_b128 v[36:39], v59 offset:464
	ds_load_b128 v[40:43], v58 offset:14848
	s_wait_dscnt 0x0
	v_mul_f64_e32 v[44:45], v[38:39], v[42:43]
	v_mul_f64_e32 v[46:47], v[36:37], v[42:43]
	s_delay_alu instid0(VALU_DEP_2) | instskip(NEXT) | instid1(VALU_DEP_2)
	v_fma_f64 v[44:45], v[36:37], v[40:41], -v[44:45]
	v_fma_f64 v[46:47], v[38:39], v[40:41], v[46:47]
	s_delay_alu instid0(VALU_DEP_2) | instskip(NEXT) | instid1(VALU_DEP_2)
	v_add_f64_e32 v[2:3], v[2:3], v[44:45]
	v_add_f64_e32 v[75:76], v[46:47], v[75:76]
	ds_load_b128 v[44:47], v58 offset:15104
	s_wait_dscnt 0x0
	v_mul_f64_e32 v[77:78], v[38:39], v[46:47]
	s_delay_alu instid0(VALU_DEP_1) | instskip(SKIP_1) | instid1(VALU_DEP_2)
	v_fma_f64 v[77:78], v[36:37], v[44:45], -v[77:78]
	v_mul_f64_e32 v[36:37], v[36:37], v[46:47]
	v_add_f64_e32 v[54:55], v[54:55], v[77:78]
	s_delay_alu instid0(VALU_DEP_2) | instskip(NEXT) | instid1(VALU_DEP_1)
	v_fma_f64 v[36:37], v[38:39], v[44:45], v[36:37]
	v_add_f64_e32 v[52:53], v[36:37], v[52:53]
	ds_load_b128 v[36:39], v59 offset:8656
	s_wait_dscnt 0x0
	v_mul_f64_e32 v[77:78], v[38:39], v[42:43]
	v_mul_f64_e32 v[42:43], v[36:37], v[42:43]
	s_delay_alu instid0(VALU_DEP_2) | instskip(NEXT) | instid1(VALU_DEP_2)
	v_fma_f64 v[77:78], v[36:37], v[40:41], -v[77:78]
	v_fma_f64 v[40:41], v[38:39], v[40:41], v[42:43]
	s_delay_alu instid0(VALU_DEP_2) | instskip(NEXT) | instid1(VALU_DEP_2)
	v_add_f64_e32 v[71:72], v[71:72], v[77:78]
	v_add_f64_e32 v[73:74], v[40:41], v[73:74]
	v_mul_f64_e32 v[40:41], v[38:39], v[46:47]
	s_delay_alu instid0(VALU_DEP_1) | instskip(SKIP_1) | instid1(VALU_DEP_2)
	v_fma_f64 v[40:41], v[36:37], v[44:45], -v[40:41]
	v_mul_f64_e32 v[36:37], v[36:37], v[46:47]
	v_add_f64_e32 v[48:49], v[48:49], v[40:41]
	s_delay_alu instid0(VALU_DEP_2) | instskip(NEXT) | instid1(VALU_DEP_1)
	v_fma_f64 v[36:37], v[38:39], v[44:45], v[36:37]
	v_add_f64_e32 v[50:51], v[36:37], v[50:51]
	ds_load_b128 v[36:39], v59 offset:480
	ds_load_b128 v[40:43], v58 offset:15360
	s_wait_dscnt 0x0
	v_mul_f64_e32 v[44:45], v[38:39], v[42:43]
	v_mul_f64_e32 v[46:47], v[36:37], v[42:43]
	s_delay_alu instid0(VALU_DEP_2) | instskip(NEXT) | instid1(VALU_DEP_2)
	v_fma_f64 v[44:45], v[36:37], v[40:41], -v[44:45]
	v_fma_f64 v[46:47], v[38:39], v[40:41], v[46:47]
	s_delay_alu instid0(VALU_DEP_2) | instskip(NEXT) | instid1(VALU_DEP_2)
	v_add_f64_e32 v[2:3], v[2:3], v[44:45]
	v_add_f64_e32 v[75:76], v[46:47], v[75:76]
	ds_load_b128 v[44:47], v58 offset:15616
	s_wait_dscnt 0x0
	v_mul_f64_e32 v[77:78], v[38:39], v[46:47]
	s_delay_alu instid0(VALU_DEP_1) | instskip(SKIP_1) | instid1(VALU_DEP_2)
	v_fma_f64 v[77:78], v[36:37], v[44:45], -v[77:78]
	v_mul_f64_e32 v[36:37], v[36:37], v[46:47]
	v_add_f64_e32 v[54:55], v[54:55], v[77:78]
	s_delay_alu instid0(VALU_DEP_2) | instskip(NEXT) | instid1(VALU_DEP_1)
	v_fma_f64 v[36:37], v[38:39], v[44:45], v[36:37]
	v_add_f64_e32 v[52:53], v[36:37], v[52:53]
	ds_load_b128 v[36:39], v59 offset:8672
	s_wait_dscnt 0x0
	v_mul_f64_e32 v[77:78], v[38:39], v[42:43]
	v_mul_f64_e32 v[42:43], v[36:37], v[42:43]
	s_delay_alu instid0(VALU_DEP_2) | instskip(NEXT) | instid1(VALU_DEP_2)
	v_fma_f64 v[77:78], v[36:37], v[40:41], -v[77:78]
	v_fma_f64 v[40:41], v[38:39], v[40:41], v[42:43]
	s_delay_alu instid0(VALU_DEP_2) | instskip(NEXT) | instid1(VALU_DEP_2)
	v_add_f64_e32 v[71:72], v[71:72], v[77:78]
	v_add_f64_e32 v[73:74], v[40:41], v[73:74]
	v_mul_f64_e32 v[40:41], v[38:39], v[46:47]
	s_delay_alu instid0(VALU_DEP_1) | instskip(SKIP_1) | instid1(VALU_DEP_2)
	v_fma_f64 v[40:41], v[36:37], v[44:45], -v[40:41]
	v_mul_f64_e32 v[36:37], v[36:37], v[46:47]
	v_add_f64_e32 v[77:78], v[48:49], v[40:41]
	s_delay_alu instid0(VALU_DEP_2) | instskip(NEXT) | instid1(VALU_DEP_1)
	v_fma_f64 v[36:37], v[38:39], v[44:45], v[36:37]
	v_add_f64_e32 v[79:80], v[36:37], v[50:51]
	ds_load_b128 v[36:39], v59 offset:496
	ds_load_b128 v[40:43], v58 offset:15872
	s_wait_dscnt 0x0
	v_mul_f64_e32 v[44:45], v[38:39], v[42:43]
	v_mul_f64_e32 v[46:47], v[36:37], v[42:43]
	s_delay_alu instid0(VALU_DEP_2) | instskip(NEXT) | instid1(VALU_DEP_2)
	v_fma_f64 v[44:45], v[36:37], v[40:41], -v[44:45]
	v_fma_f64 v[46:47], v[38:39], v[40:41], v[46:47]
	s_delay_alu instid0(VALU_DEP_2) | instskip(NEXT) | instid1(VALU_DEP_2)
	v_add_f64_e32 v[48:49], v[2:3], v[44:45]
	v_add_f64_e32 v[50:51], v[46:47], v[75:76]
	ds_load_b128 v[44:47], v58 offset:16128
	s_wait_dscnt 0x0
	v_mul_f64_e32 v[2:3], v[38:39], v[46:47]
	s_delay_alu instid0(VALU_DEP_1) | instskip(SKIP_1) | instid1(VALU_DEP_1)
	v_fma_f64 v[2:3], v[36:37], v[44:45], -v[2:3]
	v_mul_f64_e32 v[36:37], v[36:37], v[46:47]
	v_fma_f64 v[38:39], v[38:39], v[44:45], v[36:37]
	s_delay_alu instid0(VALU_DEP_3) | instskip(NEXT) | instid1(VALU_DEP_2)
	v_add_f64_e32 v[36:37], v[54:55], v[2:3]
	v_add_f64_e32 v[38:39], v[38:39], v[52:53]
	ds_load_b128 v[52:55], v59 offset:8688
	s_wait_loadcnt_dscnt 0x0
	s_barrier_signal -1
	s_barrier_wait -1
	global_inv scope:SCOPE_SE
	v_mul_f64_e32 v[2:3], v[54:55], v[42:43]
	v_mul_f64_e32 v[42:43], v[52:53], v[42:43]
	s_delay_alu instid0(VALU_DEP_2) | instskip(NEXT) | instid1(VALU_DEP_2)
	v_fma_f64 v[2:3], v[52:53], v[40:41], -v[2:3]
	v_fma_f64 v[42:43], v[54:55], v[40:41], v[42:43]
	s_delay_alu instid0(VALU_DEP_2) | instskip(SKIP_2) | instid1(VALU_DEP_4)
	v_add_f64_e32 v[40:41], v[71:72], v[2:3]
	v_mul_f64_e32 v[2:3], v[54:55], v[46:47]
	v_mul_f64_e32 v[46:47], v[52:53], v[46:47]
	v_add_f64_e32 v[42:43], v[42:43], v[73:74]
	s_delay_alu instid0(VALU_DEP_3) | instskip(NEXT) | instid1(VALU_DEP_3)
	v_fma_f64 v[2:3], v[52:53], v[44:45], -v[2:3]
	v_fma_f64 v[44:45], v[54:55], v[44:45], v[46:47]
	s_delay_alu instid0(VALU_DEP_2) | instskip(NEXT) | instid1(VALU_DEP_2)
	v_add_f64_e32 v[46:47], v[77:78], v[2:3]
	v_add_f64_e32 v[44:45], v[44:45], v[79:80]
	s_cbranch_scc1 .LBB115_58
.LBB115_10:                             ;   Parent Loop BB115_4 Depth=1
                                        ;     Parent Loop BB115_7 Depth=2
                                        ; =>    This Inner Loop Header: Depth=3
	s_wait_alu 0xfffe
	v_add_co_u32 v54, s5, v56, s44
	s_wait_alu 0xf1ff
	v_add_co_ci_u32_e64 v55, null, 0, s45, s5
	v_cmp_eq_u64_e64 s7, s[44:45], v[8:9]
	s_delay_alu instid0(VALU_DEP_2)
	v_cmp_le_i64_e64 s6, s[42:43], v[54:55]
	v_cmp_gt_i64_e64 s5, v[54:55], v[4:5]
	s_and_b32 s56, s51, s7
	v_add_co_u32 v52, s7, v26, s36
	s_wait_alu 0xf1ff
	v_add_co_ci_u32_e64 v53, null, s37, v27, s7
	s_or_b32 s8, s6, s5
	s_wait_alu 0xfffe
	s_or_b32 s7, s8, s56
	s_wait_alu 0xfffe
	s_nor_b32 s7, s0, s7
	s_wait_alu 0xfffe
	s_and_saveexec_b32 s8, s7
	s_wait_alu 0xfffe
	s_xor_b32 s7, exec_lo, s8
	s_cbranch_execz .LBB115_12
; %bb.11:                               ;   in Loop: Header=BB115_10 Depth=3
	global_load_b128 v[71:74], v[52:53], off offset:-256
	s_wait_loadcnt 0x0
	ds_store_2addr_b64 v60, v[71:72], v[73:74] offset1:1
.LBB115_12:                             ;   in Loop: Header=BB115_10 Depth=3
	s_wait_alu 0xfffe
	s_or_saveexec_b32 s7, s7
	s_xor_b32 s55, s56, -1
	s_wait_alu 0xfffe
	s_xor_b32 exec_lo, exec_lo, s7
	s_cbranch_execz .LBB115_18
; %bb.13:                               ;   in Loop: Header=BB115_10 Depth=3
	s_and_saveexec_b32 s8, s55
	s_wait_alu 0xfffe
	s_xor_b32 s8, exec_lo, s8
; %bb.14:                               ;   in Loop: Header=BB115_10 Depth=3
	v_dual_mov_b32 v71, v0 :: v_dual_mov_b32 v72, v0
	v_dual_mov_b32 v73, v0 :: v_dual_mov_b32 v74, v0
	ds_store_b128 v60, v[71:74]
; %bb.15:                               ;   in Loop: Header=BB115_10 Depth=3
	s_wait_alu 0xfffe
	s_and_not1_saveexec_b32 s8, s8
; %bb.16:                               ;   in Loop: Header=BB115_10 Depth=3
	v_dual_mov_b32 v2, v0 :: v_dual_mov_b32 v3, v0
	ds_store_b128 v60, v[0:3]
; %bb.17:                               ;   in Loop: Header=BB115_10 Depth=3
	s_wait_alu 0xfffe
	s_or_b32 exec_lo, exec_lo, s8
.LBB115_18:                             ;   in Loop: Header=BB115_10 Depth=3
	s_delay_alu instid0(SALU_CYCLE_1)
	s_or_b32 exec_lo, exec_lo, s7
	v_cmp_eq_u64_e64 s7, s[44:45], v[10:11]
	v_cmp_lt_i64_e64 s8, v[6:7], v[54:55]
	s_and_b32 s7, s51, s7
	s_or_b32 s6, s6, s8
	s_wait_alu 0xfffe
	s_or_b32 s6, s6, s7
	s_wait_alu 0xfffe
	s_nor_b32 s6, s3, s6
	s_wait_alu 0xfffe
	s_and_saveexec_b32 s8, s6
	s_wait_alu 0xfffe
	s_xor_b32 s8, exec_lo, s8
	s_cbranch_execz .LBB115_20
; %bb.19:                               ;   in Loop: Header=BB115_10 Depth=3
	v_add_co_u32 v2, s6, v28, s36
	s_wait_alu 0xf1ff
	v_add_co_ci_u32_e64 v3, null, s37, v29, s6
	global_load_b128 v[71:74], v[2:3], off
	s_wait_loadcnt 0x0
	ds_store_2addr_b64 v62, v[71:72], v[73:74] offset1:1
.LBB115_20:                             ;   in Loop: Header=BB115_10 Depth=3
	s_wait_alu 0xfffe
	s_and_not1_saveexec_b32 s6, s8
	s_cbranch_execz .LBB115_26
; %bb.21:                               ;   in Loop: Header=BB115_10 Depth=3
	s_xor_b32 s7, s7, -1
	s_wait_alu 0xfffe
	s_and_saveexec_b32 s8, s7
	s_wait_alu 0xfffe
	s_xor_b32 s7, exec_lo, s8
; %bb.22:                               ;   in Loop: Header=BB115_10 Depth=3
	v_dual_mov_b32 v71, v0 :: v_dual_mov_b32 v72, v0
	v_dual_mov_b32 v73, v0 :: v_dual_mov_b32 v74, v0
	ds_store_b128 v60, v[71:74] offset:256
; %bb.23:                               ;   in Loop: Header=BB115_10 Depth=3
	s_wait_alu 0xfffe
	s_and_not1_saveexec_b32 s7, s7
; %bb.24:                               ;   in Loop: Header=BB115_10 Depth=3
	v_dual_mov_b32 v2, v0 :: v_dual_mov_b32 v3, v0
	ds_store_b128 v60, v[0:3] offset:256
; %bb.25:                               ;   in Loop: Header=BB115_10 Depth=3
	s_wait_alu 0xfffe
	s_or_b32 exec_lo, exec_lo, s7
.LBB115_26:                             ;   in Loop: Header=BB115_10 Depth=3
	s_wait_alu 0xfffe
	s_or_b32 exec_lo, exec_lo, s6
	v_add_co_u32 v2, s6, v54, 16
	s_wait_alu 0xf1ff
	v_add_co_ci_u32_e64 v3, null, 0, v55, s6
	v_cmp_eq_u64_e64 s7, s[44:45], v[12:13]
	s_delay_alu instid0(VALU_DEP_2)
	v_cmp_le_i64_e64 s6, s[42:43], v[2:3]
	v_cmp_gt_i64_e64 s8, v[2:3], v[4:5]
	s_and_b32 s57, s51, s7
	s_or_b32 s7, s6, s8
	s_wait_alu 0xfffe
	s_or_b32 s7, s7, s57
	s_wait_alu 0xfffe
	s_nor_b32 s7, s0, s7
	s_wait_alu 0xfffe
	s_and_saveexec_b32 s8, s7
	s_wait_alu 0xfffe
	s_xor_b32 s7, exec_lo, s8
	s_cbranch_execz .LBB115_28
; %bb.27:                               ;   in Loop: Header=BB115_10 Depth=3
	global_load_b128 v[52:55], v[52:53], off
	s_wait_loadcnt 0x0
	ds_store_2addr_b64 v63, v[52:53], v[54:55] offset1:1
.LBB115_28:                             ;   in Loop: Header=BB115_10 Depth=3
	s_wait_alu 0xfffe
	s_and_not1_saveexec_b32 s7, s7
	s_cbranch_execz .LBB115_34
; %bb.29:                               ;   in Loop: Header=BB115_10 Depth=3
	s_xor_b32 s8, s57, -1
	s_wait_alu 0xfffe
	s_and_saveexec_b32 s57, s8
	s_delay_alu instid0(SALU_CYCLE_1)
	s_xor_b32 s8, exec_lo, s57
; %bb.30:                               ;   in Loop: Header=BB115_10 Depth=3
	v_dual_mov_b32 v52, v0 :: v_dual_mov_b32 v53, v0
	v_dual_mov_b32 v54, v0 :: v_dual_mov_b32 v55, v0
	ds_store_b128 v60, v[52:55] offset:8192
; %bb.31:                               ;   in Loop: Header=BB115_10 Depth=3
	s_wait_alu 0xfffe
	s_and_not1_saveexec_b32 s8, s8
; %bb.32:                               ;   in Loop: Header=BB115_10 Depth=3
	v_dual_mov_b32 v2, v0 :: v_dual_mov_b32 v3, v0
	ds_store_b128 v60, v[0:3] offset:8192
; %bb.33:                               ;   in Loop: Header=BB115_10 Depth=3
	s_wait_alu 0xfffe
	s_or_b32 exec_lo, exec_lo, s8
.LBB115_34:                             ;   in Loop: Header=BB115_10 Depth=3
	s_wait_alu 0xfffe
	s_or_b32 exec_lo, exec_lo, s7
	s_or_b32 s5, s6, s5
	s_wait_alu 0xfffe
	s_or_b32 s5, s5, s56
	s_wait_alu 0xfffe
	s_nor_b32 s5, s3, s5
	s_wait_alu 0xfffe
	s_and_saveexec_b32 s6, s5
	s_wait_alu 0xfffe
	s_xor_b32 s6, exec_lo, s6
	s_cbranch_execz .LBB115_36
; %bb.35:                               ;   in Loop: Header=BB115_10 Depth=3
	v_add_co_u32 v2, s5, v28, s36
	s_wait_alu 0xf1ff
	v_add_co_ci_u32_e64 v3, null, s37, v29, s5
	global_load_b128 v[52:55], v[2:3], off offset:256
	s_wait_loadcnt 0x0
	ds_store_2addr_b64 v64, v[52:53], v[54:55] offset1:1
.LBB115_36:                             ;   in Loop: Header=BB115_10 Depth=3
	s_wait_alu 0xfffe
	s_and_not1_saveexec_b32 s5, s6
	s_cbranch_execz .LBB115_42
; %bb.37:                               ;   in Loop: Header=BB115_10 Depth=3
	s_and_saveexec_b32 s6, s55
	s_wait_alu 0xfffe
	s_xor_b32 s6, exec_lo, s6
; %bb.38:                               ;   in Loop: Header=BB115_10 Depth=3
	v_dual_mov_b32 v52, v0 :: v_dual_mov_b32 v53, v0
	v_dual_mov_b32 v54, v0 :: v_dual_mov_b32 v55, v0
	ds_store_b128 v60, v[52:55] offset:8448
; %bb.39:                               ;   in Loop: Header=BB115_10 Depth=3
	s_wait_alu 0xfffe
	s_and_not1_saveexec_b32 s6, s6
; %bb.40:                               ;   in Loop: Header=BB115_10 Depth=3
	v_dual_mov_b32 v2, v0 :: v_dual_mov_b32 v3, v0
	ds_store_b128 v60, v[0:3] offset:8448
; %bb.41:                               ;   in Loop: Header=BB115_10 Depth=3
	s_wait_alu 0xfffe
	s_or_b32 exec_lo, exec_lo, s6
.LBB115_42:                             ;   in Loop: Header=BB115_10 Depth=3
	s_wait_alu 0xfffe
	s_or_b32 exec_lo, exec_lo, s5
	v_add_co_u32 v2, s5, v57, s44
	s_wait_alu 0xf1ff
	v_add_co_ci_u32_e64 v3, null, 0, s45, s5
	s_delay_alu instid0(VALU_DEP_1)
	v_cmp_gt_i64_e64 s5, s[42:43], v[2:3]
	s_and_b32 s6, vcc_lo, s5
	s_wait_alu 0xfffe
	s_xor_b32 s6, s6, -1
	s_wait_alu 0xfffe
	s_and_saveexec_b32 s7, s6
	s_wait_alu 0xfffe
	s_xor_b32 s6, exec_lo, s7
; %bb.43:                               ;   in Loop: Header=BB115_10 Depth=3
	v_dual_mov_b32 v52, v0 :: v_dual_mov_b32 v53, v0
	v_dual_mov_b32 v54, v0 :: v_dual_mov_b32 v55, v0
	ds_store_b128 v61, v[52:55]
; %bb.44:                               ;   in Loop: Header=BB115_10 Depth=3
	s_wait_alu 0xfffe
	s_or_saveexec_b32 s7, s6
	v_add_co_u32 v52, s6, v32, s36
	s_wait_alu 0xf1ff
	v_add_co_ci_u32_e64 v53, null, s37, v33, s6
	s_wait_alu 0xfffe
	s_xor_b32 exec_lo, exec_lo, s7
	s_cbranch_execz .LBB115_46
; %bb.45:                               ;   in Loop: Header=BB115_10 Depth=3
	global_load_b128 v[71:74], v[52:53], off offset:-256
	s_wait_loadcnt 0x0
	ds_store_2addr_b64 v61, v[71:72], v[73:74] offset1:1
.LBB115_46:                             ;   in Loop: Header=BB115_10 Depth=3
	s_or_b32 exec_lo, exec_lo, s7
	v_cmp_gt_i64_e64 s6, s[22:23], v[2:3]
	s_and_b32 s7, vcc_lo, s6
	s_wait_alu 0xfffe
	s_xor_b32 s7, s7, -1
	s_wait_alu 0xfffe
	s_and_saveexec_b32 s8, s7
	s_wait_alu 0xfffe
	s_xor_b32 s7, exec_lo, s8
; %bb.47:                               ;   in Loop: Header=BB115_10 Depth=3
	v_dual_mov_b32 v52, v0 :: v_dual_mov_b32 v53, v0
	v_dual_mov_b32 v54, v0 :: v_dual_mov_b32 v55, v0
	ds_store_b128 v61, v[52:55] offset:256
                                        ; implicit-def: $vgpr52_vgpr53
; %bb.48:                               ;   in Loop: Header=BB115_10 Depth=3
	s_wait_alu 0xfffe
	s_and_not1_saveexec_b32 s7, s7
	s_cbranch_execz .LBB115_50
; %bb.49:                               ;   in Loop: Header=BB115_10 Depth=3
	global_load_b128 v[52:55], v[52:53], off
	s_wait_loadcnt 0x0
	ds_store_2addr_b64 v65, v[52:53], v[54:55] offset1:1
.LBB115_50:                             ;   in Loop: Header=BB115_10 Depth=3
	s_wait_alu 0xfffe
	s_or_b32 exec_lo, exec_lo, s7
	s_and_b32 s5, s4, s5
	s_wait_alu 0xfffe
	s_xor_b32 s5, s5, -1
	s_wait_alu 0xfffe
	s_and_saveexec_b32 s7, s5
	s_wait_alu 0xfffe
	s_xor_b32 s5, exec_lo, s7
; %bb.51:                               ;   in Loop: Header=BB115_10 Depth=3
	v_dual_mov_b32 v52, v0 :: v_dual_mov_b32 v53, v0
	v_dual_mov_b32 v54, v0 :: v_dual_mov_b32 v55, v0
	ds_store_b128 v61, v[52:55] offset:8192
; %bb.52:                               ;   in Loop: Header=BB115_10 Depth=3
	s_wait_alu 0xfffe
	s_or_saveexec_b32 s7, s5
	v_add_co_u32 v2, s5, v34, s36
	s_wait_alu 0xf1ff
	v_add_co_ci_u32_e64 v3, null, s37, v35, s5
	s_wait_alu 0xfffe
	s_xor_b32 exec_lo, exec_lo, s7
	s_cbranch_execz .LBB115_54
; %bb.53:                               ;   in Loop: Header=BB115_10 Depth=3
	global_load_b128 v[52:55], v[2:3], off offset:-256
	s_wait_loadcnt 0x0
	ds_store_2addr_b64 v66, v[52:53], v[54:55] offset1:1
.LBB115_54:                             ;   in Loop: Header=BB115_10 Depth=3
	s_or_b32 exec_lo, exec_lo, s7
	s_and_b32 s5, s4, s6
	s_wait_alu 0xfffe
	s_xor_b32 s5, s5, -1
	s_wait_alu 0xfffe
	s_and_saveexec_b32 s6, s5
	s_wait_alu 0xfffe
	s_xor_b32 s5, exec_lo, s6
; %bb.55:                               ;   in Loop: Header=BB115_10 Depth=3
	v_dual_mov_b32 v52, v0 :: v_dual_mov_b32 v53, v0
	v_dual_mov_b32 v54, v0 :: v_dual_mov_b32 v55, v0
                                        ; implicit-def: $vgpr2_vgpr3
	ds_store_b128 v61, v[52:55] offset:8448
; %bb.56:                               ;   in Loop: Header=BB115_10 Depth=3
	s_wait_alu 0xfffe
	s_and_not1_saveexec_b32 s5, s5
	s_cbranch_execz .LBB115_9
; %bb.57:                               ;   in Loop: Header=BB115_10 Depth=3
	global_load_b128 v[52:55], v[2:3], off
	s_wait_loadcnt 0x0
	ds_store_2addr_b64 v67, v[52:53], v[54:55] offset1:1
	s_branch .LBB115_9
.LBB115_58:                             ;   in Loop: Header=BB115_7 Depth=2
	v_mul_lo_u32 v31, s25, v69
	v_mul_lo_u32 v32, s24, v70
	v_mad_co_u64_u32 v[2:3], null, s24, v69, 0
	v_cmp_gt_i32_e32 vcc_lo, s38, v69
	s_delay_alu instid0(VALU_DEP_2) | instskip(NEXT) | instid1(VALU_DEP_1)
	v_add3_u32 v3, v3, v32, v31
	v_lshlrev_b64_e32 v[2:3], 4, v[2:3]
	s_delay_alu instid0(VALU_DEP_1) | instskip(SKIP_1) | instid1(VALU_DEP_2)
	v_add_co_u32 v2, s4, s18, v2
	s_wait_alu 0xf1ff
	v_add_co_ci_u32_e64 v3, null, s19, v3, s4
	s_and_b32 s4, s1, vcc_lo
	s_wait_alu 0xfffe
	s_and_saveexec_b32 s5, s4
	s_cbranch_execz .LBB115_60
; %bb.59:                               ;   in Loop: Header=BB115_7 Depth=2
	v_add_co_u32 v52, s4, v2, v14
	s_wait_alu 0xf1ff
	v_add_co_ci_u32_e64 v53, null, v3, v15, s4
	v_mul_f64_e32 v[54:55], s[30:31], v[50:51]
	v_mul_f64_e32 v[50:51], s[28:29], v[50:51]
	global_load_b128 v[31:34], v[52:53], off
	v_fma_f64 v[54:55], s[28:29], v[48:49], -v[54:55]
	v_fma_f64 v[48:49], s[30:31], v[48:49], v[50:51]
	s_wait_loadcnt 0x0
	s_delay_alu instid0(VALU_DEP_2) | instskip(NEXT) | instid1(VALU_DEP_2)
	v_add_f64_e32 v[31:32], v[31:32], v[54:55]
	v_add_f64_e32 v[33:34], v[48:49], v[33:34]
	global_store_b128 v[52:53], v[31:34], off
.LBB115_60:                             ;   in Loop: Header=BB115_7 Depth=2
	s_wait_alu 0xfffe
	s_or_b32 exec_lo, exec_lo, s5
	s_and_b32 s5, s2, vcc_lo
	s_wait_alu 0xfffe
	s_and_saveexec_b32 s4, s5
	s_cbranch_execz .LBB115_62
; %bb.61:                               ;   in Loop: Header=BB115_7 Depth=2
	v_add_co_u32 v2, vcc_lo, v2, v22
	s_wait_alu 0xfffd
	v_add_co_ci_u32_e64 v3, null, v3, v23, vcc_lo
	v_mul_f64_e32 v[48:49], s[30:31], v[38:39]
	v_mul_f64_e32 v[38:39], s[28:29], v[38:39]
	global_load_b128 v[31:34], v[2:3], off
	v_fma_f64 v[48:49], s[28:29], v[36:37], -v[48:49]
	v_fma_f64 v[35:36], s[30:31], v[36:37], v[38:39]
	s_wait_loadcnt 0x0
	s_delay_alu instid0(VALU_DEP_2) | instskip(NEXT) | instid1(VALU_DEP_2)
	v_add_f64_e32 v[31:32], v[31:32], v[48:49]
	v_add_f64_e32 v[33:34], v[35:36], v[33:34]
	global_store_b128 v[2:3], v[31:34], off
.LBB115_62:                             ;   in Loop: Header=BB115_7 Depth=2
	s_wait_alu 0xfffe
	s_or_b32 exec_lo, exec_lo, s4
	v_add_nc_u32_e32 v31, 16, v69
	s_delay_alu instid0(VALU_DEP_1) | instskip(SKIP_3) | instid1(VALU_DEP_4)
	v_ashrrev_i32_e32 v32, 31, v31
	v_mul_lo_u32 v33, s25, v31
	v_mad_co_u64_u32 v[2:3], null, s24, v31, 0
	v_cmp_gt_i32_e32 vcc_lo, s38, v31
	v_mul_lo_u32 v32, s24, v32
	s_delay_alu instid0(VALU_DEP_1) | instskip(NEXT) | instid1(VALU_DEP_1)
	v_add3_u32 v3, v3, v32, v33
	v_lshlrev_b64_e32 v[2:3], 4, v[2:3]
	s_delay_alu instid0(VALU_DEP_1) | instskip(SKIP_1) | instid1(VALU_DEP_2)
	v_add_co_u32 v2, s4, s18, v2
	s_wait_alu 0xf1ff
	v_add_co_ci_u32_e64 v3, null, s19, v3, s4
	s_and_b32 s4, s1, vcc_lo
	s_wait_alu 0xfffe
	s_and_saveexec_b32 s5, s4
	s_cbranch_execz .LBB115_64
; %bb.63:                               ;   in Loop: Header=BB115_7 Depth=2
	v_add_co_u32 v35, s4, v2, v14
	s_wait_alu 0xf1ff
	v_add_co_ci_u32_e64 v36, null, v3, v15, s4
	v_mul_f64_e32 v[37:38], s[30:31], v[42:43]
	v_mul_f64_e32 v[42:43], s[28:29], v[42:43]
	global_load_b128 v[31:34], v[35:36], off
	v_fma_f64 v[37:38], s[28:29], v[40:41], -v[37:38]
	v_fma_f64 v[39:40], s[30:31], v[40:41], v[42:43]
	s_wait_loadcnt 0x0
	s_delay_alu instid0(VALU_DEP_2) | instskip(NEXT) | instid1(VALU_DEP_2)
	v_add_f64_e32 v[31:32], v[31:32], v[37:38]
	v_add_f64_e32 v[33:34], v[39:40], v[33:34]
	global_store_b128 v[35:36], v[31:34], off
.LBB115_64:                             ;   in Loop: Header=BB115_7 Depth=2
	s_wait_alu 0xfffe
	s_or_b32 exec_lo, exec_lo, s5
	s_and_b32 s5, s2, vcc_lo
	s_wait_alu 0xfffe
	s_and_saveexec_b32 s4, s5
	s_cbranch_execz .LBB115_6
; %bb.65:                               ;   in Loop: Header=BB115_7 Depth=2
	v_add_co_u32 v2, vcc_lo, v2, v22
	s_wait_alu 0xfffd
	v_add_co_ci_u32_e64 v3, null, v3, v23, vcc_lo
	v_mul_f64_e32 v[35:36], s[30:31], v[44:45]
	v_mul_f64_e32 v[37:38], s[28:29], v[44:45]
	global_load_b128 v[31:34], v[2:3], off
	v_fma_f64 v[35:36], s[28:29], v[46:47], -v[35:36]
	v_fma_f64 v[37:38], s[30:31], v[46:47], v[37:38]
	s_wait_loadcnt 0x0
	s_delay_alu instid0(VALU_DEP_2) | instskip(NEXT) | instid1(VALU_DEP_2)
	v_add_f64_e32 v[31:32], v[31:32], v[35:36]
	v_add_f64_e32 v[33:34], v[37:38], v[33:34]
	global_store_b128 v[2:3], v[31:34], off
	s_branch .LBB115_6
.LBB115_66:
	s_endpgm
	.section	.rodata,"a",@progbits
	.p2align	6, 0x0
	.amdhsa_kernel _ZL30rocblas_trmm_outofplace_kernelI19rocblas_complex_numIdELi32ELi2ELb1ELb1ELb1ELb0ES1_KS1_S1_Ev17rocblas_diagonal_iiT6_lPT7_lllS6_lllPT8_llli
		.amdhsa_group_segment_fixed_size 32768
		.amdhsa_private_segment_fixed_size 0
		.amdhsa_kernarg_size 400
		.amdhsa_user_sgpr_count 2
		.amdhsa_user_sgpr_dispatch_ptr 0
		.amdhsa_user_sgpr_queue_ptr 0
		.amdhsa_user_sgpr_kernarg_segment_ptr 1
		.amdhsa_user_sgpr_dispatch_id 0
		.amdhsa_user_sgpr_private_segment_size 0
		.amdhsa_wavefront_size32 1
		.amdhsa_uses_dynamic_stack 0
		.amdhsa_enable_private_segment 0
		.amdhsa_system_sgpr_workgroup_id_x 1
		.amdhsa_system_sgpr_workgroup_id_y 1
		.amdhsa_system_sgpr_workgroup_id_z 1
		.amdhsa_system_sgpr_workgroup_info 0
		.amdhsa_system_vgpr_workitem_id 1
		.amdhsa_next_free_vgpr 91
		.amdhsa_next_free_sgpr 58
		.amdhsa_reserve_vcc 1
		.amdhsa_float_round_mode_32 0
		.amdhsa_float_round_mode_16_64 0
		.amdhsa_float_denorm_mode_32 3
		.amdhsa_float_denorm_mode_16_64 3
		.amdhsa_fp16_overflow 0
		.amdhsa_workgroup_processor_mode 1
		.amdhsa_memory_ordered 1
		.amdhsa_forward_progress 1
		.amdhsa_inst_pref_size 76
		.amdhsa_round_robin_scheduling 0
		.amdhsa_exception_fp_ieee_invalid_op 0
		.amdhsa_exception_fp_denorm_src 0
		.amdhsa_exception_fp_ieee_div_zero 0
		.amdhsa_exception_fp_ieee_overflow 0
		.amdhsa_exception_fp_ieee_underflow 0
		.amdhsa_exception_fp_ieee_inexact 0
		.amdhsa_exception_int_div_zero 0
	.end_amdhsa_kernel
	.section	.text._ZL30rocblas_trmm_outofplace_kernelI19rocblas_complex_numIdELi32ELi2ELb1ELb1ELb1ELb0ES1_KS1_S1_Ev17rocblas_diagonal_iiT6_lPT7_lllS6_lllPT8_llli,"axG",@progbits,_ZL30rocblas_trmm_outofplace_kernelI19rocblas_complex_numIdELi32ELi2ELb1ELb1ELb1ELb0ES1_KS1_S1_Ev17rocblas_diagonal_iiT6_lPT7_lllS6_lllPT8_llli,comdat
.Lfunc_end115:
	.size	_ZL30rocblas_trmm_outofplace_kernelI19rocblas_complex_numIdELi32ELi2ELb1ELb1ELb1ELb0ES1_KS1_S1_Ev17rocblas_diagonal_iiT6_lPT7_lllS6_lllPT8_llli, .Lfunc_end115-_ZL30rocblas_trmm_outofplace_kernelI19rocblas_complex_numIdELi32ELi2ELb1ELb1ELb1ELb0ES1_KS1_S1_Ev17rocblas_diagonal_iiT6_lPT7_lllS6_lllPT8_llli
                                        ; -- End function
	.set _ZL30rocblas_trmm_outofplace_kernelI19rocblas_complex_numIdELi32ELi2ELb1ELb1ELb1ELb0ES1_KS1_S1_Ev17rocblas_diagonal_iiT6_lPT7_lllS6_lllPT8_llli.num_vgpr, 91
	.set _ZL30rocblas_trmm_outofplace_kernelI19rocblas_complex_numIdELi32ELi2ELb1ELb1ELb1ELb0ES1_KS1_S1_Ev17rocblas_diagonal_iiT6_lPT7_lllS6_lllPT8_llli.num_agpr, 0
	.set _ZL30rocblas_trmm_outofplace_kernelI19rocblas_complex_numIdELi32ELi2ELb1ELb1ELb1ELb0ES1_KS1_S1_Ev17rocblas_diagonal_iiT6_lPT7_lllS6_lllPT8_llli.numbered_sgpr, 58
	.set _ZL30rocblas_trmm_outofplace_kernelI19rocblas_complex_numIdELi32ELi2ELb1ELb1ELb1ELb0ES1_KS1_S1_Ev17rocblas_diagonal_iiT6_lPT7_lllS6_lllPT8_llli.num_named_barrier, 0
	.set _ZL30rocblas_trmm_outofplace_kernelI19rocblas_complex_numIdELi32ELi2ELb1ELb1ELb1ELb0ES1_KS1_S1_Ev17rocblas_diagonal_iiT6_lPT7_lllS6_lllPT8_llli.private_seg_size, 0
	.set _ZL30rocblas_trmm_outofplace_kernelI19rocblas_complex_numIdELi32ELi2ELb1ELb1ELb1ELb0ES1_KS1_S1_Ev17rocblas_diagonal_iiT6_lPT7_lllS6_lllPT8_llli.uses_vcc, 1
	.set _ZL30rocblas_trmm_outofplace_kernelI19rocblas_complex_numIdELi32ELi2ELb1ELb1ELb1ELb0ES1_KS1_S1_Ev17rocblas_diagonal_iiT6_lPT7_lllS6_lllPT8_llli.uses_flat_scratch, 0
	.set _ZL30rocblas_trmm_outofplace_kernelI19rocblas_complex_numIdELi32ELi2ELb1ELb1ELb1ELb0ES1_KS1_S1_Ev17rocblas_diagonal_iiT6_lPT7_lllS6_lllPT8_llli.has_dyn_sized_stack, 0
	.set _ZL30rocblas_trmm_outofplace_kernelI19rocblas_complex_numIdELi32ELi2ELb1ELb1ELb1ELb0ES1_KS1_S1_Ev17rocblas_diagonal_iiT6_lPT7_lllS6_lllPT8_llli.has_recursion, 0
	.set _ZL30rocblas_trmm_outofplace_kernelI19rocblas_complex_numIdELi32ELi2ELb1ELb1ELb1ELb0ES1_KS1_S1_Ev17rocblas_diagonal_iiT6_lPT7_lllS6_lllPT8_llli.has_indirect_call, 0
	.section	.AMDGPU.csdata,"",@progbits
; Kernel info:
; codeLenInByte = 9712
; TotalNumSgprs: 60
; NumVgprs: 91
; ScratchSize: 0
; MemoryBound: 0
; FloatMode: 240
; IeeeMode: 1
; LDSByteSize: 32768 bytes/workgroup (compile time only)
; SGPRBlocks: 0
; VGPRBlocks: 11
; NumSGPRsForWavesPerEU: 60
; NumVGPRsForWavesPerEU: 91
; Occupancy: 16
; WaveLimiterHint : 0
; COMPUTE_PGM_RSRC2:SCRATCH_EN: 0
; COMPUTE_PGM_RSRC2:USER_SGPR: 2
; COMPUTE_PGM_RSRC2:TRAP_HANDLER: 0
; COMPUTE_PGM_RSRC2:TGID_X_EN: 1
; COMPUTE_PGM_RSRC2:TGID_Y_EN: 1
; COMPUTE_PGM_RSRC2:TGID_Z_EN: 1
; COMPUTE_PGM_RSRC2:TIDIG_COMP_CNT: 1
	.section	.text._ZL30rocblas_trmm_outofplace_kernelI19rocblas_complex_numIdELi32ELi2ELb1ELb0ELb1ELb1EPKS1_S2_S1_Ev17rocblas_diagonal_iiT6_lPT7_lllS7_lllPT8_llli,"axG",@progbits,_ZL30rocblas_trmm_outofplace_kernelI19rocblas_complex_numIdELi32ELi2ELb1ELb0ELb1ELb1EPKS1_S2_S1_Ev17rocblas_diagonal_iiT6_lPT7_lllS7_lllPT8_llli,comdat
	.globl	_ZL30rocblas_trmm_outofplace_kernelI19rocblas_complex_numIdELi32ELi2ELb1ELb0ELb1ELb1EPKS1_S2_S1_Ev17rocblas_diagonal_iiT6_lPT7_lllS7_lllPT8_llli ; -- Begin function _ZL30rocblas_trmm_outofplace_kernelI19rocblas_complex_numIdELi32ELi2ELb1ELb0ELb1ELb1EPKS1_S2_S1_Ev17rocblas_diagonal_iiT6_lPT7_lllS7_lllPT8_llli
	.p2align	8
	.type	_ZL30rocblas_trmm_outofplace_kernelI19rocblas_complex_numIdELi32ELi2ELb1ELb0ELb1ELb1EPKS1_S2_S1_Ev17rocblas_diagonal_iiT6_lPT7_lllS7_lllPT8_llli,@function
_ZL30rocblas_trmm_outofplace_kernelI19rocblas_complex_numIdELi32ELi2ELb1ELb0ELb1ELb1EPKS1_S2_S1_Ev17rocblas_diagonal_iiT6_lPT7_lllS7_lllPT8_llli: ; @_ZL30rocblas_trmm_outofplace_kernelI19rocblas_complex_numIdELi32ELi2ELb1ELb0ELb1ELb1EPKS1_S2_S1_Ev17rocblas_diagonal_iiT6_lPT7_lllS7_lllPT8_llli
; %bb.0:
	s_load_b32 s11, s[0:1], 0x80
	s_lshr_b32 s34, ttmp7, 16
	s_wait_kmcnt 0x0
	s_cmp_ge_u32 s34, s11
	s_cbranch_scc1 .LBB116_68
; %bb.1:
	s_clause 0x3
	s_load_b96 s[8:10], s[0:1], 0x0
	s_load_b256 s[36:43], s[0:1], 0x50
	s_load_b512 s[12:27], s[0:1], 0x10
	s_load_b128 s[28:31], s[0:1], 0x70
	s_and_b32 s33, ttmp7, 0xffff
	v_bfe_u32 v62, v0, 10, 10
	v_and_b32_e32 v0, 0x3ff, v0
	s_add_nc_u64 s[44:45], s[0:1], 0x88
	s_mov_b32 s35, 0
	s_delay_alu instid0(VALU_DEP_2) | instskip(NEXT) | instid1(VALU_DEP_2)
	v_lshlrev_b32_e32 v1, 9, v62
	v_lshlrev_b32_e32 v63, 4, v0
	v_lshl_add_u32 v70, s33, 5, v62
	s_delay_alu instid0(VALU_DEP_3) | instskip(NEXT) | instid1(VALU_DEP_3)
	v_add_nc_u32_e32 v64, 0x4000, v1
	v_add_nc_u32_e32 v65, v63, v1
	s_delay_alu instid0(VALU_DEP_2)
	v_add_nc_u32_e32 v66, v64, v63
	s_wait_kmcnt 0x0
	s_add_co_i32 s2, s10, -1
	s_lshl_b64 s[0:1], s[42:43], 4
	s_ashr_i32 s3, s2, 31
	s_mov_b32 s42, s9
	s_lshr_b32 s3, s3, 27
	s_add_nc_u64 s[40:41], s[40:41], s[0:1]
	s_add_co_i32 s2, s2, s3
	s_mov_b32 s48, s10
	s_ashr_i32 s49, s2, 5
	s_delay_alu instid0(SALU_CYCLE_1) | instskip(SKIP_2) | instid1(SALU_CYCLE_1)
	s_cmp_le_i32 s33, s49
	s_cselect_b32 s50, -1, 0
	s_lshl_b32 s2, ttmp9, 5
	v_add_nc_u32_e32 v10, s2, v0
	v_add_nc_u32_e32 v8, s2, v62
	s_sub_co_i32 s51, s9, s2
	s_delay_alu instid0(SALU_CYCLE_1) | instskip(NEXT) | instid1(VALU_DEP_2)
	s_cmp_gt_i32 s51, 0
	v_ashrrev_i32_e32 v11, 31, v10
	s_delay_alu instid0(VALU_DEP_2) | instskip(SKIP_2) | instid1(VALU_DEP_4)
	v_ashrrev_i32_e32 v9, 31, v8
	v_add_co_u32 v14, vcc_lo, v10, 16
	v_mul_lo_u32 v3, s21, v10
	v_add_co_ci_u32_e64 v15, null, 0, v11, vcc_lo
	v_sub_co_u32 v16, vcc_lo, v10, v8
	v_mul_lo_u32 v2, s20, v11
	v_mad_co_u64_u32 v[0:1], null, s20, v10, 0
	s_wait_alu 0xfffd
	v_sub_co_ci_u32_e64 v17, null, v11, v9, vcc_lo
	v_lshlrev_b64_e32 v[20:21], 4, v[10:11]
	v_add_co_u32 v18, vcc_lo, v16, 16
	s_cselect_b32 s52, -1, 0
	s_cmp_eq_u32 s8, 0x84
	s_wait_alu 0xfffd
	v_add_co_ci_u32_e64 v19, null, 0, v17, vcc_lo
	v_add_co_u32 v22, vcc_lo, v16, -16
	s_cselect_b32 s53, -1, 0
	s_lshl_b64 s[4:5], s[26:27], 4
	s_wait_alu 0xfffd
	v_add_co_ci_u32_e64 v23, null, -1, v17, vcc_lo
	v_add3_u32 v1, v1, v2, v3
	v_add_co_u32 v2, vcc_lo, 0x100, v20
	s_add_nc_u64 s[4:5], s[24:25], s[4:5]
	s_wait_alu 0xfffd
	v_add_co_ci_u32_e64 v3, null, 0, v21, vcc_lo
	v_add_co_u32 v4, vcc_lo, s4, v20
	s_wait_alu 0xfffd
	v_add_co_ci_u32_e64 v5, null, s5, v21, vcc_lo
	v_lshlrev_b64_e32 v[0:1], 4, v[0:1]
	s_lshl_b64 s[4:5], s[18:19], 4
	v_mul_lo_u32 v6, s20, v3
	v_mul_lo_u32 v7, s21, v2
	s_wait_alu 0xfffe
	v_mad_co_u64_u32 v[2:3], null, s20, v2, s[4:5]
	v_add_co_u32 v24, vcc_lo, 0x100, v4
	s_wait_alu 0xfffd
	v_add_co_ci_u32_e64 v25, null, 0, v5, vcc_lo
	v_lshlrev_b64_e32 v[4:5], 4, v[8:9]
	v_add_co_u32 v0, vcc_lo, v0, s4
	s_wait_alu 0xfffd
	v_add_co_ci_u32_e64 v1, null, s5, v1, vcc_lo
	v_add3_u32 v3, v7, v3, v6
	s_delay_alu instid0(VALU_DEP_3) | instskip(SKIP_1) | instid1(VALU_DEP_3)
	v_add_co_u32 v0, vcc_lo, v0, v4
	s_wait_alu 0xfffd
	v_add_co_ci_u32_e64 v1, null, v1, v5, vcc_lo
	v_add_co_u32 v2, vcc_lo, v2, v4
	v_add_nc_u32_e32 v12, 16, v10
	s_wait_alu 0xfffd
	v_add_co_ci_u32_e64 v3, null, v3, v5, vcc_lo
	v_add_co_u32 v26, vcc_lo, s16, v0
	s_ashr_i32 s43, s9, 31
	s_wait_alu 0xfffd
	v_add_co_ci_u32_e64 v27, null, s17, v1, vcc_lo
	v_add_co_u32 v28, vcc_lo, s16, v2
	v_cmp_le_i64_e64 s3, s[42:43], v[14:15]
	v_cmp_le_i32_e64 s0, s9, v10
	v_cmp_gt_i32_e64 s1, s9, v10
	v_cmp_gt_i32_e64 s2, s9, v12
	v_ashrrev_i32_e32 v13, 31, v12
	s_wait_alu 0xfffd
	v_add_co_ci_u32_e64 v29, null, s17, v3, vcc_lo
	v_dual_mov_b32 v0, 0 :: v_dual_mov_b32 v1, 0x3ff00000
	v_add_nc_u32_e32 v67, 0x100, v66
	v_add_nc_u32_e32 v68, 0x2000, v66
	;; [unrolled: 1-line block ×3, first 2 shown]
	s_ashr_i32 s54, s10, 31
	s_add_nc_u64 s[46:47], s[42:43], -16
	s_lshl_b64 s[16:17], s[38:39], 4
	s_lshl_b64 s[18:19], s[36:37], 4
	;; [unrolled: 1-line block ×3, first 2 shown]
	s_branch .LBB116_4
.LBB116_2:                              ;   in Loop: Header=BB116_4 Depth=1
	s_add_co_i32 s34, s34, 0x10000
	s_wait_alu 0xfffe
	s_cmp_ge_u32 s34, s11
	s_cselect_b32 s4, -1, 0
.LBB116_3:                              ;   in Loop: Header=BB116_4 Depth=1
	s_wait_alu 0xfffe
	s_and_b32 vcc_lo, exec_lo, s4
	s_wait_alu 0xfffe
	s_cbranch_vccnz .LBB116_68
.LBB116_4:                              ; =>This Loop Header: Depth=1
                                        ;     Child Loop BB116_8 Depth 2
                                        ;       Child Loop BB116_11 Depth 3
	s_mul_u64 s[4:5], s[14:15], s[34:35]
	s_wait_alu 0xfffe
	s_lshl_b64 s[4:5], s[4:5], 4
	s_wait_alu 0xfffe
	s_add_nc_u64 s[4:5], s[12:13], s[4:5]
	global_load_b128 v[4:7], v0, s[4:5]
	s_wait_loadcnt 0x0
	v_cmp_eq_f64_e32 vcc_lo, 0, v[4:5]
	v_cmp_eq_f64_e64 s4, 0, v[6:7]
	s_wait_alu 0xfffe
	s_and_b32 s4, vcc_lo, s4
	s_wait_alu 0xfffe
	s_and_b32 vcc_lo, exec_lo, s4
	s_mov_b32 s4, -1
	s_wait_alu 0xfffe
	s_cbranch_vccnz .LBB116_3
; %bb.5:                                ;   in Loop: Header=BB116_4 Depth=1
	s_and_not1_b32 vcc_lo, exec_lo, s50
	s_wait_alu 0xfffe
	s_cbranch_vccnz .LBB116_2
; %bb.6:                                ;   in Loop: Header=BB116_4 Depth=1
	v_mad_co_u64_u32 v[30:31], null, s16, s34, v[24:25]
	s_load_b32 s9, s[44:45], 0x4
	v_mad_co_u64_u32 v[32:33], null, s20, s34, v[26:27]
	s_mul_i32 s6, s21, s34
	v_mad_co_u64_u32 v[34:35], null, s20, s34, v[28:29]
	v_mov_b32_e32 v2, v31
	s_mul_u64 s[4:5], s[30:31], s[34:35]
	s_wait_alu 0xfffe
	v_dual_mov_b32 v36, v70 :: v_dual_add_nc_u32 v33, s6, v33
	s_lshl_b64 s[4:5], s[4:5], 4
	v_mad_co_u64_u32 v[2:3], null, s17, s34, v[2:3]
	s_delay_alu instid0(VALU_DEP_4) | instskip(SKIP_3) | instid1(VALU_DEP_2)
	v_add_nc_u32_e32 v35, s6, v35
	s_wait_alu 0xfffe
	s_add_nc_u64 s[22:23], s[40:41], s[4:5]
	s_mov_b32 s39, s33
	v_mov_b32_e32 v31, v2
	s_wait_kmcnt 0x0
	s_lshl_b32 s38, s9, 5
	s_branch .LBB116_8
.LBB116_7:                              ;   in Loop: Header=BB116_8 Depth=2
	s_wait_alu 0xfffe
	s_or_b32 exec_lo, exec_lo, s4
	v_add_nc_u32_e32 v36, s38, v36
	s_add_co_i32 s39, s9, s39
	s_wait_alu 0xfffe
	s_cmp_gt_i32 s39, s49
	s_cbranch_scc1 .LBB116_2
.LBB116_8:                              ;   Parent Loop BB116_4 Depth=1
                                        ; =>  This Loop Header: Depth=2
                                        ;       Child Loop BB116_11 Depth 3
	s_wait_alu 0xfffe
	v_lshl_add_u32 v71, s39, 5, v62
	s_and_not1_b32 vcc_lo, exec_lo, s52
	s_delay_alu instid0(VALU_DEP_1)
	v_ashrrev_i32_e32 v72, 31, v71
	s_wait_alu 0xfffe
	s_cbranch_vccnz .LBB116_59
; %bb.9:                                ;   in Loop: Header=BB116_8 Depth=2
	v_ashrrev_i32_e32 v37, 31, v36
	v_mad_co_u64_u32 v[38:39], null, s18, v36, v[30:31]
	v_mul_lo_u32 v40, s19, v36
	v_mov_b32_e32 v50, 0
	s_delay_alu instid0(VALU_DEP_4)
	v_lshlrev_b64_e32 v[2:3], 4, v[36:37]
	v_mul_lo_u32 v37, s18, v37
	v_mov_b32_e32 v48, 0
	v_mov_b32_e32 v44, 0
	v_dual_mov_b32 v56, 0 :: v_dual_mov_b32 v51, 0
	v_mov_b32_e32 v52, 0
	v_add_co_u32 v41, vcc_lo, 0x100, v2
	s_wait_alu 0xfffd
	v_add_co_ci_u32_e64 v42, null, 0, v3, vcc_lo
	v_sub_co_u32 v2, vcc_lo, s48, v71
	v_add3_u32 v39, v40, v39, v37
	s_delay_alu instid0(VALU_DEP_3)
	v_mul_lo_u32 v37, s36, v42
	v_mul_lo_u32 v58, s37, v41
	v_mad_co_u64_u32 v[40:41], null, s36, v41, v[30:31]
	s_wait_alu 0xfffd
	v_sub_co_ci_u32_e64 v3, null, s54, v72, vcc_lo
	v_dual_mov_b32 v49, 0 :: v_dual_mov_b32 v46, 0
	v_dual_mov_b32 v45, 0 :: v_dual_mov_b32 v42, 0
	s_delay_alu instid0(VALU_DEP_3)
	v_cmp_lt_i64_e64 s4, 16, v[2:3]
	v_dual_mov_b32 v57, 0 :: v_dual_mov_b32 v54, 0
	v_mov_b32_e32 v53, 0
	v_mov_b32_e32 v47, 0
	;; [unrolled: 1-line block ×4, first 2 shown]
	v_add3_u32 v41, v58, v41, v37
	s_mov_b64 s[24:25], 0
	s_mov_b64 s[26:27], 0
	v_cmp_lt_i64_e32 vcc_lo, 0, v[2:3]
	s_branch .LBB116_11
.LBB116_10:                             ;   in Loop: Header=BB116_11 Depth=3
	s_wait_alu 0xfffe
	s_or_b32 exec_lo, exec_lo, s5
	s_wait_dscnt 0x0
	s_barrier_signal -1
	s_barrier_wait -1
	global_inv scope:SCOPE_SE
	ds_load_b128 v[58:61], v64
	ds_load_b128 v[73:76], v64 offset:16
	ds_load_b128 v[77:80], v64 offset:32
	;; [unrolled: 1-line block ×3, first 2 shown]
	ds_load_b128 v[85:88], v63
	s_add_nc_u64 s[26:27], s[26:27], 32
	s_add_nc_u64 s[24:25], s[24:25], 0x200
	s_wait_alu 0xfffe
	s_cmp_ge_i32 s26, s51
	s_wait_dscnt 0x0
	v_mul_f64_e32 v[2:3], v[60:61], v[87:88]
	v_mul_f64_e32 v[89:90], v[58:59], v[87:88]
	s_delay_alu instid0(VALU_DEP_2) | instskip(NEXT) | instid1(VALU_DEP_2)
	v_fma_f64 v[2:3], v[58:59], v[85:86], -v[2:3]
	v_fma_f64 v[89:90], v[60:61], v[85:86], v[89:90]
	s_delay_alu instid0(VALU_DEP_2) | instskip(NEXT) | instid1(VALU_DEP_2)
	v_add_f64_e32 v[2:3], v[54:55], v[2:3]
	v_add_f64_e32 v[89:90], v[89:90], v[56:57]
	ds_load_b128 v[54:57], v63 offset:256
	s_wait_dscnt 0x0
	v_mul_f64_e32 v[91:92], v[60:61], v[56:57]
	s_delay_alu instid0(VALU_DEP_1) | instskip(SKIP_1) | instid1(VALU_DEP_1)
	v_fma_f64 v[91:92], v[58:59], v[54:55], -v[91:92]
	v_mul_f64_e32 v[58:59], v[58:59], v[56:57]
	v_fma_f64 v[58:59], v[60:61], v[54:55], v[58:59]
	s_delay_alu instid0(VALU_DEP_3) | instskip(NEXT) | instid1(VALU_DEP_2)
	v_add_f64_e32 v[60:61], v[42:43], v[91:92]
	v_add_f64_e32 v[58:59], v[58:59], v[44:45]
	ds_load_b128 v[42:45], v64 offset:8192
	s_wait_dscnt 0x0
	v_mul_f64_e32 v[91:92], v[44:45], v[87:88]
	v_mul_f64_e32 v[87:88], v[42:43], v[87:88]
	s_delay_alu instid0(VALU_DEP_2) | instskip(NEXT) | instid1(VALU_DEP_2)
	v_fma_f64 v[91:92], v[42:43], v[85:86], -v[91:92]
	v_fma_f64 v[85:86], v[44:45], v[85:86], v[87:88]
	s_delay_alu instid0(VALU_DEP_2) | instskip(SKIP_1) | instid1(VALU_DEP_3)
	v_add_f64_e32 v[87:88], v[46:47], v[91:92]
	v_mul_f64_e32 v[46:47], v[44:45], v[56:57]
	v_add_f64_e32 v[85:86], v[85:86], v[48:49]
	s_delay_alu instid0(VALU_DEP_2) | instskip(SKIP_1) | instid1(VALU_DEP_1)
	v_fma_f64 v[46:47], v[42:43], v[54:55], -v[46:47]
	v_mul_f64_e32 v[42:43], v[42:43], v[56:57]
	v_fma_f64 v[42:43], v[44:45], v[54:55], v[42:43]
	s_delay_alu instid0(VALU_DEP_3) | instskip(NEXT) | instid1(VALU_DEP_2)
	v_add_f64_e32 v[54:55], v[52:53], v[46:47]
	v_add_f64_e32 v[56:57], v[42:43], v[50:51]
	ds_load_b128 v[42:45], v63 offset:512
	s_wait_dscnt 0x0
	v_mul_f64_e32 v[46:47], v[75:76], v[44:45]
	v_mul_f64_e32 v[48:49], v[73:74], v[44:45]
	s_delay_alu instid0(VALU_DEP_2) | instskip(NEXT) | instid1(VALU_DEP_2)
	v_fma_f64 v[46:47], v[73:74], v[42:43], -v[46:47]
	v_fma_f64 v[48:49], v[75:76], v[42:43], v[48:49]
	s_delay_alu instid0(VALU_DEP_2) | instskip(NEXT) | instid1(VALU_DEP_2)
	v_add_f64_e32 v[2:3], v[2:3], v[46:47]
	v_add_f64_e32 v[89:90], v[48:49], v[89:90]
	ds_load_b128 v[46:49], v63 offset:768
	s_wait_dscnt 0x0
	v_mul_f64_e32 v[50:51], v[75:76], v[48:49]
	v_mul_f64_e32 v[52:53], v[73:74], v[48:49]
	s_delay_alu instid0(VALU_DEP_2) | instskip(NEXT) | instid1(VALU_DEP_2)
	v_fma_f64 v[50:51], v[73:74], v[46:47], -v[50:51]
	v_fma_f64 v[52:53], v[75:76], v[46:47], v[52:53]
	s_delay_alu instid0(VALU_DEP_2) | instskip(NEXT) | instid1(VALU_DEP_2)
	v_add_f64_e32 v[60:61], v[60:61], v[50:51]
	v_add_f64_e32 v[58:59], v[52:53], v[58:59]
	ds_load_b128 v[50:53], v64 offset:8208
	s_wait_dscnt 0x0
	v_mul_f64_e32 v[73:74], v[52:53], v[44:45]
	v_mul_f64_e32 v[44:45], v[50:51], v[44:45]
	s_delay_alu instid0(VALU_DEP_2) | instskip(NEXT) | instid1(VALU_DEP_2)
	v_fma_f64 v[73:74], v[50:51], v[42:43], -v[73:74]
	v_fma_f64 v[42:43], v[52:53], v[42:43], v[44:45]
	v_mul_f64_e32 v[44:45], v[50:51], v[48:49]
	s_delay_alu instid0(VALU_DEP_3) | instskip(NEXT) | instid1(VALU_DEP_3)
	v_add_f64_e32 v[73:74], v[87:88], v[73:74]
	v_add_f64_e32 v[75:76], v[42:43], v[85:86]
	v_mul_f64_e32 v[42:43], v[52:53], v[48:49]
	s_delay_alu instid0(VALU_DEP_4) | instskip(NEXT) | instid1(VALU_DEP_2)
	v_fma_f64 v[44:45], v[52:53], v[46:47], v[44:45]
	v_fma_f64 v[42:43], v[50:51], v[46:47], -v[42:43]
	s_delay_alu instid0(VALU_DEP_2) | instskip(NEXT) | instid1(VALU_DEP_2)
	v_add_f64_e32 v[56:57], v[44:45], v[56:57]
	v_add_f64_e32 v[54:55], v[54:55], v[42:43]
	ds_load_b128 v[42:45], v63 offset:1024
	s_wait_dscnt 0x0
	v_mul_f64_e32 v[46:47], v[79:80], v[44:45]
	v_mul_f64_e32 v[48:49], v[77:78], v[44:45]
	s_delay_alu instid0(VALU_DEP_2) | instskip(NEXT) | instid1(VALU_DEP_2)
	v_fma_f64 v[46:47], v[77:78], v[42:43], -v[46:47]
	v_fma_f64 v[48:49], v[79:80], v[42:43], v[48:49]
	s_delay_alu instid0(VALU_DEP_2) | instskip(NEXT) | instid1(VALU_DEP_2)
	v_add_f64_e32 v[2:3], v[2:3], v[46:47]
	v_add_f64_e32 v[85:86], v[48:49], v[89:90]
	ds_load_b128 v[46:49], v63 offset:1280
	s_wait_dscnt 0x0
	v_mul_f64_e32 v[50:51], v[79:80], v[48:49]
	v_mul_f64_e32 v[52:53], v[77:78], v[48:49]
	s_delay_alu instid0(VALU_DEP_2) | instskip(NEXT) | instid1(VALU_DEP_2)
	v_fma_f64 v[50:51], v[77:78], v[46:47], -v[50:51]
	v_fma_f64 v[52:53], v[79:80], v[46:47], v[52:53]
	s_delay_alu instid0(VALU_DEP_2) | instskip(NEXT) | instid1(VALU_DEP_2)
	v_add_f64_e32 v[60:61], v[60:61], v[50:51]
	v_add_f64_e32 v[58:59], v[52:53], v[58:59]
	ds_load_b128 v[50:53], v64 offset:8224
	s_wait_dscnt 0x0
	v_mul_f64_e32 v[77:78], v[52:53], v[44:45]
	v_mul_f64_e32 v[44:45], v[50:51], v[44:45]
	s_delay_alu instid0(VALU_DEP_2) | instskip(NEXT) | instid1(VALU_DEP_2)
	v_fma_f64 v[77:78], v[50:51], v[42:43], -v[77:78]
	v_fma_f64 v[42:43], v[52:53], v[42:43], v[44:45]
	v_mul_f64_e32 v[44:45], v[50:51], v[48:49]
	s_delay_alu instid0(VALU_DEP_3) | instskip(NEXT) | instid1(VALU_DEP_3)
	v_add_f64_e32 v[73:74], v[73:74], v[77:78]
	v_add_f64_e32 v[75:76], v[42:43], v[75:76]
	v_mul_f64_e32 v[42:43], v[52:53], v[48:49]
	s_delay_alu instid0(VALU_DEP_4) | instskip(NEXT) | instid1(VALU_DEP_2)
	v_fma_f64 v[44:45], v[52:53], v[46:47], v[44:45]
	v_fma_f64 v[42:43], v[50:51], v[46:47], -v[42:43]
	s_delay_alu instid0(VALU_DEP_2) | instskip(NEXT) | instid1(VALU_DEP_2)
	;; [unrolled: 38-line block ×3, first 2 shown]
	v_add_f64_e32 v[56:57], v[44:45], v[56:57]
	v_add_f64_e32 v[54:55], v[54:55], v[42:43]
	ds_load_b128 v[42:45], v64 offset:64
	ds_load_b128 v[46:49], v63 offset:2048
	s_wait_dscnt 0x0
	v_mul_f64_e32 v[50:51], v[44:45], v[48:49]
	v_mul_f64_e32 v[52:53], v[42:43], v[48:49]
	s_delay_alu instid0(VALU_DEP_2) | instskip(NEXT) | instid1(VALU_DEP_2)
	v_fma_f64 v[50:51], v[42:43], v[46:47], -v[50:51]
	v_fma_f64 v[52:53], v[44:45], v[46:47], v[52:53]
	s_delay_alu instid0(VALU_DEP_2) | instskip(NEXT) | instid1(VALU_DEP_2)
	v_add_f64_e32 v[2:3], v[2:3], v[50:51]
	v_add_f64_e32 v[77:78], v[52:53], v[77:78]
	ds_load_b128 v[50:53], v63 offset:2304
	s_wait_dscnt 0x0
	v_mul_f64_e32 v[79:80], v[44:45], v[52:53]
	s_delay_alu instid0(VALU_DEP_1) | instskip(SKIP_1) | instid1(VALU_DEP_2)
	v_fma_f64 v[79:80], v[42:43], v[50:51], -v[79:80]
	v_mul_f64_e32 v[42:43], v[42:43], v[52:53]
	v_add_f64_e32 v[60:61], v[60:61], v[79:80]
	s_delay_alu instid0(VALU_DEP_2) | instskip(NEXT) | instid1(VALU_DEP_1)
	v_fma_f64 v[42:43], v[44:45], v[50:51], v[42:43]
	v_add_f64_e32 v[58:59], v[42:43], v[58:59]
	ds_load_b128 v[42:45], v64 offset:8256
	s_wait_dscnt 0x0
	v_mul_f64_e32 v[79:80], v[44:45], v[48:49]
	v_mul_f64_e32 v[48:49], v[42:43], v[48:49]
	s_delay_alu instid0(VALU_DEP_2) | instskip(NEXT) | instid1(VALU_DEP_2)
	v_fma_f64 v[79:80], v[42:43], v[46:47], -v[79:80]
	v_fma_f64 v[46:47], v[44:45], v[46:47], v[48:49]
	s_delay_alu instid0(VALU_DEP_2) | instskip(NEXT) | instid1(VALU_DEP_2)
	v_add_f64_e32 v[73:74], v[73:74], v[79:80]
	v_add_f64_e32 v[75:76], v[46:47], v[75:76]
	v_mul_f64_e32 v[46:47], v[44:45], v[52:53]
	s_delay_alu instid0(VALU_DEP_1) | instskip(SKIP_1) | instid1(VALU_DEP_2)
	v_fma_f64 v[46:47], v[42:43], v[50:51], -v[46:47]
	v_mul_f64_e32 v[42:43], v[42:43], v[52:53]
	v_add_f64_e32 v[54:55], v[54:55], v[46:47]
	s_delay_alu instid0(VALU_DEP_2) | instskip(NEXT) | instid1(VALU_DEP_1)
	v_fma_f64 v[42:43], v[44:45], v[50:51], v[42:43]
	v_add_f64_e32 v[56:57], v[42:43], v[56:57]
	ds_load_b128 v[42:45], v64 offset:80
	ds_load_b128 v[46:49], v63 offset:2560
	s_wait_dscnt 0x0
	v_mul_f64_e32 v[50:51], v[44:45], v[48:49]
	v_mul_f64_e32 v[52:53], v[42:43], v[48:49]
	s_delay_alu instid0(VALU_DEP_2) | instskip(NEXT) | instid1(VALU_DEP_2)
	v_fma_f64 v[50:51], v[42:43], v[46:47], -v[50:51]
	v_fma_f64 v[52:53], v[44:45], v[46:47], v[52:53]
	s_delay_alu instid0(VALU_DEP_2) | instskip(NEXT) | instid1(VALU_DEP_2)
	v_add_f64_e32 v[2:3], v[2:3], v[50:51]
	v_add_f64_e32 v[77:78], v[52:53], v[77:78]
	ds_load_b128 v[50:53], v63 offset:2816
	s_wait_dscnt 0x0
	v_mul_f64_e32 v[79:80], v[44:45], v[52:53]
	s_delay_alu instid0(VALU_DEP_1) | instskip(SKIP_1) | instid1(VALU_DEP_2)
	v_fma_f64 v[79:80], v[42:43], v[50:51], -v[79:80]
	v_mul_f64_e32 v[42:43], v[42:43], v[52:53]
	v_add_f64_e32 v[60:61], v[60:61], v[79:80]
	s_delay_alu instid0(VALU_DEP_2) | instskip(NEXT) | instid1(VALU_DEP_1)
	v_fma_f64 v[42:43], v[44:45], v[50:51], v[42:43]
	v_add_f64_e32 v[58:59], v[42:43], v[58:59]
	ds_load_b128 v[42:45], v64 offset:8272
	s_wait_dscnt 0x0
	v_mul_f64_e32 v[79:80], v[44:45], v[48:49]
	v_mul_f64_e32 v[48:49], v[42:43], v[48:49]
	s_delay_alu instid0(VALU_DEP_2) | instskip(NEXT) | instid1(VALU_DEP_2)
	v_fma_f64 v[79:80], v[42:43], v[46:47], -v[79:80]
	v_fma_f64 v[46:47], v[44:45], v[46:47], v[48:49]
	s_delay_alu instid0(VALU_DEP_2) | instskip(NEXT) | instid1(VALU_DEP_2)
	v_add_f64_e32 v[73:74], v[73:74], v[79:80]
	v_add_f64_e32 v[75:76], v[46:47], v[75:76]
	v_mul_f64_e32 v[46:47], v[44:45], v[52:53]
	s_delay_alu instid0(VALU_DEP_1) | instskip(SKIP_1) | instid1(VALU_DEP_2)
	v_fma_f64 v[46:47], v[42:43], v[50:51], -v[46:47]
	v_mul_f64_e32 v[42:43], v[42:43], v[52:53]
	v_add_f64_e32 v[54:55], v[54:55], v[46:47]
	s_delay_alu instid0(VALU_DEP_2) | instskip(NEXT) | instid1(VALU_DEP_1)
	v_fma_f64 v[42:43], v[44:45], v[50:51], v[42:43]
	;; [unrolled: 39-line block ×27, first 2 shown]
	v_add_f64_e32 v[81:82], v[42:43], v[56:57]
	ds_load_b128 v[42:45], v64 offset:496
	ds_load_b128 v[46:49], v63 offset:15872
	s_wait_dscnt 0x0
	v_mul_f64_e32 v[50:51], v[44:45], v[48:49]
	v_mul_f64_e32 v[52:53], v[42:43], v[48:49]
	s_delay_alu instid0(VALU_DEP_2) | instskip(NEXT) | instid1(VALU_DEP_2)
	v_fma_f64 v[50:51], v[42:43], v[46:47], -v[50:51]
	v_fma_f64 v[52:53], v[44:45], v[46:47], v[52:53]
	s_delay_alu instid0(VALU_DEP_2) | instskip(NEXT) | instid1(VALU_DEP_2)
	v_add_f64_e32 v[54:55], v[2:3], v[50:51]
	v_add_f64_e32 v[56:57], v[52:53], v[77:78]
	ds_load_b128 v[50:53], v63 offset:16128
	s_wait_dscnt 0x0
	v_mul_f64_e32 v[2:3], v[44:45], v[52:53]
	s_delay_alu instid0(VALU_DEP_1) | instskip(SKIP_1) | instid1(VALU_DEP_1)
	v_fma_f64 v[2:3], v[42:43], v[50:51], -v[2:3]
	v_mul_f64_e32 v[42:43], v[42:43], v[52:53]
	v_fma_f64 v[44:45], v[44:45], v[50:51], v[42:43]
	s_delay_alu instid0(VALU_DEP_3) | instskip(NEXT) | instid1(VALU_DEP_2)
	v_add_f64_e32 v[42:43], v[60:61], v[2:3]
	v_add_f64_e32 v[44:45], v[44:45], v[58:59]
	ds_load_b128 v[58:61], v64 offset:8688
	s_wait_loadcnt_dscnt 0x0
	s_barrier_signal -1
	s_barrier_wait -1
	global_inv scope:SCOPE_SE
	v_mul_f64_e32 v[2:3], v[60:61], v[48:49]
	v_mul_f64_e32 v[48:49], v[58:59], v[48:49]
	s_delay_alu instid0(VALU_DEP_2) | instskip(NEXT) | instid1(VALU_DEP_2)
	v_fma_f64 v[2:3], v[58:59], v[46:47], -v[2:3]
	v_fma_f64 v[48:49], v[60:61], v[46:47], v[48:49]
	s_delay_alu instid0(VALU_DEP_2) | instskip(SKIP_2) | instid1(VALU_DEP_4)
	v_add_f64_e32 v[46:47], v[73:74], v[2:3]
	v_mul_f64_e32 v[2:3], v[60:61], v[52:53]
	v_mul_f64_e32 v[52:53], v[58:59], v[52:53]
	v_add_f64_e32 v[48:49], v[48:49], v[75:76]
	s_delay_alu instid0(VALU_DEP_3) | instskip(NEXT) | instid1(VALU_DEP_3)
	v_fma_f64 v[2:3], v[58:59], v[50:51], -v[2:3]
	v_fma_f64 v[50:51], v[60:61], v[50:51], v[52:53]
	s_delay_alu instid0(VALU_DEP_2) | instskip(NEXT) | instid1(VALU_DEP_2)
	v_add_f64_e32 v[52:53], v[79:80], v[2:3]
	v_add_f64_e32 v[50:51], v[50:51], v[81:82]
	s_cbranch_scc1 .LBB116_60
.LBB116_11:                             ;   Parent Loop BB116_4 Depth=1
                                        ;     Parent Loop BB116_8 Depth=2
                                        ; =>    This Inner Loop Header: Depth=3
	s_wait_alu 0xfffe
	v_add_co_u32 v60, s5, v8, s26
	s_wait_alu 0xf1ff
	v_add_co_ci_u32_e64 v61, null, s27, v9, s5
	v_cmp_eq_u64_e64 s7, s[26:27], v[16:17]
	s_delay_alu instid0(VALU_DEP_2)
	v_cmp_le_i64_e64 s6, s[42:43], v[60:61]
	v_cmp_lt_i64_e64 s5, v[60:61], v[10:11]
	s_and_b32 s56, s53, s7
	v_add_co_u32 v58, s7, v32, s24
	s_wait_alu 0xf1ff
	v_add_co_ci_u32_e64 v59, null, s25, v33, s7
	s_or_b32 s8, s6, s5
	s_wait_alu 0xfffe
	s_or_b32 s7, s8, s56
	s_wait_alu 0xfffe
	s_nor_b32 s7, s0, s7
	s_wait_alu 0xfffe
	s_and_saveexec_b32 s8, s7
	s_wait_alu 0xfffe
	s_xor_b32 s7, exec_lo, s8
	s_cbranch_execz .LBB116_13
; %bb.12:                               ;   in Loop: Header=BB116_11 Depth=3
	global_load_b128 v[73:76], v[58:59], off
	s_wait_loadcnt 0x0
	v_xor_b32_e32 v76, 0x80000000, v76
	ds_store_b128 v65, v[73:76]
.LBB116_13:                             ;   in Loop: Header=BB116_11 Depth=3
	s_wait_alu 0xfffe
	s_or_saveexec_b32 s7, s7
	s_xor_b32 s55, s56, -1
	s_wait_alu 0xfffe
	s_xor_b32 exec_lo, exec_lo, s7
	s_cbranch_execz .LBB116_19
; %bb.14:                               ;   in Loop: Header=BB116_11 Depth=3
	s_and_saveexec_b32 s8, s55
	s_wait_alu 0xfffe
	s_xor_b32 s8, exec_lo, s8
; %bb.15:                               ;   in Loop: Header=BB116_11 Depth=3
	v_dual_mov_b32 v73, v0 :: v_dual_mov_b32 v74, v0
	v_dual_mov_b32 v75, v0 :: v_dual_mov_b32 v76, v0
	ds_store_b128 v65, v[73:76]
; %bb.16:                               ;   in Loop: Header=BB116_11 Depth=3
	s_wait_alu 0xfffe
	s_and_not1_saveexec_b32 s8, s8
; %bb.17:                               ;   in Loop: Header=BB116_11 Depth=3
	v_dual_mov_b32 v2, v0 :: v_dual_mov_b32 v3, v0
	ds_store_b128 v65, v[0:3]
; %bb.18:                               ;   in Loop: Header=BB116_11 Depth=3
	s_wait_alu 0xfffe
	s_or_b32 exec_lo, exec_lo, s8
.LBB116_19:                             ;   in Loop: Header=BB116_11 Depth=3
	s_delay_alu instid0(SALU_CYCLE_1)
	s_or_b32 exec_lo, exec_lo, s7
	v_cmp_eq_u64_e64 s7, s[26:27], v[18:19]
	v_cmp_gt_i64_e64 s8, v[14:15], v[60:61]
	s_and_b32 s7, s53, s7
	s_or_b32 s6, s6, s8
	s_wait_alu 0xfffe
	s_or_b32 s6, s6, s7
	s_wait_alu 0xfffe
	s_nor_b32 s6, s3, s6
	s_wait_alu 0xfffe
	s_and_saveexec_b32 s8, s6
	s_wait_alu 0xfffe
	s_xor_b32 s8, exec_lo, s8
	s_cbranch_execz .LBB116_21
; %bb.20:                               ;   in Loop: Header=BB116_11 Depth=3
	v_add_co_u32 v2, s6, v34, s24
	s_wait_alu 0xf1ff
	v_add_co_ci_u32_e64 v3, null, s25, v35, s6
	global_load_b128 v[73:76], v[2:3], off
	s_wait_loadcnt 0x0
	v_xor_b32_e32 v76, 0x80000000, v76
	ds_store_b128 v65, v[73:76] offset:256
.LBB116_21:                             ;   in Loop: Header=BB116_11 Depth=3
	s_wait_alu 0xfffe
	s_and_not1_saveexec_b32 s6, s8
	s_cbranch_execz .LBB116_27
; %bb.22:                               ;   in Loop: Header=BB116_11 Depth=3
	s_xor_b32 s7, s7, -1
	s_wait_alu 0xfffe
	s_and_saveexec_b32 s8, s7
	s_wait_alu 0xfffe
	s_xor_b32 s7, exec_lo, s8
; %bb.23:                               ;   in Loop: Header=BB116_11 Depth=3
	v_dual_mov_b32 v73, v0 :: v_dual_mov_b32 v74, v0
	v_dual_mov_b32 v75, v0 :: v_dual_mov_b32 v76, v0
	ds_store_b128 v65, v[73:76] offset:256
; %bb.24:                               ;   in Loop: Header=BB116_11 Depth=3
	s_wait_alu 0xfffe
	s_and_not1_saveexec_b32 s7, s7
; %bb.25:                               ;   in Loop: Header=BB116_11 Depth=3
	v_dual_mov_b32 v2, v0 :: v_dual_mov_b32 v3, v0
	ds_store_b128 v65, v[0:3] offset:256
; %bb.26:                               ;   in Loop: Header=BB116_11 Depth=3
	s_wait_alu 0xfffe
	s_or_b32 exec_lo, exec_lo, s7
.LBB116_27:                             ;   in Loop: Header=BB116_11 Depth=3
	s_wait_alu 0xfffe
	s_or_b32 exec_lo, exec_lo, s6
	v_add_co_u32 v2, s6, v60, 16
	s_wait_alu 0xf1ff
	v_add_co_ci_u32_e64 v3, null, 0, v61, s6
	v_cmp_eq_u64_e64 s7, s[26:27], v[22:23]
	s_delay_alu instid0(VALU_DEP_2)
	v_cmp_le_i64_e64 s6, s[42:43], v[2:3]
	v_cmp_lt_i64_e64 s8, v[2:3], v[10:11]
	s_and_b32 s57, s53, s7
	s_or_b32 s7, s6, s8
	s_wait_alu 0xfffe
	s_or_b32 s7, s7, s57
	s_wait_alu 0xfffe
	s_nor_b32 s7, s0, s7
	s_wait_alu 0xfffe
	s_and_saveexec_b32 s8, s7
	s_wait_alu 0xfffe
	s_xor_b32 s7, exec_lo, s8
	s_cbranch_execz .LBB116_29
; %bb.28:                               ;   in Loop: Header=BB116_11 Depth=3
	global_load_b128 v[58:61], v[58:59], off offset:256
	s_wait_loadcnt 0x0
	v_xor_b32_e32 v61, 0x80000000, v61
	ds_store_b128 v65, v[58:61] offset:8192
.LBB116_29:                             ;   in Loop: Header=BB116_11 Depth=3
	s_wait_alu 0xfffe
	s_and_not1_saveexec_b32 s7, s7
	s_cbranch_execz .LBB116_35
; %bb.30:                               ;   in Loop: Header=BB116_11 Depth=3
	s_xor_b32 s8, s57, -1
	s_wait_alu 0xfffe
	s_and_saveexec_b32 s57, s8
	s_delay_alu instid0(SALU_CYCLE_1)
	s_xor_b32 s8, exec_lo, s57
; %bb.31:                               ;   in Loop: Header=BB116_11 Depth=3
	v_dual_mov_b32 v58, v0 :: v_dual_mov_b32 v59, v0
	v_dual_mov_b32 v60, v0 :: v_dual_mov_b32 v61, v0
	ds_store_b128 v65, v[58:61] offset:8192
; %bb.32:                               ;   in Loop: Header=BB116_11 Depth=3
	s_wait_alu 0xfffe
	s_and_not1_saveexec_b32 s8, s8
; %bb.33:                               ;   in Loop: Header=BB116_11 Depth=3
	v_dual_mov_b32 v2, v0 :: v_dual_mov_b32 v3, v0
	ds_store_b128 v65, v[0:3] offset:8192
; %bb.34:                               ;   in Loop: Header=BB116_11 Depth=3
	s_wait_alu 0xfffe
	s_or_b32 exec_lo, exec_lo, s8
.LBB116_35:                             ;   in Loop: Header=BB116_11 Depth=3
	s_wait_alu 0xfffe
	s_or_b32 exec_lo, exec_lo, s7
	s_or_b32 s5, s6, s5
	s_wait_alu 0xfffe
	s_or_b32 s5, s5, s56
	s_wait_alu 0xfffe
	s_nor_b32 s5, s3, s5
	s_wait_alu 0xfffe
	s_and_saveexec_b32 s6, s5
	s_wait_alu 0xfffe
	s_xor_b32 s6, exec_lo, s6
	s_cbranch_execz .LBB116_37
; %bb.36:                               ;   in Loop: Header=BB116_11 Depth=3
	v_add_co_u32 v2, s5, v34, s24
	s_wait_alu 0xf1ff
	v_add_co_ci_u32_e64 v3, null, s25, v35, s5
	global_load_b128 v[58:61], v[2:3], off offset:256
	s_wait_loadcnt 0x0
	v_xor_b32_e32 v61, 0x80000000, v61
	ds_store_b128 v65, v[58:61] offset:8448
.LBB116_37:                             ;   in Loop: Header=BB116_11 Depth=3
	s_wait_alu 0xfffe
	s_and_not1_saveexec_b32 s5, s6
	s_cbranch_execz .LBB116_43
; %bb.38:                               ;   in Loop: Header=BB116_11 Depth=3
	s_and_saveexec_b32 s6, s55
	s_wait_alu 0xfffe
	s_xor_b32 s6, exec_lo, s6
; %bb.39:                               ;   in Loop: Header=BB116_11 Depth=3
	v_dual_mov_b32 v58, v0 :: v_dual_mov_b32 v59, v0
	v_dual_mov_b32 v60, v0 :: v_dual_mov_b32 v61, v0
	ds_store_b128 v65, v[58:61] offset:8448
; %bb.40:                               ;   in Loop: Header=BB116_11 Depth=3
	s_wait_alu 0xfffe
	s_and_not1_saveexec_b32 s6, s6
; %bb.41:                               ;   in Loop: Header=BB116_11 Depth=3
	v_dual_mov_b32 v2, v0 :: v_dual_mov_b32 v3, v0
	ds_store_b128 v65, v[0:3] offset:8448
; %bb.42:                               ;   in Loop: Header=BB116_11 Depth=3
	s_wait_alu 0xfffe
	s_or_b32 exec_lo, exec_lo, s6
.LBB116_43:                             ;   in Loop: Header=BB116_11 Depth=3
	s_wait_alu 0xfffe
	s_or_b32 exec_lo, exec_lo, s5
	v_add_co_u32 v2, s5, v10, s26
	s_wait_alu 0xf1ff
	v_add_co_ci_u32_e64 v3, null, s27, v11, s5
	s_delay_alu instid0(VALU_DEP_1)
	v_cmp_gt_i64_e64 s5, s[42:43], v[2:3]
	s_and_b32 s6, vcc_lo, s5
	s_wait_alu 0xfffe
	s_xor_b32 s6, s6, -1
	s_wait_alu 0xfffe
	s_and_saveexec_b32 s7, s6
	s_wait_alu 0xfffe
	s_xor_b32 s6, exec_lo, s7
; %bb.44:                               ;   in Loop: Header=BB116_11 Depth=3
	v_dual_mov_b32 v58, v0 :: v_dual_mov_b32 v59, v0
	v_dual_mov_b32 v60, v0 :: v_dual_mov_b32 v61, v0
	ds_store_b128 v66, v[58:61]
; %bb.45:                               ;   in Loop: Header=BB116_11 Depth=3
	s_wait_alu 0xfffe
	s_or_saveexec_b32 s7, s6
	v_add_co_u32 v58, s6, v38, s24
	s_wait_alu 0xf1ff
	v_add_co_ci_u32_e64 v59, null, s25, v39, s6
	s_wait_alu 0xfffe
	s_xor_b32 exec_lo, exec_lo, s7
	s_cbranch_execz .LBB116_47
; %bb.46:                               ;   in Loop: Header=BB116_11 Depth=3
	global_load_b128 v[73:76], v[58:59], off offset:-256
	s_wait_loadcnt 0x0
	ds_store_2addr_b64 v66, v[73:74], v[75:76] offset1:1
.LBB116_47:                             ;   in Loop: Header=BB116_11 Depth=3
	s_or_b32 exec_lo, exec_lo, s7
	v_cmp_gt_i64_e64 s6, s[46:47], v[2:3]
	s_and_b32 s7, vcc_lo, s6
	s_wait_alu 0xfffe
	s_xor_b32 s7, s7, -1
	s_wait_alu 0xfffe
	s_and_saveexec_b32 s8, s7
	s_wait_alu 0xfffe
	s_xor_b32 s7, exec_lo, s8
; %bb.48:                               ;   in Loop: Header=BB116_11 Depth=3
	v_dual_mov_b32 v58, v0 :: v_dual_mov_b32 v59, v0
	v_dual_mov_b32 v60, v0 :: v_dual_mov_b32 v61, v0
	ds_store_b128 v66, v[58:61] offset:256
                                        ; implicit-def: $vgpr58_vgpr59
; %bb.49:                               ;   in Loop: Header=BB116_11 Depth=3
	s_wait_alu 0xfffe
	s_and_not1_saveexec_b32 s7, s7
	s_cbranch_execz .LBB116_51
; %bb.50:                               ;   in Loop: Header=BB116_11 Depth=3
	global_load_b128 v[58:61], v[58:59], off
	s_wait_loadcnt 0x0
	ds_store_2addr_b64 v67, v[58:59], v[60:61] offset1:1
.LBB116_51:                             ;   in Loop: Header=BB116_11 Depth=3
	s_wait_alu 0xfffe
	s_or_b32 exec_lo, exec_lo, s7
	s_and_b32 s5, s4, s5
	s_wait_alu 0xfffe
	s_xor_b32 s5, s5, -1
	s_wait_alu 0xfffe
	s_and_saveexec_b32 s7, s5
	s_wait_alu 0xfffe
	s_xor_b32 s5, exec_lo, s7
; %bb.52:                               ;   in Loop: Header=BB116_11 Depth=3
	v_dual_mov_b32 v58, v0 :: v_dual_mov_b32 v59, v0
	v_dual_mov_b32 v60, v0 :: v_dual_mov_b32 v61, v0
	ds_store_b128 v66, v[58:61] offset:8192
; %bb.53:                               ;   in Loop: Header=BB116_11 Depth=3
	s_wait_alu 0xfffe
	s_or_saveexec_b32 s7, s5
	v_add_co_u32 v2, s5, v40, s24
	s_wait_alu 0xf1ff
	v_add_co_ci_u32_e64 v3, null, s25, v41, s5
	s_wait_alu 0xfffe
	s_xor_b32 exec_lo, exec_lo, s7
	s_cbranch_execz .LBB116_55
; %bb.54:                               ;   in Loop: Header=BB116_11 Depth=3
	global_load_b128 v[58:61], v[2:3], off offset:-256
	s_wait_loadcnt 0x0
	ds_store_2addr_b64 v68, v[58:59], v[60:61] offset1:1
.LBB116_55:                             ;   in Loop: Header=BB116_11 Depth=3
	s_or_b32 exec_lo, exec_lo, s7
	s_and_b32 s5, s4, s6
	s_wait_alu 0xfffe
	s_xor_b32 s5, s5, -1
	s_wait_alu 0xfffe
	s_and_saveexec_b32 s6, s5
	s_wait_alu 0xfffe
	s_xor_b32 s5, exec_lo, s6
; %bb.56:                               ;   in Loop: Header=BB116_11 Depth=3
	v_dual_mov_b32 v58, v0 :: v_dual_mov_b32 v59, v0
	v_dual_mov_b32 v60, v0 :: v_dual_mov_b32 v61, v0
                                        ; implicit-def: $vgpr2_vgpr3
	ds_store_b128 v66, v[58:61] offset:8448
; %bb.57:                               ;   in Loop: Header=BB116_11 Depth=3
	s_wait_alu 0xfffe
	s_and_not1_saveexec_b32 s5, s5
	s_cbranch_execz .LBB116_10
; %bb.58:                               ;   in Loop: Header=BB116_11 Depth=3
	global_load_b128 v[58:61], v[2:3], off
	s_wait_loadcnt 0x0
	ds_store_2addr_b64 v69, v[58:59], v[60:61] offset1:1
	s_branch .LBB116_10
.LBB116_59:                             ;   in Loop: Header=BB116_8 Depth=2
	v_mov_b32_e32 v54, 0
	v_mov_b32_e32 v42, 0
	;; [unrolled: 1-line block ×3, first 2 shown]
	v_dual_mov_b32 v52, 0 :: v_dual_mov_b32 v55, 0
	v_dual_mov_b32 v56, 0 :: v_dual_mov_b32 v43, 0
	;; [unrolled: 1-line block ×5, first 2 shown]
	v_mov_b32_e32 v45, 0
	v_mov_b32_e32 v49, 0
	;; [unrolled: 1-line block ×3, first 2 shown]
.LBB116_60:                             ;   in Loop: Header=BB116_8 Depth=2
	v_mul_lo_u32 v37, s29, v71
	v_mul_lo_u32 v38, s28, v72
	v_mad_co_u64_u32 v[2:3], null, s28, v71, 0
	v_cmp_gt_i32_e32 vcc_lo, s10, v71
	s_delay_alu instid0(VALU_DEP_2) | instskip(NEXT) | instid1(VALU_DEP_1)
	v_add3_u32 v3, v3, v38, v37
	v_lshlrev_b64_e32 v[2:3], 4, v[2:3]
	s_delay_alu instid0(VALU_DEP_1) | instskip(SKIP_1) | instid1(VALU_DEP_2)
	v_add_co_u32 v2, s4, s22, v2
	s_wait_alu 0xf1ff
	v_add_co_ci_u32_e64 v3, null, s23, v3, s4
	s_and_b32 s4, s1, vcc_lo
	s_wait_alu 0xfffe
	s_and_saveexec_b32 s5, s4
	s_cbranch_execz .LBB116_62
; %bb.61:                               ;   in Loop: Header=BB116_8 Depth=2
	v_add_co_u32 v58, s4, v2, v20
	s_wait_alu 0xf1ff
	v_add_co_ci_u32_e64 v59, null, v3, v21, s4
	v_mul_f64_e32 v[60:61], v[6:7], v[56:57]
	v_mul_f64_e32 v[56:57], v[4:5], v[56:57]
	global_load_b128 v[37:40], v[58:59], off
	v_fma_f64 v[60:61], v[4:5], v[54:55], -v[60:61]
	v_fma_f64 v[54:55], v[6:7], v[54:55], v[56:57]
	s_wait_loadcnt 0x0
	s_delay_alu instid0(VALU_DEP_2) | instskip(NEXT) | instid1(VALU_DEP_2)
	v_add_f64_e32 v[37:38], v[37:38], v[60:61]
	v_add_f64_e32 v[39:40], v[54:55], v[39:40]
	global_store_b128 v[58:59], v[37:40], off
.LBB116_62:                             ;   in Loop: Header=BB116_8 Depth=2
	s_wait_alu 0xfffe
	s_or_b32 exec_lo, exec_lo, s5
	s_and_b32 s5, s2, vcc_lo
	s_wait_alu 0xfffe
	s_and_saveexec_b32 s4, s5
	s_cbranch_execz .LBB116_64
; %bb.63:                               ;   in Loop: Header=BB116_8 Depth=2
	v_lshlrev_b64_e32 v[37:38], 4, v[12:13]
	v_mul_f64_e32 v[54:55], v[6:7], v[44:45]
	v_mul_f64_e32 v[44:45], v[4:5], v[44:45]
	s_delay_alu instid0(VALU_DEP_3) | instskip(SKIP_1) | instid1(VALU_DEP_4)
	v_add_co_u32 v2, vcc_lo, v2, v37
	s_wait_alu 0xfffd
	v_add_co_ci_u32_e64 v3, null, v3, v38, vcc_lo
	global_load_b128 v[37:40], v[2:3], off
	v_fma_f64 v[54:55], v[4:5], v[42:43], -v[54:55]
	v_fma_f64 v[41:42], v[6:7], v[42:43], v[44:45]
	s_wait_loadcnt 0x0
	s_delay_alu instid0(VALU_DEP_2) | instskip(NEXT) | instid1(VALU_DEP_2)
	v_add_f64_e32 v[37:38], v[37:38], v[54:55]
	v_add_f64_e32 v[39:40], v[41:42], v[39:40]
	global_store_b128 v[2:3], v[37:40], off
.LBB116_64:                             ;   in Loop: Header=BB116_8 Depth=2
	s_wait_alu 0xfffe
	s_or_b32 exec_lo, exec_lo, s4
	v_add_nc_u32_e32 v37, 16, v71
	s_delay_alu instid0(VALU_DEP_1) | instskip(SKIP_3) | instid1(VALU_DEP_4)
	v_ashrrev_i32_e32 v38, 31, v37
	v_mul_lo_u32 v39, s29, v37
	v_mad_co_u64_u32 v[2:3], null, s28, v37, 0
	v_cmp_gt_i32_e32 vcc_lo, s10, v37
	v_mul_lo_u32 v38, s28, v38
	s_delay_alu instid0(VALU_DEP_1) | instskip(NEXT) | instid1(VALU_DEP_1)
	v_add3_u32 v3, v3, v38, v39
	v_lshlrev_b64_e32 v[2:3], 4, v[2:3]
	s_delay_alu instid0(VALU_DEP_1) | instskip(SKIP_1) | instid1(VALU_DEP_2)
	v_add_co_u32 v2, s4, s22, v2
	s_wait_alu 0xf1ff
	v_add_co_ci_u32_e64 v3, null, s23, v3, s4
	s_and_b32 s4, s1, vcc_lo
	s_wait_alu 0xfffe
	s_and_saveexec_b32 s5, s4
	s_cbranch_execz .LBB116_66
; %bb.65:                               ;   in Loop: Header=BB116_8 Depth=2
	v_add_co_u32 v41, s4, v2, v20
	s_wait_alu 0xf1ff
	v_add_co_ci_u32_e64 v42, null, v3, v21, s4
	v_mul_f64_e32 v[43:44], v[6:7], v[48:49]
	v_mul_f64_e32 v[48:49], v[4:5], v[48:49]
	global_load_b128 v[37:40], v[41:42], off
	v_fma_f64 v[43:44], v[4:5], v[46:47], -v[43:44]
	v_fma_f64 v[45:46], v[6:7], v[46:47], v[48:49]
	s_wait_loadcnt 0x0
	s_delay_alu instid0(VALU_DEP_2) | instskip(NEXT) | instid1(VALU_DEP_2)
	v_add_f64_e32 v[37:38], v[37:38], v[43:44]
	v_add_f64_e32 v[39:40], v[45:46], v[39:40]
	global_store_b128 v[41:42], v[37:40], off
.LBB116_66:                             ;   in Loop: Header=BB116_8 Depth=2
	s_wait_alu 0xfffe
	s_or_b32 exec_lo, exec_lo, s5
	s_and_b32 s5, s2, vcc_lo
	s_wait_alu 0xfffe
	s_and_saveexec_b32 s4, s5
	s_cbranch_execz .LBB116_7
; %bb.67:                               ;   in Loop: Header=BB116_8 Depth=2
	v_lshlrev_b64_e32 v[37:38], 4, v[12:13]
	v_mul_f64_e32 v[41:42], v[6:7], v[50:51]
	v_mul_f64_e32 v[43:44], v[4:5], v[50:51]
	s_delay_alu instid0(VALU_DEP_3) | instskip(SKIP_1) | instid1(VALU_DEP_4)
	v_add_co_u32 v2, vcc_lo, v2, v37
	s_wait_alu 0xfffd
	v_add_co_ci_u32_e64 v3, null, v3, v38, vcc_lo
	global_load_b128 v[37:40], v[2:3], off
	v_fma_f64 v[41:42], v[4:5], v[52:53], -v[41:42]
	v_fma_f64 v[43:44], v[6:7], v[52:53], v[43:44]
	s_wait_loadcnt 0x0
	s_delay_alu instid0(VALU_DEP_2) | instskip(NEXT) | instid1(VALU_DEP_2)
	v_add_f64_e32 v[37:38], v[37:38], v[41:42]
	v_add_f64_e32 v[39:40], v[43:44], v[39:40]
	global_store_b128 v[2:3], v[37:40], off
	s_branch .LBB116_7
.LBB116_68:
	s_endpgm
	.section	.rodata,"a",@progbits
	.p2align	6, 0x0
	.amdhsa_kernel _ZL30rocblas_trmm_outofplace_kernelI19rocblas_complex_numIdELi32ELi2ELb1ELb0ELb1ELb1EPKS1_S2_S1_Ev17rocblas_diagonal_iiT6_lPT7_lllS7_lllPT8_llli
		.amdhsa_group_segment_fixed_size 32768
		.amdhsa_private_segment_fixed_size 0
		.amdhsa_kernarg_size 392
		.amdhsa_user_sgpr_count 2
		.amdhsa_user_sgpr_dispatch_ptr 0
		.amdhsa_user_sgpr_queue_ptr 0
		.amdhsa_user_sgpr_kernarg_segment_ptr 1
		.amdhsa_user_sgpr_dispatch_id 0
		.amdhsa_user_sgpr_private_segment_size 0
		.amdhsa_wavefront_size32 1
		.amdhsa_uses_dynamic_stack 0
		.amdhsa_enable_private_segment 0
		.amdhsa_system_sgpr_workgroup_id_x 1
		.amdhsa_system_sgpr_workgroup_id_y 1
		.amdhsa_system_sgpr_workgroup_id_z 1
		.amdhsa_system_sgpr_workgroup_info 0
		.amdhsa_system_vgpr_workitem_id 1
		.amdhsa_next_free_vgpr 93
		.amdhsa_next_free_sgpr 58
		.amdhsa_reserve_vcc 1
		.amdhsa_float_round_mode_32 0
		.amdhsa_float_round_mode_16_64 0
		.amdhsa_float_denorm_mode_32 3
		.amdhsa_float_denorm_mode_16_64 3
		.amdhsa_fp16_overflow 0
		.amdhsa_workgroup_processor_mode 1
		.amdhsa_memory_ordered 1
		.amdhsa_forward_progress 1
		.amdhsa_inst_pref_size 77
		.amdhsa_round_robin_scheduling 0
		.amdhsa_exception_fp_ieee_invalid_op 0
		.amdhsa_exception_fp_denorm_src 0
		.amdhsa_exception_fp_ieee_div_zero 0
		.amdhsa_exception_fp_ieee_overflow 0
		.amdhsa_exception_fp_ieee_underflow 0
		.amdhsa_exception_fp_ieee_inexact 0
		.amdhsa_exception_int_div_zero 0
	.end_amdhsa_kernel
	.section	.text._ZL30rocblas_trmm_outofplace_kernelI19rocblas_complex_numIdELi32ELi2ELb1ELb0ELb1ELb1EPKS1_S2_S1_Ev17rocblas_diagonal_iiT6_lPT7_lllS7_lllPT8_llli,"axG",@progbits,_ZL30rocblas_trmm_outofplace_kernelI19rocblas_complex_numIdELi32ELi2ELb1ELb0ELb1ELb1EPKS1_S2_S1_Ev17rocblas_diagonal_iiT6_lPT7_lllS7_lllPT8_llli,comdat
.Lfunc_end116:
	.size	_ZL30rocblas_trmm_outofplace_kernelI19rocblas_complex_numIdELi32ELi2ELb1ELb0ELb1ELb1EPKS1_S2_S1_Ev17rocblas_diagonal_iiT6_lPT7_lllS7_lllPT8_llli, .Lfunc_end116-_ZL30rocblas_trmm_outofplace_kernelI19rocblas_complex_numIdELi32ELi2ELb1ELb0ELb1ELb1EPKS1_S2_S1_Ev17rocblas_diagonal_iiT6_lPT7_lllS7_lllPT8_llli
                                        ; -- End function
	.set _ZL30rocblas_trmm_outofplace_kernelI19rocblas_complex_numIdELi32ELi2ELb1ELb0ELb1ELb1EPKS1_S2_S1_Ev17rocblas_diagonal_iiT6_lPT7_lllS7_lllPT8_llli.num_vgpr, 93
	.set _ZL30rocblas_trmm_outofplace_kernelI19rocblas_complex_numIdELi32ELi2ELb1ELb0ELb1ELb1EPKS1_S2_S1_Ev17rocblas_diagonal_iiT6_lPT7_lllS7_lllPT8_llli.num_agpr, 0
	.set _ZL30rocblas_trmm_outofplace_kernelI19rocblas_complex_numIdELi32ELi2ELb1ELb0ELb1ELb1EPKS1_S2_S1_Ev17rocblas_diagonal_iiT6_lPT7_lllS7_lllPT8_llli.numbered_sgpr, 58
	.set _ZL30rocblas_trmm_outofplace_kernelI19rocblas_complex_numIdELi32ELi2ELb1ELb0ELb1ELb1EPKS1_S2_S1_Ev17rocblas_diagonal_iiT6_lPT7_lllS7_lllPT8_llli.num_named_barrier, 0
	.set _ZL30rocblas_trmm_outofplace_kernelI19rocblas_complex_numIdELi32ELi2ELb1ELb0ELb1ELb1EPKS1_S2_S1_Ev17rocblas_diagonal_iiT6_lPT7_lllS7_lllPT8_llli.private_seg_size, 0
	.set _ZL30rocblas_trmm_outofplace_kernelI19rocblas_complex_numIdELi32ELi2ELb1ELb0ELb1ELb1EPKS1_S2_S1_Ev17rocblas_diagonal_iiT6_lPT7_lllS7_lllPT8_llli.uses_vcc, 1
	.set _ZL30rocblas_trmm_outofplace_kernelI19rocblas_complex_numIdELi32ELi2ELb1ELb0ELb1ELb1EPKS1_S2_S1_Ev17rocblas_diagonal_iiT6_lPT7_lllS7_lllPT8_llli.uses_flat_scratch, 0
	.set _ZL30rocblas_trmm_outofplace_kernelI19rocblas_complex_numIdELi32ELi2ELb1ELb0ELb1ELb1EPKS1_S2_S1_Ev17rocblas_diagonal_iiT6_lPT7_lllS7_lllPT8_llli.has_dyn_sized_stack, 0
	.set _ZL30rocblas_trmm_outofplace_kernelI19rocblas_complex_numIdELi32ELi2ELb1ELb0ELb1ELb1EPKS1_S2_S1_Ev17rocblas_diagonal_iiT6_lPT7_lllS7_lllPT8_llli.has_recursion, 0
	.set _ZL30rocblas_trmm_outofplace_kernelI19rocblas_complex_numIdELi32ELi2ELb1ELb0ELb1ELb1EPKS1_S2_S1_Ev17rocblas_diagonal_iiT6_lPT7_lllS7_lllPT8_llli.has_indirect_call, 0
	.section	.AMDGPU.csdata,"",@progbits
; Kernel info:
; codeLenInByte = 9780
; TotalNumSgprs: 60
; NumVgprs: 93
; ScratchSize: 0
; MemoryBound: 0
; FloatMode: 240
; IeeeMode: 1
; LDSByteSize: 32768 bytes/workgroup (compile time only)
; SGPRBlocks: 0
; VGPRBlocks: 11
; NumSGPRsForWavesPerEU: 60
; NumVGPRsForWavesPerEU: 93
; Occupancy: 16
; WaveLimiterHint : 0
; COMPUTE_PGM_RSRC2:SCRATCH_EN: 0
; COMPUTE_PGM_RSRC2:USER_SGPR: 2
; COMPUTE_PGM_RSRC2:TRAP_HANDLER: 0
; COMPUTE_PGM_RSRC2:TGID_X_EN: 1
; COMPUTE_PGM_RSRC2:TGID_Y_EN: 1
; COMPUTE_PGM_RSRC2:TGID_Z_EN: 1
; COMPUTE_PGM_RSRC2:TIDIG_COMP_CNT: 1
	.section	.text._ZL30rocblas_trmm_outofplace_kernelI19rocblas_complex_numIdELi32ELi2ELb1ELb0ELb1ELb1ES1_KS1_S1_Ev17rocblas_diagonal_iiT6_lPT7_lllS6_lllPT8_llli,"axG",@progbits,_ZL30rocblas_trmm_outofplace_kernelI19rocblas_complex_numIdELi32ELi2ELb1ELb0ELb1ELb1ES1_KS1_S1_Ev17rocblas_diagonal_iiT6_lPT7_lllS6_lllPT8_llli,comdat
	.globl	_ZL30rocblas_trmm_outofplace_kernelI19rocblas_complex_numIdELi32ELi2ELb1ELb0ELb1ELb1ES1_KS1_S1_Ev17rocblas_diagonal_iiT6_lPT7_lllS6_lllPT8_llli ; -- Begin function _ZL30rocblas_trmm_outofplace_kernelI19rocblas_complex_numIdELi32ELi2ELb1ELb0ELb1ELb1ES1_KS1_S1_Ev17rocblas_diagonal_iiT6_lPT7_lllS6_lllPT8_llli
	.p2align	8
	.type	_ZL30rocblas_trmm_outofplace_kernelI19rocblas_complex_numIdELi32ELi2ELb1ELb0ELb1ELb1ES1_KS1_S1_Ev17rocblas_diagonal_iiT6_lPT7_lllS6_lllPT8_llli,@function
_ZL30rocblas_trmm_outofplace_kernelI19rocblas_complex_numIdELi32ELi2ELb1ELb0ELb1ELb1ES1_KS1_S1_Ev17rocblas_diagonal_iiT6_lPT7_lllS6_lllPT8_llli: ; @_ZL30rocblas_trmm_outofplace_kernelI19rocblas_complex_numIdELi32ELi2ELb1ELb0ELb1ELb1ES1_KS1_S1_Ev17rocblas_diagonal_iiT6_lPT7_lllS6_lllPT8_llli
; %bb.0:
	s_load_b32 s33, s[0:1], 0x88
	s_lshr_b32 s34, ttmp7, 16
	s_wait_kmcnt 0x0
	s_cmp_ge_u32 s34, s33
	s_cbranch_scc1 .LBB117_67
; %bb.1:
	s_load_b128 s[28:31], s[0:1], 0x10
	s_wait_kmcnt 0x0
	v_cmp_eq_f64_e64 s2, s[28:29], 0
	v_cmp_eq_f64_e64 s3, s[30:31], 0
	s_and_b32 s2, s2, s3
	s_delay_alu instid0(SALU_CYCLE_1)
	s_and_b32 vcc_lo, exec_lo, s2
	s_cbranch_vccnz .LBB117_67
; %bb.2:
	s_clause 0x1
	s_load_b96 s[36:38], s[0:1], 0x0
	s_load_b512 s[4:19], s[0:1], 0x28
	s_add_nc_u64 s[40:41], s[0:1], 0x90
	s_load_b256 s[20:27], s[0:1], 0x68
	s_and_b32 s39, ttmp7, 0xffff
	v_bfe_u32 v58, v0, 10, 10
	v_and_b32_e32 v0, 0x3ff, v0
	s_mov_b32 s35, 0
	s_delay_alu instid0(VALU_DEP_2) | instskip(NEXT) | instid1(VALU_DEP_2)
	v_lshlrev_b32_e32 v1, 9, v58
	v_lshlrev_b32_e32 v59, 4, v0
	v_lshl_add_u32 v66, s39, 5, v58
	s_delay_alu instid0(VALU_DEP_3) | instskip(NEXT) | instid1(VALU_DEP_3)
	v_add_nc_u32_e32 v60, 0x4000, v1
	v_add_nc_u32_e32 v61, v59, v1
	s_delay_alu instid0(VALU_DEP_2)
	v_add_nc_u32_e32 v62, v60, v59
	s_wait_kmcnt 0x0
	s_add_co_i32 s2, s38, -1
	s_mov_b32 s42, s37
	s_ashr_i32 s0, s2, 31
	s_mov_b32 s47, s38
	s_lshr_b32 s0, s0, 27
	s_delay_alu instid0(SALU_CYCLE_1) | instskip(NEXT) | instid1(SALU_CYCLE_1)
	s_add_co_i32 s2, s2, s0
	s_ashr_i32 s46, s2, 5
	s_delay_alu instid0(SALU_CYCLE_1) | instskip(SKIP_2) | instid1(SALU_CYCLE_1)
	s_cmp_le_i32 s39, s46
	s_cselect_b32 s48, -1, 0
	s_lshl_b32 s0, ttmp9, 5
	v_add_nc_u32_e32 v6, s0, v0
	v_add_nc_u32_e32 v4, s0, v58
	s_sub_co_i32 s49, s37, s0
	s_delay_alu instid0(SALU_CYCLE_1) | instskip(NEXT) | instid1(VALU_DEP_2)
	s_cmp_gt_i32 s49, 0
	v_ashrrev_i32_e32 v7, 31, v6
	s_delay_alu instid0(VALU_DEP_2) | instskip(SKIP_2) | instid1(VALU_DEP_4)
	v_ashrrev_i32_e32 v5, 31, v4
	v_add_co_u32 v10, vcc_lo, v6, 16
	v_mul_lo_u32 v3, s9, v6
	v_add_co_ci_u32_e64 v11, null, 0, v7, vcc_lo
	v_sub_co_u32 v12, vcc_lo, v6, v4
	v_mul_lo_u32 v2, s8, v7
	v_mad_co_u64_u32 v[0:1], null, s8, v6, 0
	s_wait_alu 0xfffd
	v_sub_co_ci_u32_e64 v13, null, v7, v5, vcc_lo
	v_lshlrev_b64_e32 v[16:17], 4, v[6:7]
	v_add_co_u32 v14, vcc_lo, v12, 16
	s_cselect_b32 s50, -1, 0
	s_cmp_eq_u32 s36, 0x84
	s_wait_alu 0xfffd
	v_add_co_ci_u32_e64 v15, null, 0, v13, vcc_lo
	v_add_co_u32 v18, vcc_lo, v12, -16
	s_cselect_b32 s51, -1, 0
	s_lshl_b64 s[14:15], s[14:15], 4
	s_wait_alu 0xfffd
	v_add_co_ci_u32_e64 v19, null, -1, v13, vcc_lo
	v_add3_u32 v1, v1, v2, v3
	v_add_co_u32 v2, vcc_lo, 0x100, v16
	s_add_nc_u64 s[12:13], s[12:13], s[14:15]
	s_wait_alu 0xfffd
	v_add_co_ci_u32_e64 v3, null, 0, v17, vcc_lo
	v_add_co_u32 v20, vcc_lo, s12, v16
	v_lshlrev_b64_e32 v[0:1], 4, v[0:1]
	s_lshl_b64 s[6:7], s[6:7], 4
	s_wait_alu 0xfffd
	v_add_co_ci_u32_e64 v21, null, s13, v17, vcc_lo
	v_mul_lo_u32 v24, s8, v3
	v_mul_lo_u32 v25, s9, v2
	v_mad_co_u64_u32 v[2:3], null, s8, v2, s[6:7]
	v_add_co_u32 v20, vcc_lo, 0x100, v20
	v_lshlrev_b64_e32 v[22:23], 4, v[4:5]
	s_wait_alu 0xfffd
	v_add_co_ci_u32_e64 v21, null, 0, v21, vcc_lo
	v_add_co_u32 v0, vcc_lo, v0, s6
	s_wait_alu 0xfffd
	v_add_co_ci_u32_e64 v1, null, s7, v1, vcc_lo
	v_add3_u32 v3, v25, v3, v24
	s_delay_alu instid0(VALU_DEP_3) | instskip(SKIP_1) | instid1(VALU_DEP_3)
	v_add_co_u32 v0, vcc_lo, v0, v22
	s_wait_alu 0xfffd
	v_add_co_ci_u32_e64 v1, null, v1, v23, vcc_lo
	v_add_co_u32 v2, vcc_lo, v2, v22
	v_add_nc_u32_e32 v8, 16, v6
	s_wait_alu 0xfffd
	v_add_co_ci_u32_e64 v3, null, v3, v23, vcc_lo
	v_add_co_u32 v22, vcc_lo, s4, v0
	s_ashr_i32 s43, s37, 31
	s_lshl_b64 s[2:3], s[22:23], 4
	s_wait_alu 0xfffd
	v_add_co_ci_u32_e64 v23, null, s5, v1, vcc_lo
	v_add_co_u32 v24, vcc_lo, s4, v2
	s_add_nc_u64 s[20:21], s[20:21], s[2:3]
	v_cmp_le_i64_e64 s3, s[42:43], v[10:11]
	v_cmp_le_i32_e64 s0, s37, v6
	v_cmp_gt_i32_e64 s1, s37, v6
	v_cmp_gt_i32_e64 s2, s37, v8
	v_ashrrev_i32_e32 v9, 31, v8
	s_wait_alu 0xfffd
	v_add_co_ci_u32_e64 v25, null, s5, v3, vcc_lo
	v_dual_mov_b32 v0, 0 :: v_dual_mov_b32 v1, 0x3ff00000
	v_add_nc_u32_e32 v63, 0x100, v62
	v_add_nc_u32_e32 v64, 0x2000, v62
	;; [unrolled: 1-line block ×3, first 2 shown]
	s_ashr_i32 s52, s38, 31
	s_add_nc_u64 s[22:23], s[42:43], -16
	s_lshl_b64 s[12:13], s[18:19], 4
	s_lshl_b64 s[14:15], s[16:17], 4
	;; [unrolled: 1-line block ×3, first 2 shown]
	s_branch .LBB117_4
.LBB117_3:                              ;   in Loop: Header=BB117_4 Depth=1
	s_add_co_i32 s34, s34, 0x10000
	s_wait_alu 0xfffe
	s_cmp_ge_u32 s34, s33
	s_cbranch_scc1 .LBB117_67
.LBB117_4:                              ; =>This Loop Header: Depth=1
                                        ;     Child Loop BB117_7 Depth 2
                                        ;       Child Loop BB117_10 Depth 3
	s_and_not1_b32 vcc_lo, exec_lo, s48
	s_wait_alu 0xfffe
	s_cbranch_vccnz .LBB117_3
; %bb.5:                                ;   in Loop: Header=BB117_4 Depth=1
	v_mad_co_u64_u32 v[26:27], null, s12, s34, v[20:21]
	s_load_b32 s9, s[40:41], 0x4
	v_mad_co_u64_u32 v[28:29], null, s10, s34, v[22:23]
	s_mul_i32 s6, s11, s34
	v_mad_co_u64_u32 v[30:31], null, s10, s34, v[24:25]
	v_mov_b32_e32 v2, v27
	s_mul_u64 s[4:5], s[26:27], s[34:35]
	s_wait_alu 0xfffe
	v_dual_mov_b32 v32, v66 :: v_dual_add_nc_u32 v29, s6, v29
	s_lshl_b64 s[4:5], s[4:5], 4
	v_mad_co_u64_u32 v[2:3], null, s13, s34, v[2:3]
	s_delay_alu instid0(VALU_DEP_4) | instskip(SKIP_3) | instid1(VALU_DEP_2)
	v_add_nc_u32_e32 v31, s6, v31
	s_wait_alu 0xfffe
	s_add_nc_u64 s[18:19], s[20:21], s[4:5]
	s_mov_b32 s54, s39
	v_mov_b32_e32 v27, v2
	s_wait_kmcnt 0x0
	s_lshl_b32 s53, s9, 5
	s_branch .LBB117_7
.LBB117_6:                              ;   in Loop: Header=BB117_7 Depth=2
	s_wait_alu 0xfffe
	s_or_b32 exec_lo, exec_lo, s4
	v_add_nc_u32_e32 v32, s53, v32
	s_add_co_i32 s54, s9, s54
	s_wait_alu 0xfffe
	s_cmp_gt_i32 s54, s46
	s_cbranch_scc1 .LBB117_3
.LBB117_7:                              ;   Parent Loop BB117_4 Depth=1
                                        ; =>  This Loop Header: Depth=2
                                        ;       Child Loop BB117_10 Depth 3
	s_wait_alu 0xfffe
	v_lshl_add_u32 v67, s54, 5, v58
	s_and_not1_b32 vcc_lo, exec_lo, s50
	s_delay_alu instid0(VALU_DEP_1)
	v_ashrrev_i32_e32 v68, 31, v67
	s_wait_alu 0xfffe
	s_cbranch_vccnz .LBB117_58
; %bb.8:                                ;   in Loop: Header=BB117_7 Depth=2
	v_ashrrev_i32_e32 v33, 31, v32
	v_mad_co_u64_u32 v[34:35], null, s14, v32, v[26:27]
	v_mul_lo_u32 v36, s15, v32
	v_mov_b32_e32 v46, 0
	s_delay_alu instid0(VALU_DEP_4)
	v_lshlrev_b64_e32 v[2:3], 4, v[32:33]
	v_mul_lo_u32 v33, s14, v33
	v_mov_b32_e32 v44, 0
	v_mov_b32_e32 v40, 0
	v_dual_mov_b32 v52, 0 :: v_dual_mov_b32 v47, 0
	v_mov_b32_e32 v48, 0
	v_add_co_u32 v37, vcc_lo, 0x100, v2
	s_wait_alu 0xfffd
	v_add_co_ci_u32_e64 v38, null, 0, v3, vcc_lo
	v_sub_co_u32 v2, vcc_lo, s47, v67
	v_add3_u32 v35, v36, v35, v33
	s_delay_alu instid0(VALU_DEP_3)
	v_mul_lo_u32 v33, s16, v38
	v_mul_lo_u32 v54, s17, v37
	v_mad_co_u64_u32 v[36:37], null, s16, v37, v[26:27]
	s_wait_alu 0xfffd
	v_sub_co_ci_u32_e64 v3, null, s52, v68, vcc_lo
	v_dual_mov_b32 v45, 0 :: v_dual_mov_b32 v42, 0
	v_dual_mov_b32 v41, 0 :: v_dual_mov_b32 v38, 0
	s_delay_alu instid0(VALU_DEP_3)
	v_cmp_lt_i64_e64 s4, 16, v[2:3]
	v_dual_mov_b32 v53, 0 :: v_dual_mov_b32 v50, 0
	v_mov_b32_e32 v49, 0
	v_mov_b32_e32 v43, 0
	;; [unrolled: 1-line block ×4, first 2 shown]
	v_add3_u32 v37, v54, v37, v33
	s_mov_b64 s[36:37], 0
	s_mov_b64 s[44:45], 0
	v_cmp_lt_i64_e32 vcc_lo, 0, v[2:3]
	s_branch .LBB117_10
.LBB117_9:                              ;   in Loop: Header=BB117_10 Depth=3
	s_wait_alu 0xfffe
	s_or_b32 exec_lo, exec_lo, s5
	s_wait_dscnt 0x0
	s_barrier_signal -1
	s_barrier_wait -1
	global_inv scope:SCOPE_SE
	ds_load_b128 v[54:57], v60
	ds_load_b128 v[69:72], v60 offset:16
	ds_load_b128 v[73:76], v60 offset:32
	ds_load_b128 v[77:80], v60 offset:48
	ds_load_b128 v[81:84], v59
	s_add_nc_u64 s[44:45], s[44:45], 32
	s_add_nc_u64 s[36:37], s[36:37], 0x200
	s_wait_alu 0xfffe
	s_cmp_ge_i32 s44, s49
	s_wait_dscnt 0x0
	v_mul_f64_e32 v[2:3], v[56:57], v[83:84]
	v_mul_f64_e32 v[85:86], v[54:55], v[83:84]
	s_delay_alu instid0(VALU_DEP_2) | instskip(NEXT) | instid1(VALU_DEP_2)
	v_fma_f64 v[2:3], v[54:55], v[81:82], -v[2:3]
	v_fma_f64 v[85:86], v[56:57], v[81:82], v[85:86]
	s_delay_alu instid0(VALU_DEP_2) | instskip(NEXT) | instid1(VALU_DEP_2)
	v_add_f64_e32 v[2:3], v[50:51], v[2:3]
	v_add_f64_e32 v[85:86], v[85:86], v[52:53]
	ds_load_b128 v[50:53], v59 offset:256
	s_wait_dscnt 0x0
	v_mul_f64_e32 v[87:88], v[56:57], v[52:53]
	s_delay_alu instid0(VALU_DEP_1) | instskip(SKIP_1) | instid1(VALU_DEP_1)
	v_fma_f64 v[87:88], v[54:55], v[50:51], -v[87:88]
	v_mul_f64_e32 v[54:55], v[54:55], v[52:53]
	v_fma_f64 v[54:55], v[56:57], v[50:51], v[54:55]
	s_delay_alu instid0(VALU_DEP_3) | instskip(NEXT) | instid1(VALU_DEP_2)
	v_add_f64_e32 v[56:57], v[38:39], v[87:88]
	v_add_f64_e32 v[54:55], v[54:55], v[40:41]
	ds_load_b128 v[38:41], v60 offset:8192
	s_wait_dscnt 0x0
	v_mul_f64_e32 v[87:88], v[40:41], v[83:84]
	v_mul_f64_e32 v[83:84], v[38:39], v[83:84]
	s_delay_alu instid0(VALU_DEP_2) | instskip(NEXT) | instid1(VALU_DEP_2)
	v_fma_f64 v[87:88], v[38:39], v[81:82], -v[87:88]
	v_fma_f64 v[81:82], v[40:41], v[81:82], v[83:84]
	s_delay_alu instid0(VALU_DEP_2) | instskip(SKIP_1) | instid1(VALU_DEP_3)
	v_add_f64_e32 v[83:84], v[42:43], v[87:88]
	v_mul_f64_e32 v[42:43], v[40:41], v[52:53]
	v_add_f64_e32 v[81:82], v[81:82], v[44:45]
	s_delay_alu instid0(VALU_DEP_2) | instskip(SKIP_1) | instid1(VALU_DEP_1)
	v_fma_f64 v[42:43], v[38:39], v[50:51], -v[42:43]
	v_mul_f64_e32 v[38:39], v[38:39], v[52:53]
	v_fma_f64 v[38:39], v[40:41], v[50:51], v[38:39]
	s_delay_alu instid0(VALU_DEP_3) | instskip(NEXT) | instid1(VALU_DEP_2)
	v_add_f64_e32 v[50:51], v[48:49], v[42:43]
	v_add_f64_e32 v[52:53], v[38:39], v[46:47]
	ds_load_b128 v[38:41], v59 offset:512
	s_wait_dscnt 0x0
	v_mul_f64_e32 v[42:43], v[71:72], v[40:41]
	v_mul_f64_e32 v[44:45], v[69:70], v[40:41]
	s_delay_alu instid0(VALU_DEP_2) | instskip(NEXT) | instid1(VALU_DEP_2)
	v_fma_f64 v[42:43], v[69:70], v[38:39], -v[42:43]
	v_fma_f64 v[44:45], v[71:72], v[38:39], v[44:45]
	s_delay_alu instid0(VALU_DEP_2) | instskip(NEXT) | instid1(VALU_DEP_2)
	v_add_f64_e32 v[2:3], v[2:3], v[42:43]
	v_add_f64_e32 v[85:86], v[44:45], v[85:86]
	ds_load_b128 v[42:45], v59 offset:768
	s_wait_dscnt 0x0
	v_mul_f64_e32 v[46:47], v[71:72], v[44:45]
	v_mul_f64_e32 v[48:49], v[69:70], v[44:45]
	s_delay_alu instid0(VALU_DEP_2) | instskip(NEXT) | instid1(VALU_DEP_2)
	v_fma_f64 v[46:47], v[69:70], v[42:43], -v[46:47]
	v_fma_f64 v[48:49], v[71:72], v[42:43], v[48:49]
	s_delay_alu instid0(VALU_DEP_2) | instskip(NEXT) | instid1(VALU_DEP_2)
	v_add_f64_e32 v[56:57], v[56:57], v[46:47]
	v_add_f64_e32 v[54:55], v[48:49], v[54:55]
	ds_load_b128 v[46:49], v60 offset:8208
	s_wait_dscnt 0x0
	v_mul_f64_e32 v[69:70], v[48:49], v[40:41]
	v_mul_f64_e32 v[40:41], v[46:47], v[40:41]
	s_delay_alu instid0(VALU_DEP_2) | instskip(NEXT) | instid1(VALU_DEP_2)
	v_fma_f64 v[69:70], v[46:47], v[38:39], -v[69:70]
	v_fma_f64 v[38:39], v[48:49], v[38:39], v[40:41]
	v_mul_f64_e32 v[40:41], v[46:47], v[44:45]
	s_delay_alu instid0(VALU_DEP_3) | instskip(NEXT) | instid1(VALU_DEP_3)
	v_add_f64_e32 v[69:70], v[83:84], v[69:70]
	v_add_f64_e32 v[71:72], v[38:39], v[81:82]
	v_mul_f64_e32 v[38:39], v[48:49], v[44:45]
	s_delay_alu instid0(VALU_DEP_4) | instskip(NEXT) | instid1(VALU_DEP_2)
	v_fma_f64 v[40:41], v[48:49], v[42:43], v[40:41]
	v_fma_f64 v[38:39], v[46:47], v[42:43], -v[38:39]
	s_delay_alu instid0(VALU_DEP_2) | instskip(NEXT) | instid1(VALU_DEP_2)
	v_add_f64_e32 v[52:53], v[40:41], v[52:53]
	v_add_f64_e32 v[50:51], v[50:51], v[38:39]
	ds_load_b128 v[38:41], v59 offset:1024
	s_wait_dscnt 0x0
	v_mul_f64_e32 v[42:43], v[75:76], v[40:41]
	v_mul_f64_e32 v[44:45], v[73:74], v[40:41]
	s_delay_alu instid0(VALU_DEP_2) | instskip(NEXT) | instid1(VALU_DEP_2)
	v_fma_f64 v[42:43], v[73:74], v[38:39], -v[42:43]
	v_fma_f64 v[44:45], v[75:76], v[38:39], v[44:45]
	s_delay_alu instid0(VALU_DEP_2) | instskip(NEXT) | instid1(VALU_DEP_2)
	v_add_f64_e32 v[2:3], v[2:3], v[42:43]
	v_add_f64_e32 v[81:82], v[44:45], v[85:86]
	ds_load_b128 v[42:45], v59 offset:1280
	s_wait_dscnt 0x0
	v_mul_f64_e32 v[46:47], v[75:76], v[44:45]
	v_mul_f64_e32 v[48:49], v[73:74], v[44:45]
	s_delay_alu instid0(VALU_DEP_2) | instskip(NEXT) | instid1(VALU_DEP_2)
	v_fma_f64 v[46:47], v[73:74], v[42:43], -v[46:47]
	v_fma_f64 v[48:49], v[75:76], v[42:43], v[48:49]
	s_delay_alu instid0(VALU_DEP_2) | instskip(NEXT) | instid1(VALU_DEP_2)
	v_add_f64_e32 v[56:57], v[56:57], v[46:47]
	v_add_f64_e32 v[54:55], v[48:49], v[54:55]
	ds_load_b128 v[46:49], v60 offset:8224
	s_wait_dscnt 0x0
	v_mul_f64_e32 v[73:74], v[48:49], v[40:41]
	v_mul_f64_e32 v[40:41], v[46:47], v[40:41]
	s_delay_alu instid0(VALU_DEP_2) | instskip(NEXT) | instid1(VALU_DEP_2)
	v_fma_f64 v[73:74], v[46:47], v[38:39], -v[73:74]
	v_fma_f64 v[38:39], v[48:49], v[38:39], v[40:41]
	v_mul_f64_e32 v[40:41], v[46:47], v[44:45]
	s_delay_alu instid0(VALU_DEP_3) | instskip(NEXT) | instid1(VALU_DEP_3)
	v_add_f64_e32 v[69:70], v[69:70], v[73:74]
	v_add_f64_e32 v[71:72], v[38:39], v[71:72]
	v_mul_f64_e32 v[38:39], v[48:49], v[44:45]
	s_delay_alu instid0(VALU_DEP_4) | instskip(NEXT) | instid1(VALU_DEP_2)
	v_fma_f64 v[40:41], v[48:49], v[42:43], v[40:41]
	v_fma_f64 v[38:39], v[46:47], v[42:43], -v[38:39]
	s_delay_alu instid0(VALU_DEP_2) | instskip(NEXT) | instid1(VALU_DEP_2)
	v_add_f64_e32 v[52:53], v[40:41], v[52:53]
	v_add_f64_e32 v[50:51], v[50:51], v[38:39]
	ds_load_b128 v[38:41], v59 offset:1536
	s_wait_dscnt 0x0
	v_mul_f64_e32 v[42:43], v[79:80], v[40:41]
	v_mul_f64_e32 v[44:45], v[77:78], v[40:41]
	s_delay_alu instid0(VALU_DEP_2) | instskip(NEXT) | instid1(VALU_DEP_2)
	v_fma_f64 v[42:43], v[77:78], v[38:39], -v[42:43]
	v_fma_f64 v[44:45], v[79:80], v[38:39], v[44:45]
	s_delay_alu instid0(VALU_DEP_2) | instskip(NEXT) | instid1(VALU_DEP_2)
	v_add_f64_e32 v[2:3], v[2:3], v[42:43]
	v_add_f64_e32 v[73:74], v[44:45], v[81:82]
	ds_load_b128 v[42:45], v59 offset:1792
	s_wait_dscnt 0x0
	v_mul_f64_e32 v[46:47], v[79:80], v[44:45]
	v_mul_f64_e32 v[48:49], v[77:78], v[44:45]
	s_delay_alu instid0(VALU_DEP_2) | instskip(NEXT) | instid1(VALU_DEP_2)
	v_fma_f64 v[46:47], v[77:78], v[42:43], -v[46:47]
	v_fma_f64 v[48:49], v[79:80], v[42:43], v[48:49]
	s_delay_alu instid0(VALU_DEP_2) | instskip(NEXT) | instid1(VALU_DEP_2)
	v_add_f64_e32 v[56:57], v[56:57], v[46:47]
	v_add_f64_e32 v[54:55], v[48:49], v[54:55]
	ds_load_b128 v[46:49], v60 offset:8240
	s_wait_dscnt 0x0
	v_mul_f64_e32 v[75:76], v[48:49], v[40:41]
	v_mul_f64_e32 v[40:41], v[46:47], v[40:41]
	s_delay_alu instid0(VALU_DEP_2) | instskip(NEXT) | instid1(VALU_DEP_2)
	v_fma_f64 v[75:76], v[46:47], v[38:39], -v[75:76]
	v_fma_f64 v[38:39], v[48:49], v[38:39], v[40:41]
	v_mul_f64_e32 v[40:41], v[46:47], v[44:45]
	s_delay_alu instid0(VALU_DEP_3) | instskip(NEXT) | instid1(VALU_DEP_3)
	v_add_f64_e32 v[69:70], v[69:70], v[75:76]
	v_add_f64_e32 v[71:72], v[38:39], v[71:72]
	v_mul_f64_e32 v[38:39], v[48:49], v[44:45]
	s_delay_alu instid0(VALU_DEP_4) | instskip(NEXT) | instid1(VALU_DEP_2)
	v_fma_f64 v[40:41], v[48:49], v[42:43], v[40:41]
	v_fma_f64 v[38:39], v[46:47], v[42:43], -v[38:39]
	s_delay_alu instid0(VALU_DEP_2) | instskip(NEXT) | instid1(VALU_DEP_2)
	v_add_f64_e32 v[52:53], v[40:41], v[52:53]
	v_add_f64_e32 v[50:51], v[50:51], v[38:39]
	ds_load_b128 v[38:41], v60 offset:64
	ds_load_b128 v[42:45], v59 offset:2048
	s_wait_dscnt 0x0
	v_mul_f64_e32 v[46:47], v[40:41], v[44:45]
	v_mul_f64_e32 v[48:49], v[38:39], v[44:45]
	s_delay_alu instid0(VALU_DEP_2) | instskip(NEXT) | instid1(VALU_DEP_2)
	v_fma_f64 v[46:47], v[38:39], v[42:43], -v[46:47]
	v_fma_f64 v[48:49], v[40:41], v[42:43], v[48:49]
	s_delay_alu instid0(VALU_DEP_2) | instskip(NEXT) | instid1(VALU_DEP_2)
	v_add_f64_e32 v[2:3], v[2:3], v[46:47]
	v_add_f64_e32 v[73:74], v[48:49], v[73:74]
	ds_load_b128 v[46:49], v59 offset:2304
	s_wait_dscnt 0x0
	v_mul_f64_e32 v[75:76], v[40:41], v[48:49]
	s_delay_alu instid0(VALU_DEP_1) | instskip(SKIP_1) | instid1(VALU_DEP_2)
	v_fma_f64 v[75:76], v[38:39], v[46:47], -v[75:76]
	v_mul_f64_e32 v[38:39], v[38:39], v[48:49]
	v_add_f64_e32 v[56:57], v[56:57], v[75:76]
	s_delay_alu instid0(VALU_DEP_2) | instskip(NEXT) | instid1(VALU_DEP_1)
	v_fma_f64 v[38:39], v[40:41], v[46:47], v[38:39]
	v_add_f64_e32 v[54:55], v[38:39], v[54:55]
	ds_load_b128 v[38:41], v60 offset:8256
	s_wait_dscnt 0x0
	v_mul_f64_e32 v[75:76], v[40:41], v[44:45]
	v_mul_f64_e32 v[44:45], v[38:39], v[44:45]
	s_delay_alu instid0(VALU_DEP_2) | instskip(NEXT) | instid1(VALU_DEP_2)
	v_fma_f64 v[75:76], v[38:39], v[42:43], -v[75:76]
	v_fma_f64 v[42:43], v[40:41], v[42:43], v[44:45]
	s_delay_alu instid0(VALU_DEP_2) | instskip(NEXT) | instid1(VALU_DEP_2)
	v_add_f64_e32 v[69:70], v[69:70], v[75:76]
	v_add_f64_e32 v[71:72], v[42:43], v[71:72]
	v_mul_f64_e32 v[42:43], v[40:41], v[48:49]
	s_delay_alu instid0(VALU_DEP_1) | instskip(SKIP_1) | instid1(VALU_DEP_2)
	v_fma_f64 v[42:43], v[38:39], v[46:47], -v[42:43]
	v_mul_f64_e32 v[38:39], v[38:39], v[48:49]
	v_add_f64_e32 v[50:51], v[50:51], v[42:43]
	s_delay_alu instid0(VALU_DEP_2) | instskip(NEXT) | instid1(VALU_DEP_1)
	v_fma_f64 v[38:39], v[40:41], v[46:47], v[38:39]
	v_add_f64_e32 v[52:53], v[38:39], v[52:53]
	ds_load_b128 v[38:41], v60 offset:80
	ds_load_b128 v[42:45], v59 offset:2560
	s_wait_dscnt 0x0
	v_mul_f64_e32 v[46:47], v[40:41], v[44:45]
	v_mul_f64_e32 v[48:49], v[38:39], v[44:45]
	s_delay_alu instid0(VALU_DEP_2) | instskip(NEXT) | instid1(VALU_DEP_2)
	v_fma_f64 v[46:47], v[38:39], v[42:43], -v[46:47]
	v_fma_f64 v[48:49], v[40:41], v[42:43], v[48:49]
	s_delay_alu instid0(VALU_DEP_2) | instskip(NEXT) | instid1(VALU_DEP_2)
	v_add_f64_e32 v[2:3], v[2:3], v[46:47]
	v_add_f64_e32 v[73:74], v[48:49], v[73:74]
	ds_load_b128 v[46:49], v59 offset:2816
	s_wait_dscnt 0x0
	v_mul_f64_e32 v[75:76], v[40:41], v[48:49]
	s_delay_alu instid0(VALU_DEP_1) | instskip(SKIP_1) | instid1(VALU_DEP_2)
	v_fma_f64 v[75:76], v[38:39], v[46:47], -v[75:76]
	v_mul_f64_e32 v[38:39], v[38:39], v[48:49]
	v_add_f64_e32 v[56:57], v[56:57], v[75:76]
	s_delay_alu instid0(VALU_DEP_2) | instskip(NEXT) | instid1(VALU_DEP_1)
	v_fma_f64 v[38:39], v[40:41], v[46:47], v[38:39]
	v_add_f64_e32 v[54:55], v[38:39], v[54:55]
	ds_load_b128 v[38:41], v60 offset:8272
	s_wait_dscnt 0x0
	v_mul_f64_e32 v[75:76], v[40:41], v[44:45]
	v_mul_f64_e32 v[44:45], v[38:39], v[44:45]
	s_delay_alu instid0(VALU_DEP_2) | instskip(NEXT) | instid1(VALU_DEP_2)
	v_fma_f64 v[75:76], v[38:39], v[42:43], -v[75:76]
	v_fma_f64 v[42:43], v[40:41], v[42:43], v[44:45]
	s_delay_alu instid0(VALU_DEP_2) | instskip(NEXT) | instid1(VALU_DEP_2)
	v_add_f64_e32 v[69:70], v[69:70], v[75:76]
	v_add_f64_e32 v[71:72], v[42:43], v[71:72]
	v_mul_f64_e32 v[42:43], v[40:41], v[48:49]
	s_delay_alu instid0(VALU_DEP_1) | instskip(SKIP_1) | instid1(VALU_DEP_2)
	v_fma_f64 v[42:43], v[38:39], v[46:47], -v[42:43]
	v_mul_f64_e32 v[38:39], v[38:39], v[48:49]
	v_add_f64_e32 v[50:51], v[50:51], v[42:43]
	s_delay_alu instid0(VALU_DEP_2) | instskip(NEXT) | instid1(VALU_DEP_1)
	v_fma_f64 v[38:39], v[40:41], v[46:47], v[38:39]
	v_add_f64_e32 v[52:53], v[38:39], v[52:53]
	ds_load_b128 v[38:41], v60 offset:96
	ds_load_b128 v[42:45], v59 offset:3072
	s_wait_dscnt 0x0
	v_mul_f64_e32 v[46:47], v[40:41], v[44:45]
	v_mul_f64_e32 v[48:49], v[38:39], v[44:45]
	s_delay_alu instid0(VALU_DEP_2) | instskip(NEXT) | instid1(VALU_DEP_2)
	v_fma_f64 v[46:47], v[38:39], v[42:43], -v[46:47]
	v_fma_f64 v[48:49], v[40:41], v[42:43], v[48:49]
	s_delay_alu instid0(VALU_DEP_2) | instskip(NEXT) | instid1(VALU_DEP_2)
	v_add_f64_e32 v[2:3], v[2:3], v[46:47]
	v_add_f64_e32 v[73:74], v[48:49], v[73:74]
	ds_load_b128 v[46:49], v59 offset:3328
	s_wait_dscnt 0x0
	v_mul_f64_e32 v[75:76], v[40:41], v[48:49]
	s_delay_alu instid0(VALU_DEP_1) | instskip(SKIP_1) | instid1(VALU_DEP_2)
	v_fma_f64 v[75:76], v[38:39], v[46:47], -v[75:76]
	v_mul_f64_e32 v[38:39], v[38:39], v[48:49]
	v_add_f64_e32 v[56:57], v[56:57], v[75:76]
	s_delay_alu instid0(VALU_DEP_2) | instskip(NEXT) | instid1(VALU_DEP_1)
	v_fma_f64 v[38:39], v[40:41], v[46:47], v[38:39]
	v_add_f64_e32 v[54:55], v[38:39], v[54:55]
	ds_load_b128 v[38:41], v60 offset:8288
	s_wait_dscnt 0x0
	v_mul_f64_e32 v[75:76], v[40:41], v[44:45]
	v_mul_f64_e32 v[44:45], v[38:39], v[44:45]
	s_delay_alu instid0(VALU_DEP_2) | instskip(NEXT) | instid1(VALU_DEP_2)
	v_fma_f64 v[75:76], v[38:39], v[42:43], -v[75:76]
	v_fma_f64 v[42:43], v[40:41], v[42:43], v[44:45]
	s_delay_alu instid0(VALU_DEP_2) | instskip(NEXT) | instid1(VALU_DEP_2)
	v_add_f64_e32 v[69:70], v[69:70], v[75:76]
	v_add_f64_e32 v[71:72], v[42:43], v[71:72]
	v_mul_f64_e32 v[42:43], v[40:41], v[48:49]
	s_delay_alu instid0(VALU_DEP_1) | instskip(SKIP_1) | instid1(VALU_DEP_2)
	v_fma_f64 v[42:43], v[38:39], v[46:47], -v[42:43]
	v_mul_f64_e32 v[38:39], v[38:39], v[48:49]
	v_add_f64_e32 v[50:51], v[50:51], v[42:43]
	s_delay_alu instid0(VALU_DEP_2) | instskip(NEXT) | instid1(VALU_DEP_1)
	v_fma_f64 v[38:39], v[40:41], v[46:47], v[38:39]
	v_add_f64_e32 v[52:53], v[38:39], v[52:53]
	ds_load_b128 v[38:41], v60 offset:112
	ds_load_b128 v[42:45], v59 offset:3584
	s_wait_dscnt 0x0
	v_mul_f64_e32 v[46:47], v[40:41], v[44:45]
	v_mul_f64_e32 v[48:49], v[38:39], v[44:45]
	s_delay_alu instid0(VALU_DEP_2) | instskip(NEXT) | instid1(VALU_DEP_2)
	v_fma_f64 v[46:47], v[38:39], v[42:43], -v[46:47]
	v_fma_f64 v[48:49], v[40:41], v[42:43], v[48:49]
	s_delay_alu instid0(VALU_DEP_2) | instskip(NEXT) | instid1(VALU_DEP_2)
	v_add_f64_e32 v[2:3], v[2:3], v[46:47]
	v_add_f64_e32 v[73:74], v[48:49], v[73:74]
	ds_load_b128 v[46:49], v59 offset:3840
	s_wait_dscnt 0x0
	v_mul_f64_e32 v[75:76], v[40:41], v[48:49]
	s_delay_alu instid0(VALU_DEP_1) | instskip(SKIP_1) | instid1(VALU_DEP_2)
	v_fma_f64 v[75:76], v[38:39], v[46:47], -v[75:76]
	v_mul_f64_e32 v[38:39], v[38:39], v[48:49]
	v_add_f64_e32 v[56:57], v[56:57], v[75:76]
	s_delay_alu instid0(VALU_DEP_2) | instskip(NEXT) | instid1(VALU_DEP_1)
	v_fma_f64 v[38:39], v[40:41], v[46:47], v[38:39]
	v_add_f64_e32 v[54:55], v[38:39], v[54:55]
	ds_load_b128 v[38:41], v60 offset:8304
	s_wait_dscnt 0x0
	v_mul_f64_e32 v[75:76], v[40:41], v[44:45]
	v_mul_f64_e32 v[44:45], v[38:39], v[44:45]
	s_delay_alu instid0(VALU_DEP_2) | instskip(NEXT) | instid1(VALU_DEP_2)
	v_fma_f64 v[75:76], v[38:39], v[42:43], -v[75:76]
	v_fma_f64 v[42:43], v[40:41], v[42:43], v[44:45]
	s_delay_alu instid0(VALU_DEP_2) | instskip(NEXT) | instid1(VALU_DEP_2)
	v_add_f64_e32 v[69:70], v[69:70], v[75:76]
	v_add_f64_e32 v[71:72], v[42:43], v[71:72]
	v_mul_f64_e32 v[42:43], v[40:41], v[48:49]
	s_delay_alu instid0(VALU_DEP_1) | instskip(SKIP_1) | instid1(VALU_DEP_2)
	v_fma_f64 v[42:43], v[38:39], v[46:47], -v[42:43]
	v_mul_f64_e32 v[38:39], v[38:39], v[48:49]
	v_add_f64_e32 v[50:51], v[50:51], v[42:43]
	s_delay_alu instid0(VALU_DEP_2) | instskip(NEXT) | instid1(VALU_DEP_1)
	v_fma_f64 v[38:39], v[40:41], v[46:47], v[38:39]
	v_add_f64_e32 v[52:53], v[38:39], v[52:53]
	ds_load_b128 v[38:41], v60 offset:128
	ds_load_b128 v[42:45], v59 offset:4096
	s_wait_dscnt 0x0
	v_mul_f64_e32 v[46:47], v[40:41], v[44:45]
	v_mul_f64_e32 v[48:49], v[38:39], v[44:45]
	s_delay_alu instid0(VALU_DEP_2) | instskip(NEXT) | instid1(VALU_DEP_2)
	v_fma_f64 v[46:47], v[38:39], v[42:43], -v[46:47]
	v_fma_f64 v[48:49], v[40:41], v[42:43], v[48:49]
	s_delay_alu instid0(VALU_DEP_2) | instskip(NEXT) | instid1(VALU_DEP_2)
	v_add_f64_e32 v[2:3], v[2:3], v[46:47]
	v_add_f64_e32 v[73:74], v[48:49], v[73:74]
	ds_load_b128 v[46:49], v59 offset:4352
	s_wait_dscnt 0x0
	v_mul_f64_e32 v[75:76], v[40:41], v[48:49]
	s_delay_alu instid0(VALU_DEP_1) | instskip(SKIP_1) | instid1(VALU_DEP_2)
	v_fma_f64 v[75:76], v[38:39], v[46:47], -v[75:76]
	v_mul_f64_e32 v[38:39], v[38:39], v[48:49]
	v_add_f64_e32 v[56:57], v[56:57], v[75:76]
	s_delay_alu instid0(VALU_DEP_2) | instskip(NEXT) | instid1(VALU_DEP_1)
	v_fma_f64 v[38:39], v[40:41], v[46:47], v[38:39]
	v_add_f64_e32 v[54:55], v[38:39], v[54:55]
	ds_load_b128 v[38:41], v60 offset:8320
	s_wait_dscnt 0x0
	v_mul_f64_e32 v[75:76], v[40:41], v[44:45]
	v_mul_f64_e32 v[44:45], v[38:39], v[44:45]
	s_delay_alu instid0(VALU_DEP_2) | instskip(NEXT) | instid1(VALU_DEP_2)
	v_fma_f64 v[75:76], v[38:39], v[42:43], -v[75:76]
	v_fma_f64 v[42:43], v[40:41], v[42:43], v[44:45]
	s_delay_alu instid0(VALU_DEP_2) | instskip(NEXT) | instid1(VALU_DEP_2)
	v_add_f64_e32 v[69:70], v[69:70], v[75:76]
	v_add_f64_e32 v[71:72], v[42:43], v[71:72]
	v_mul_f64_e32 v[42:43], v[40:41], v[48:49]
	s_delay_alu instid0(VALU_DEP_1) | instskip(SKIP_1) | instid1(VALU_DEP_2)
	v_fma_f64 v[42:43], v[38:39], v[46:47], -v[42:43]
	v_mul_f64_e32 v[38:39], v[38:39], v[48:49]
	v_add_f64_e32 v[50:51], v[50:51], v[42:43]
	s_delay_alu instid0(VALU_DEP_2) | instskip(NEXT) | instid1(VALU_DEP_1)
	v_fma_f64 v[38:39], v[40:41], v[46:47], v[38:39]
	v_add_f64_e32 v[52:53], v[38:39], v[52:53]
	ds_load_b128 v[38:41], v60 offset:144
	ds_load_b128 v[42:45], v59 offset:4608
	s_wait_dscnt 0x0
	v_mul_f64_e32 v[46:47], v[40:41], v[44:45]
	v_mul_f64_e32 v[48:49], v[38:39], v[44:45]
	s_delay_alu instid0(VALU_DEP_2) | instskip(NEXT) | instid1(VALU_DEP_2)
	v_fma_f64 v[46:47], v[38:39], v[42:43], -v[46:47]
	v_fma_f64 v[48:49], v[40:41], v[42:43], v[48:49]
	s_delay_alu instid0(VALU_DEP_2) | instskip(NEXT) | instid1(VALU_DEP_2)
	v_add_f64_e32 v[2:3], v[2:3], v[46:47]
	v_add_f64_e32 v[73:74], v[48:49], v[73:74]
	ds_load_b128 v[46:49], v59 offset:4864
	s_wait_dscnt 0x0
	v_mul_f64_e32 v[75:76], v[40:41], v[48:49]
	s_delay_alu instid0(VALU_DEP_1) | instskip(SKIP_1) | instid1(VALU_DEP_2)
	v_fma_f64 v[75:76], v[38:39], v[46:47], -v[75:76]
	v_mul_f64_e32 v[38:39], v[38:39], v[48:49]
	v_add_f64_e32 v[56:57], v[56:57], v[75:76]
	s_delay_alu instid0(VALU_DEP_2) | instskip(NEXT) | instid1(VALU_DEP_1)
	v_fma_f64 v[38:39], v[40:41], v[46:47], v[38:39]
	v_add_f64_e32 v[54:55], v[38:39], v[54:55]
	ds_load_b128 v[38:41], v60 offset:8336
	s_wait_dscnt 0x0
	v_mul_f64_e32 v[75:76], v[40:41], v[44:45]
	v_mul_f64_e32 v[44:45], v[38:39], v[44:45]
	s_delay_alu instid0(VALU_DEP_2) | instskip(NEXT) | instid1(VALU_DEP_2)
	v_fma_f64 v[75:76], v[38:39], v[42:43], -v[75:76]
	v_fma_f64 v[42:43], v[40:41], v[42:43], v[44:45]
	s_delay_alu instid0(VALU_DEP_2) | instskip(NEXT) | instid1(VALU_DEP_2)
	v_add_f64_e32 v[69:70], v[69:70], v[75:76]
	v_add_f64_e32 v[71:72], v[42:43], v[71:72]
	v_mul_f64_e32 v[42:43], v[40:41], v[48:49]
	s_delay_alu instid0(VALU_DEP_1) | instskip(SKIP_1) | instid1(VALU_DEP_2)
	v_fma_f64 v[42:43], v[38:39], v[46:47], -v[42:43]
	v_mul_f64_e32 v[38:39], v[38:39], v[48:49]
	v_add_f64_e32 v[50:51], v[50:51], v[42:43]
	s_delay_alu instid0(VALU_DEP_2) | instskip(NEXT) | instid1(VALU_DEP_1)
	v_fma_f64 v[38:39], v[40:41], v[46:47], v[38:39]
	v_add_f64_e32 v[52:53], v[38:39], v[52:53]
	ds_load_b128 v[38:41], v60 offset:160
	ds_load_b128 v[42:45], v59 offset:5120
	s_wait_dscnt 0x0
	v_mul_f64_e32 v[46:47], v[40:41], v[44:45]
	v_mul_f64_e32 v[48:49], v[38:39], v[44:45]
	s_delay_alu instid0(VALU_DEP_2) | instskip(NEXT) | instid1(VALU_DEP_2)
	v_fma_f64 v[46:47], v[38:39], v[42:43], -v[46:47]
	v_fma_f64 v[48:49], v[40:41], v[42:43], v[48:49]
	s_delay_alu instid0(VALU_DEP_2) | instskip(NEXT) | instid1(VALU_DEP_2)
	v_add_f64_e32 v[2:3], v[2:3], v[46:47]
	v_add_f64_e32 v[73:74], v[48:49], v[73:74]
	ds_load_b128 v[46:49], v59 offset:5376
	s_wait_dscnt 0x0
	v_mul_f64_e32 v[75:76], v[40:41], v[48:49]
	s_delay_alu instid0(VALU_DEP_1) | instskip(SKIP_1) | instid1(VALU_DEP_2)
	v_fma_f64 v[75:76], v[38:39], v[46:47], -v[75:76]
	v_mul_f64_e32 v[38:39], v[38:39], v[48:49]
	v_add_f64_e32 v[56:57], v[56:57], v[75:76]
	s_delay_alu instid0(VALU_DEP_2) | instskip(NEXT) | instid1(VALU_DEP_1)
	v_fma_f64 v[38:39], v[40:41], v[46:47], v[38:39]
	v_add_f64_e32 v[54:55], v[38:39], v[54:55]
	ds_load_b128 v[38:41], v60 offset:8352
	s_wait_dscnt 0x0
	v_mul_f64_e32 v[75:76], v[40:41], v[44:45]
	v_mul_f64_e32 v[44:45], v[38:39], v[44:45]
	s_delay_alu instid0(VALU_DEP_2) | instskip(NEXT) | instid1(VALU_DEP_2)
	v_fma_f64 v[75:76], v[38:39], v[42:43], -v[75:76]
	v_fma_f64 v[42:43], v[40:41], v[42:43], v[44:45]
	s_delay_alu instid0(VALU_DEP_2) | instskip(NEXT) | instid1(VALU_DEP_2)
	v_add_f64_e32 v[69:70], v[69:70], v[75:76]
	v_add_f64_e32 v[71:72], v[42:43], v[71:72]
	v_mul_f64_e32 v[42:43], v[40:41], v[48:49]
	s_delay_alu instid0(VALU_DEP_1) | instskip(SKIP_1) | instid1(VALU_DEP_2)
	v_fma_f64 v[42:43], v[38:39], v[46:47], -v[42:43]
	v_mul_f64_e32 v[38:39], v[38:39], v[48:49]
	v_add_f64_e32 v[50:51], v[50:51], v[42:43]
	s_delay_alu instid0(VALU_DEP_2) | instskip(NEXT) | instid1(VALU_DEP_1)
	v_fma_f64 v[38:39], v[40:41], v[46:47], v[38:39]
	v_add_f64_e32 v[52:53], v[38:39], v[52:53]
	ds_load_b128 v[38:41], v60 offset:176
	ds_load_b128 v[42:45], v59 offset:5632
	s_wait_dscnt 0x0
	v_mul_f64_e32 v[46:47], v[40:41], v[44:45]
	v_mul_f64_e32 v[48:49], v[38:39], v[44:45]
	s_delay_alu instid0(VALU_DEP_2) | instskip(NEXT) | instid1(VALU_DEP_2)
	v_fma_f64 v[46:47], v[38:39], v[42:43], -v[46:47]
	v_fma_f64 v[48:49], v[40:41], v[42:43], v[48:49]
	s_delay_alu instid0(VALU_DEP_2) | instskip(NEXT) | instid1(VALU_DEP_2)
	v_add_f64_e32 v[2:3], v[2:3], v[46:47]
	v_add_f64_e32 v[73:74], v[48:49], v[73:74]
	ds_load_b128 v[46:49], v59 offset:5888
	s_wait_dscnt 0x0
	v_mul_f64_e32 v[75:76], v[40:41], v[48:49]
	s_delay_alu instid0(VALU_DEP_1) | instskip(SKIP_1) | instid1(VALU_DEP_2)
	v_fma_f64 v[75:76], v[38:39], v[46:47], -v[75:76]
	v_mul_f64_e32 v[38:39], v[38:39], v[48:49]
	v_add_f64_e32 v[56:57], v[56:57], v[75:76]
	s_delay_alu instid0(VALU_DEP_2) | instskip(NEXT) | instid1(VALU_DEP_1)
	v_fma_f64 v[38:39], v[40:41], v[46:47], v[38:39]
	v_add_f64_e32 v[54:55], v[38:39], v[54:55]
	ds_load_b128 v[38:41], v60 offset:8368
	s_wait_dscnt 0x0
	v_mul_f64_e32 v[75:76], v[40:41], v[44:45]
	v_mul_f64_e32 v[44:45], v[38:39], v[44:45]
	s_delay_alu instid0(VALU_DEP_2) | instskip(NEXT) | instid1(VALU_DEP_2)
	v_fma_f64 v[75:76], v[38:39], v[42:43], -v[75:76]
	v_fma_f64 v[42:43], v[40:41], v[42:43], v[44:45]
	s_delay_alu instid0(VALU_DEP_2) | instskip(NEXT) | instid1(VALU_DEP_2)
	v_add_f64_e32 v[69:70], v[69:70], v[75:76]
	v_add_f64_e32 v[71:72], v[42:43], v[71:72]
	v_mul_f64_e32 v[42:43], v[40:41], v[48:49]
	s_delay_alu instid0(VALU_DEP_1) | instskip(SKIP_1) | instid1(VALU_DEP_2)
	v_fma_f64 v[42:43], v[38:39], v[46:47], -v[42:43]
	v_mul_f64_e32 v[38:39], v[38:39], v[48:49]
	v_add_f64_e32 v[50:51], v[50:51], v[42:43]
	s_delay_alu instid0(VALU_DEP_2) | instskip(NEXT) | instid1(VALU_DEP_1)
	v_fma_f64 v[38:39], v[40:41], v[46:47], v[38:39]
	v_add_f64_e32 v[52:53], v[38:39], v[52:53]
	ds_load_b128 v[38:41], v60 offset:192
	ds_load_b128 v[42:45], v59 offset:6144
	s_wait_dscnt 0x0
	v_mul_f64_e32 v[46:47], v[40:41], v[44:45]
	v_mul_f64_e32 v[48:49], v[38:39], v[44:45]
	s_delay_alu instid0(VALU_DEP_2) | instskip(NEXT) | instid1(VALU_DEP_2)
	v_fma_f64 v[46:47], v[38:39], v[42:43], -v[46:47]
	v_fma_f64 v[48:49], v[40:41], v[42:43], v[48:49]
	s_delay_alu instid0(VALU_DEP_2) | instskip(NEXT) | instid1(VALU_DEP_2)
	v_add_f64_e32 v[2:3], v[2:3], v[46:47]
	v_add_f64_e32 v[73:74], v[48:49], v[73:74]
	ds_load_b128 v[46:49], v59 offset:6400
	s_wait_dscnt 0x0
	v_mul_f64_e32 v[75:76], v[40:41], v[48:49]
	s_delay_alu instid0(VALU_DEP_1) | instskip(SKIP_1) | instid1(VALU_DEP_2)
	v_fma_f64 v[75:76], v[38:39], v[46:47], -v[75:76]
	v_mul_f64_e32 v[38:39], v[38:39], v[48:49]
	v_add_f64_e32 v[56:57], v[56:57], v[75:76]
	s_delay_alu instid0(VALU_DEP_2) | instskip(NEXT) | instid1(VALU_DEP_1)
	v_fma_f64 v[38:39], v[40:41], v[46:47], v[38:39]
	v_add_f64_e32 v[54:55], v[38:39], v[54:55]
	ds_load_b128 v[38:41], v60 offset:8384
	s_wait_dscnt 0x0
	v_mul_f64_e32 v[75:76], v[40:41], v[44:45]
	v_mul_f64_e32 v[44:45], v[38:39], v[44:45]
	s_delay_alu instid0(VALU_DEP_2) | instskip(NEXT) | instid1(VALU_DEP_2)
	v_fma_f64 v[75:76], v[38:39], v[42:43], -v[75:76]
	v_fma_f64 v[42:43], v[40:41], v[42:43], v[44:45]
	s_delay_alu instid0(VALU_DEP_2) | instskip(NEXT) | instid1(VALU_DEP_2)
	v_add_f64_e32 v[69:70], v[69:70], v[75:76]
	v_add_f64_e32 v[71:72], v[42:43], v[71:72]
	v_mul_f64_e32 v[42:43], v[40:41], v[48:49]
	s_delay_alu instid0(VALU_DEP_1) | instskip(SKIP_1) | instid1(VALU_DEP_2)
	v_fma_f64 v[42:43], v[38:39], v[46:47], -v[42:43]
	v_mul_f64_e32 v[38:39], v[38:39], v[48:49]
	v_add_f64_e32 v[50:51], v[50:51], v[42:43]
	s_delay_alu instid0(VALU_DEP_2) | instskip(NEXT) | instid1(VALU_DEP_1)
	v_fma_f64 v[38:39], v[40:41], v[46:47], v[38:39]
	v_add_f64_e32 v[52:53], v[38:39], v[52:53]
	ds_load_b128 v[38:41], v60 offset:208
	ds_load_b128 v[42:45], v59 offset:6656
	s_wait_dscnt 0x0
	v_mul_f64_e32 v[46:47], v[40:41], v[44:45]
	v_mul_f64_e32 v[48:49], v[38:39], v[44:45]
	s_delay_alu instid0(VALU_DEP_2) | instskip(NEXT) | instid1(VALU_DEP_2)
	v_fma_f64 v[46:47], v[38:39], v[42:43], -v[46:47]
	v_fma_f64 v[48:49], v[40:41], v[42:43], v[48:49]
	s_delay_alu instid0(VALU_DEP_2) | instskip(NEXT) | instid1(VALU_DEP_2)
	v_add_f64_e32 v[2:3], v[2:3], v[46:47]
	v_add_f64_e32 v[73:74], v[48:49], v[73:74]
	ds_load_b128 v[46:49], v59 offset:6912
	s_wait_dscnt 0x0
	v_mul_f64_e32 v[75:76], v[40:41], v[48:49]
	s_delay_alu instid0(VALU_DEP_1) | instskip(SKIP_1) | instid1(VALU_DEP_2)
	v_fma_f64 v[75:76], v[38:39], v[46:47], -v[75:76]
	v_mul_f64_e32 v[38:39], v[38:39], v[48:49]
	v_add_f64_e32 v[56:57], v[56:57], v[75:76]
	s_delay_alu instid0(VALU_DEP_2) | instskip(NEXT) | instid1(VALU_DEP_1)
	v_fma_f64 v[38:39], v[40:41], v[46:47], v[38:39]
	v_add_f64_e32 v[54:55], v[38:39], v[54:55]
	ds_load_b128 v[38:41], v60 offset:8400
	s_wait_dscnt 0x0
	v_mul_f64_e32 v[75:76], v[40:41], v[44:45]
	v_mul_f64_e32 v[44:45], v[38:39], v[44:45]
	s_delay_alu instid0(VALU_DEP_2) | instskip(NEXT) | instid1(VALU_DEP_2)
	v_fma_f64 v[75:76], v[38:39], v[42:43], -v[75:76]
	v_fma_f64 v[42:43], v[40:41], v[42:43], v[44:45]
	s_delay_alu instid0(VALU_DEP_2) | instskip(NEXT) | instid1(VALU_DEP_2)
	v_add_f64_e32 v[69:70], v[69:70], v[75:76]
	v_add_f64_e32 v[71:72], v[42:43], v[71:72]
	v_mul_f64_e32 v[42:43], v[40:41], v[48:49]
	s_delay_alu instid0(VALU_DEP_1) | instskip(SKIP_1) | instid1(VALU_DEP_2)
	v_fma_f64 v[42:43], v[38:39], v[46:47], -v[42:43]
	v_mul_f64_e32 v[38:39], v[38:39], v[48:49]
	v_add_f64_e32 v[50:51], v[50:51], v[42:43]
	s_delay_alu instid0(VALU_DEP_2) | instskip(NEXT) | instid1(VALU_DEP_1)
	v_fma_f64 v[38:39], v[40:41], v[46:47], v[38:39]
	v_add_f64_e32 v[52:53], v[38:39], v[52:53]
	ds_load_b128 v[38:41], v60 offset:224
	ds_load_b128 v[42:45], v59 offset:7168
	s_wait_dscnt 0x0
	v_mul_f64_e32 v[46:47], v[40:41], v[44:45]
	v_mul_f64_e32 v[48:49], v[38:39], v[44:45]
	s_delay_alu instid0(VALU_DEP_2) | instskip(NEXT) | instid1(VALU_DEP_2)
	v_fma_f64 v[46:47], v[38:39], v[42:43], -v[46:47]
	v_fma_f64 v[48:49], v[40:41], v[42:43], v[48:49]
	s_delay_alu instid0(VALU_DEP_2) | instskip(NEXT) | instid1(VALU_DEP_2)
	v_add_f64_e32 v[2:3], v[2:3], v[46:47]
	v_add_f64_e32 v[73:74], v[48:49], v[73:74]
	ds_load_b128 v[46:49], v59 offset:7424
	s_wait_dscnt 0x0
	v_mul_f64_e32 v[75:76], v[40:41], v[48:49]
	s_delay_alu instid0(VALU_DEP_1) | instskip(SKIP_1) | instid1(VALU_DEP_2)
	v_fma_f64 v[75:76], v[38:39], v[46:47], -v[75:76]
	v_mul_f64_e32 v[38:39], v[38:39], v[48:49]
	v_add_f64_e32 v[56:57], v[56:57], v[75:76]
	s_delay_alu instid0(VALU_DEP_2) | instskip(NEXT) | instid1(VALU_DEP_1)
	v_fma_f64 v[38:39], v[40:41], v[46:47], v[38:39]
	v_add_f64_e32 v[54:55], v[38:39], v[54:55]
	ds_load_b128 v[38:41], v60 offset:8416
	s_wait_dscnt 0x0
	v_mul_f64_e32 v[75:76], v[40:41], v[44:45]
	v_mul_f64_e32 v[44:45], v[38:39], v[44:45]
	s_delay_alu instid0(VALU_DEP_2) | instskip(NEXT) | instid1(VALU_DEP_2)
	v_fma_f64 v[75:76], v[38:39], v[42:43], -v[75:76]
	v_fma_f64 v[42:43], v[40:41], v[42:43], v[44:45]
	s_delay_alu instid0(VALU_DEP_2) | instskip(NEXT) | instid1(VALU_DEP_2)
	v_add_f64_e32 v[69:70], v[69:70], v[75:76]
	v_add_f64_e32 v[71:72], v[42:43], v[71:72]
	v_mul_f64_e32 v[42:43], v[40:41], v[48:49]
	s_delay_alu instid0(VALU_DEP_1) | instskip(SKIP_1) | instid1(VALU_DEP_2)
	v_fma_f64 v[42:43], v[38:39], v[46:47], -v[42:43]
	v_mul_f64_e32 v[38:39], v[38:39], v[48:49]
	v_add_f64_e32 v[50:51], v[50:51], v[42:43]
	s_delay_alu instid0(VALU_DEP_2) | instskip(NEXT) | instid1(VALU_DEP_1)
	v_fma_f64 v[38:39], v[40:41], v[46:47], v[38:39]
	v_add_f64_e32 v[52:53], v[38:39], v[52:53]
	ds_load_b128 v[38:41], v60 offset:240
	ds_load_b128 v[42:45], v59 offset:7680
	s_wait_dscnt 0x0
	v_mul_f64_e32 v[46:47], v[40:41], v[44:45]
	v_mul_f64_e32 v[48:49], v[38:39], v[44:45]
	s_delay_alu instid0(VALU_DEP_2) | instskip(NEXT) | instid1(VALU_DEP_2)
	v_fma_f64 v[46:47], v[38:39], v[42:43], -v[46:47]
	v_fma_f64 v[48:49], v[40:41], v[42:43], v[48:49]
	s_delay_alu instid0(VALU_DEP_2) | instskip(NEXT) | instid1(VALU_DEP_2)
	v_add_f64_e32 v[2:3], v[2:3], v[46:47]
	v_add_f64_e32 v[73:74], v[48:49], v[73:74]
	ds_load_b128 v[46:49], v59 offset:7936
	s_wait_dscnt 0x0
	v_mul_f64_e32 v[75:76], v[40:41], v[48:49]
	s_delay_alu instid0(VALU_DEP_1) | instskip(SKIP_1) | instid1(VALU_DEP_2)
	v_fma_f64 v[75:76], v[38:39], v[46:47], -v[75:76]
	v_mul_f64_e32 v[38:39], v[38:39], v[48:49]
	v_add_f64_e32 v[56:57], v[56:57], v[75:76]
	s_delay_alu instid0(VALU_DEP_2) | instskip(NEXT) | instid1(VALU_DEP_1)
	v_fma_f64 v[38:39], v[40:41], v[46:47], v[38:39]
	v_add_f64_e32 v[54:55], v[38:39], v[54:55]
	ds_load_b128 v[38:41], v60 offset:8432
	s_wait_dscnt 0x0
	v_mul_f64_e32 v[75:76], v[40:41], v[44:45]
	v_mul_f64_e32 v[44:45], v[38:39], v[44:45]
	s_delay_alu instid0(VALU_DEP_2) | instskip(NEXT) | instid1(VALU_DEP_2)
	v_fma_f64 v[75:76], v[38:39], v[42:43], -v[75:76]
	v_fma_f64 v[42:43], v[40:41], v[42:43], v[44:45]
	s_delay_alu instid0(VALU_DEP_2) | instskip(NEXT) | instid1(VALU_DEP_2)
	v_add_f64_e32 v[69:70], v[69:70], v[75:76]
	v_add_f64_e32 v[71:72], v[42:43], v[71:72]
	v_mul_f64_e32 v[42:43], v[40:41], v[48:49]
	s_delay_alu instid0(VALU_DEP_1) | instskip(SKIP_1) | instid1(VALU_DEP_2)
	v_fma_f64 v[42:43], v[38:39], v[46:47], -v[42:43]
	v_mul_f64_e32 v[38:39], v[38:39], v[48:49]
	v_add_f64_e32 v[50:51], v[50:51], v[42:43]
	s_delay_alu instid0(VALU_DEP_2) | instskip(NEXT) | instid1(VALU_DEP_1)
	v_fma_f64 v[38:39], v[40:41], v[46:47], v[38:39]
	v_add_f64_e32 v[52:53], v[38:39], v[52:53]
	ds_load_b128 v[38:41], v60 offset:256
	ds_load_b128 v[42:45], v59 offset:8192
	s_wait_dscnt 0x0
	v_mul_f64_e32 v[46:47], v[40:41], v[44:45]
	v_mul_f64_e32 v[48:49], v[38:39], v[44:45]
	s_delay_alu instid0(VALU_DEP_2) | instskip(NEXT) | instid1(VALU_DEP_2)
	v_fma_f64 v[46:47], v[38:39], v[42:43], -v[46:47]
	v_fma_f64 v[48:49], v[40:41], v[42:43], v[48:49]
	s_delay_alu instid0(VALU_DEP_2) | instskip(NEXT) | instid1(VALU_DEP_2)
	v_add_f64_e32 v[2:3], v[2:3], v[46:47]
	v_add_f64_e32 v[73:74], v[48:49], v[73:74]
	ds_load_b128 v[46:49], v59 offset:8448
	s_wait_dscnt 0x0
	v_mul_f64_e32 v[75:76], v[40:41], v[48:49]
	s_delay_alu instid0(VALU_DEP_1) | instskip(SKIP_1) | instid1(VALU_DEP_2)
	v_fma_f64 v[75:76], v[38:39], v[46:47], -v[75:76]
	v_mul_f64_e32 v[38:39], v[38:39], v[48:49]
	v_add_f64_e32 v[56:57], v[56:57], v[75:76]
	s_delay_alu instid0(VALU_DEP_2) | instskip(NEXT) | instid1(VALU_DEP_1)
	v_fma_f64 v[38:39], v[40:41], v[46:47], v[38:39]
	v_add_f64_e32 v[54:55], v[38:39], v[54:55]
	ds_load_b128 v[38:41], v60 offset:8448
	s_wait_dscnt 0x0
	v_mul_f64_e32 v[75:76], v[40:41], v[44:45]
	v_mul_f64_e32 v[44:45], v[38:39], v[44:45]
	s_delay_alu instid0(VALU_DEP_2) | instskip(NEXT) | instid1(VALU_DEP_2)
	v_fma_f64 v[75:76], v[38:39], v[42:43], -v[75:76]
	v_fma_f64 v[42:43], v[40:41], v[42:43], v[44:45]
	s_delay_alu instid0(VALU_DEP_2) | instskip(NEXT) | instid1(VALU_DEP_2)
	v_add_f64_e32 v[69:70], v[69:70], v[75:76]
	v_add_f64_e32 v[71:72], v[42:43], v[71:72]
	v_mul_f64_e32 v[42:43], v[40:41], v[48:49]
	s_delay_alu instid0(VALU_DEP_1) | instskip(SKIP_1) | instid1(VALU_DEP_2)
	v_fma_f64 v[42:43], v[38:39], v[46:47], -v[42:43]
	v_mul_f64_e32 v[38:39], v[38:39], v[48:49]
	v_add_f64_e32 v[50:51], v[50:51], v[42:43]
	s_delay_alu instid0(VALU_DEP_2) | instskip(NEXT) | instid1(VALU_DEP_1)
	v_fma_f64 v[38:39], v[40:41], v[46:47], v[38:39]
	v_add_f64_e32 v[52:53], v[38:39], v[52:53]
	ds_load_b128 v[38:41], v60 offset:272
	ds_load_b128 v[42:45], v59 offset:8704
	s_wait_dscnt 0x0
	v_mul_f64_e32 v[46:47], v[40:41], v[44:45]
	v_mul_f64_e32 v[48:49], v[38:39], v[44:45]
	s_delay_alu instid0(VALU_DEP_2) | instskip(NEXT) | instid1(VALU_DEP_2)
	v_fma_f64 v[46:47], v[38:39], v[42:43], -v[46:47]
	v_fma_f64 v[48:49], v[40:41], v[42:43], v[48:49]
	s_delay_alu instid0(VALU_DEP_2) | instskip(NEXT) | instid1(VALU_DEP_2)
	v_add_f64_e32 v[2:3], v[2:3], v[46:47]
	v_add_f64_e32 v[73:74], v[48:49], v[73:74]
	ds_load_b128 v[46:49], v59 offset:8960
	s_wait_dscnt 0x0
	v_mul_f64_e32 v[75:76], v[40:41], v[48:49]
	s_delay_alu instid0(VALU_DEP_1) | instskip(SKIP_1) | instid1(VALU_DEP_2)
	v_fma_f64 v[75:76], v[38:39], v[46:47], -v[75:76]
	v_mul_f64_e32 v[38:39], v[38:39], v[48:49]
	v_add_f64_e32 v[56:57], v[56:57], v[75:76]
	s_delay_alu instid0(VALU_DEP_2) | instskip(NEXT) | instid1(VALU_DEP_1)
	v_fma_f64 v[38:39], v[40:41], v[46:47], v[38:39]
	v_add_f64_e32 v[54:55], v[38:39], v[54:55]
	ds_load_b128 v[38:41], v60 offset:8464
	s_wait_dscnt 0x0
	v_mul_f64_e32 v[75:76], v[40:41], v[44:45]
	v_mul_f64_e32 v[44:45], v[38:39], v[44:45]
	s_delay_alu instid0(VALU_DEP_2) | instskip(NEXT) | instid1(VALU_DEP_2)
	v_fma_f64 v[75:76], v[38:39], v[42:43], -v[75:76]
	v_fma_f64 v[42:43], v[40:41], v[42:43], v[44:45]
	s_delay_alu instid0(VALU_DEP_2) | instskip(NEXT) | instid1(VALU_DEP_2)
	v_add_f64_e32 v[69:70], v[69:70], v[75:76]
	v_add_f64_e32 v[71:72], v[42:43], v[71:72]
	v_mul_f64_e32 v[42:43], v[40:41], v[48:49]
	s_delay_alu instid0(VALU_DEP_1) | instskip(SKIP_1) | instid1(VALU_DEP_2)
	v_fma_f64 v[42:43], v[38:39], v[46:47], -v[42:43]
	v_mul_f64_e32 v[38:39], v[38:39], v[48:49]
	v_add_f64_e32 v[50:51], v[50:51], v[42:43]
	s_delay_alu instid0(VALU_DEP_2) | instskip(NEXT) | instid1(VALU_DEP_1)
	v_fma_f64 v[38:39], v[40:41], v[46:47], v[38:39]
	v_add_f64_e32 v[52:53], v[38:39], v[52:53]
	ds_load_b128 v[38:41], v60 offset:288
	ds_load_b128 v[42:45], v59 offset:9216
	s_wait_dscnt 0x0
	v_mul_f64_e32 v[46:47], v[40:41], v[44:45]
	v_mul_f64_e32 v[48:49], v[38:39], v[44:45]
	s_delay_alu instid0(VALU_DEP_2) | instskip(NEXT) | instid1(VALU_DEP_2)
	v_fma_f64 v[46:47], v[38:39], v[42:43], -v[46:47]
	v_fma_f64 v[48:49], v[40:41], v[42:43], v[48:49]
	s_delay_alu instid0(VALU_DEP_2) | instskip(NEXT) | instid1(VALU_DEP_2)
	v_add_f64_e32 v[2:3], v[2:3], v[46:47]
	v_add_f64_e32 v[73:74], v[48:49], v[73:74]
	ds_load_b128 v[46:49], v59 offset:9472
	s_wait_dscnt 0x0
	v_mul_f64_e32 v[75:76], v[40:41], v[48:49]
	s_delay_alu instid0(VALU_DEP_1) | instskip(SKIP_1) | instid1(VALU_DEP_2)
	v_fma_f64 v[75:76], v[38:39], v[46:47], -v[75:76]
	v_mul_f64_e32 v[38:39], v[38:39], v[48:49]
	v_add_f64_e32 v[56:57], v[56:57], v[75:76]
	s_delay_alu instid0(VALU_DEP_2) | instskip(NEXT) | instid1(VALU_DEP_1)
	v_fma_f64 v[38:39], v[40:41], v[46:47], v[38:39]
	v_add_f64_e32 v[54:55], v[38:39], v[54:55]
	ds_load_b128 v[38:41], v60 offset:8480
	s_wait_dscnt 0x0
	v_mul_f64_e32 v[75:76], v[40:41], v[44:45]
	v_mul_f64_e32 v[44:45], v[38:39], v[44:45]
	s_delay_alu instid0(VALU_DEP_2) | instskip(NEXT) | instid1(VALU_DEP_2)
	v_fma_f64 v[75:76], v[38:39], v[42:43], -v[75:76]
	v_fma_f64 v[42:43], v[40:41], v[42:43], v[44:45]
	s_delay_alu instid0(VALU_DEP_2) | instskip(NEXT) | instid1(VALU_DEP_2)
	v_add_f64_e32 v[69:70], v[69:70], v[75:76]
	v_add_f64_e32 v[71:72], v[42:43], v[71:72]
	v_mul_f64_e32 v[42:43], v[40:41], v[48:49]
	s_delay_alu instid0(VALU_DEP_1) | instskip(SKIP_1) | instid1(VALU_DEP_2)
	v_fma_f64 v[42:43], v[38:39], v[46:47], -v[42:43]
	v_mul_f64_e32 v[38:39], v[38:39], v[48:49]
	v_add_f64_e32 v[50:51], v[50:51], v[42:43]
	s_delay_alu instid0(VALU_DEP_2) | instskip(NEXT) | instid1(VALU_DEP_1)
	v_fma_f64 v[38:39], v[40:41], v[46:47], v[38:39]
	v_add_f64_e32 v[52:53], v[38:39], v[52:53]
	ds_load_b128 v[38:41], v60 offset:304
	ds_load_b128 v[42:45], v59 offset:9728
	s_wait_dscnt 0x0
	v_mul_f64_e32 v[46:47], v[40:41], v[44:45]
	v_mul_f64_e32 v[48:49], v[38:39], v[44:45]
	s_delay_alu instid0(VALU_DEP_2) | instskip(NEXT) | instid1(VALU_DEP_2)
	v_fma_f64 v[46:47], v[38:39], v[42:43], -v[46:47]
	v_fma_f64 v[48:49], v[40:41], v[42:43], v[48:49]
	s_delay_alu instid0(VALU_DEP_2) | instskip(NEXT) | instid1(VALU_DEP_2)
	v_add_f64_e32 v[2:3], v[2:3], v[46:47]
	v_add_f64_e32 v[73:74], v[48:49], v[73:74]
	ds_load_b128 v[46:49], v59 offset:9984
	s_wait_dscnt 0x0
	v_mul_f64_e32 v[75:76], v[40:41], v[48:49]
	s_delay_alu instid0(VALU_DEP_1) | instskip(SKIP_1) | instid1(VALU_DEP_2)
	v_fma_f64 v[75:76], v[38:39], v[46:47], -v[75:76]
	v_mul_f64_e32 v[38:39], v[38:39], v[48:49]
	v_add_f64_e32 v[56:57], v[56:57], v[75:76]
	s_delay_alu instid0(VALU_DEP_2) | instskip(NEXT) | instid1(VALU_DEP_1)
	v_fma_f64 v[38:39], v[40:41], v[46:47], v[38:39]
	v_add_f64_e32 v[54:55], v[38:39], v[54:55]
	ds_load_b128 v[38:41], v60 offset:8496
	s_wait_dscnt 0x0
	v_mul_f64_e32 v[75:76], v[40:41], v[44:45]
	v_mul_f64_e32 v[44:45], v[38:39], v[44:45]
	s_delay_alu instid0(VALU_DEP_2) | instskip(NEXT) | instid1(VALU_DEP_2)
	v_fma_f64 v[75:76], v[38:39], v[42:43], -v[75:76]
	v_fma_f64 v[42:43], v[40:41], v[42:43], v[44:45]
	s_delay_alu instid0(VALU_DEP_2) | instskip(NEXT) | instid1(VALU_DEP_2)
	v_add_f64_e32 v[69:70], v[69:70], v[75:76]
	v_add_f64_e32 v[71:72], v[42:43], v[71:72]
	v_mul_f64_e32 v[42:43], v[40:41], v[48:49]
	s_delay_alu instid0(VALU_DEP_1) | instskip(SKIP_1) | instid1(VALU_DEP_2)
	v_fma_f64 v[42:43], v[38:39], v[46:47], -v[42:43]
	v_mul_f64_e32 v[38:39], v[38:39], v[48:49]
	v_add_f64_e32 v[50:51], v[50:51], v[42:43]
	s_delay_alu instid0(VALU_DEP_2) | instskip(NEXT) | instid1(VALU_DEP_1)
	v_fma_f64 v[38:39], v[40:41], v[46:47], v[38:39]
	v_add_f64_e32 v[52:53], v[38:39], v[52:53]
	ds_load_b128 v[38:41], v60 offset:320
	ds_load_b128 v[42:45], v59 offset:10240
	s_wait_dscnt 0x0
	v_mul_f64_e32 v[46:47], v[40:41], v[44:45]
	v_mul_f64_e32 v[48:49], v[38:39], v[44:45]
	s_delay_alu instid0(VALU_DEP_2) | instskip(NEXT) | instid1(VALU_DEP_2)
	v_fma_f64 v[46:47], v[38:39], v[42:43], -v[46:47]
	v_fma_f64 v[48:49], v[40:41], v[42:43], v[48:49]
	s_delay_alu instid0(VALU_DEP_2) | instskip(NEXT) | instid1(VALU_DEP_2)
	v_add_f64_e32 v[2:3], v[2:3], v[46:47]
	v_add_f64_e32 v[73:74], v[48:49], v[73:74]
	ds_load_b128 v[46:49], v59 offset:10496
	s_wait_dscnt 0x0
	v_mul_f64_e32 v[75:76], v[40:41], v[48:49]
	s_delay_alu instid0(VALU_DEP_1) | instskip(SKIP_1) | instid1(VALU_DEP_2)
	v_fma_f64 v[75:76], v[38:39], v[46:47], -v[75:76]
	v_mul_f64_e32 v[38:39], v[38:39], v[48:49]
	v_add_f64_e32 v[56:57], v[56:57], v[75:76]
	s_delay_alu instid0(VALU_DEP_2) | instskip(NEXT) | instid1(VALU_DEP_1)
	v_fma_f64 v[38:39], v[40:41], v[46:47], v[38:39]
	v_add_f64_e32 v[54:55], v[38:39], v[54:55]
	ds_load_b128 v[38:41], v60 offset:8512
	s_wait_dscnt 0x0
	v_mul_f64_e32 v[75:76], v[40:41], v[44:45]
	v_mul_f64_e32 v[44:45], v[38:39], v[44:45]
	s_delay_alu instid0(VALU_DEP_2) | instskip(NEXT) | instid1(VALU_DEP_2)
	v_fma_f64 v[75:76], v[38:39], v[42:43], -v[75:76]
	v_fma_f64 v[42:43], v[40:41], v[42:43], v[44:45]
	s_delay_alu instid0(VALU_DEP_2) | instskip(NEXT) | instid1(VALU_DEP_2)
	v_add_f64_e32 v[69:70], v[69:70], v[75:76]
	v_add_f64_e32 v[71:72], v[42:43], v[71:72]
	v_mul_f64_e32 v[42:43], v[40:41], v[48:49]
	s_delay_alu instid0(VALU_DEP_1) | instskip(SKIP_1) | instid1(VALU_DEP_2)
	v_fma_f64 v[42:43], v[38:39], v[46:47], -v[42:43]
	v_mul_f64_e32 v[38:39], v[38:39], v[48:49]
	v_add_f64_e32 v[50:51], v[50:51], v[42:43]
	s_delay_alu instid0(VALU_DEP_2) | instskip(NEXT) | instid1(VALU_DEP_1)
	v_fma_f64 v[38:39], v[40:41], v[46:47], v[38:39]
	v_add_f64_e32 v[52:53], v[38:39], v[52:53]
	ds_load_b128 v[38:41], v60 offset:336
	ds_load_b128 v[42:45], v59 offset:10752
	s_wait_dscnt 0x0
	v_mul_f64_e32 v[46:47], v[40:41], v[44:45]
	v_mul_f64_e32 v[48:49], v[38:39], v[44:45]
	s_delay_alu instid0(VALU_DEP_2) | instskip(NEXT) | instid1(VALU_DEP_2)
	v_fma_f64 v[46:47], v[38:39], v[42:43], -v[46:47]
	v_fma_f64 v[48:49], v[40:41], v[42:43], v[48:49]
	s_delay_alu instid0(VALU_DEP_2) | instskip(NEXT) | instid1(VALU_DEP_2)
	v_add_f64_e32 v[2:3], v[2:3], v[46:47]
	v_add_f64_e32 v[73:74], v[48:49], v[73:74]
	ds_load_b128 v[46:49], v59 offset:11008
	s_wait_dscnt 0x0
	v_mul_f64_e32 v[75:76], v[40:41], v[48:49]
	s_delay_alu instid0(VALU_DEP_1) | instskip(SKIP_1) | instid1(VALU_DEP_2)
	v_fma_f64 v[75:76], v[38:39], v[46:47], -v[75:76]
	v_mul_f64_e32 v[38:39], v[38:39], v[48:49]
	v_add_f64_e32 v[56:57], v[56:57], v[75:76]
	s_delay_alu instid0(VALU_DEP_2) | instskip(NEXT) | instid1(VALU_DEP_1)
	v_fma_f64 v[38:39], v[40:41], v[46:47], v[38:39]
	v_add_f64_e32 v[54:55], v[38:39], v[54:55]
	ds_load_b128 v[38:41], v60 offset:8528
	s_wait_dscnt 0x0
	v_mul_f64_e32 v[75:76], v[40:41], v[44:45]
	v_mul_f64_e32 v[44:45], v[38:39], v[44:45]
	s_delay_alu instid0(VALU_DEP_2) | instskip(NEXT) | instid1(VALU_DEP_2)
	v_fma_f64 v[75:76], v[38:39], v[42:43], -v[75:76]
	v_fma_f64 v[42:43], v[40:41], v[42:43], v[44:45]
	s_delay_alu instid0(VALU_DEP_2) | instskip(NEXT) | instid1(VALU_DEP_2)
	v_add_f64_e32 v[69:70], v[69:70], v[75:76]
	v_add_f64_e32 v[71:72], v[42:43], v[71:72]
	v_mul_f64_e32 v[42:43], v[40:41], v[48:49]
	s_delay_alu instid0(VALU_DEP_1) | instskip(SKIP_1) | instid1(VALU_DEP_2)
	v_fma_f64 v[42:43], v[38:39], v[46:47], -v[42:43]
	v_mul_f64_e32 v[38:39], v[38:39], v[48:49]
	v_add_f64_e32 v[50:51], v[50:51], v[42:43]
	s_delay_alu instid0(VALU_DEP_2) | instskip(NEXT) | instid1(VALU_DEP_1)
	v_fma_f64 v[38:39], v[40:41], v[46:47], v[38:39]
	v_add_f64_e32 v[52:53], v[38:39], v[52:53]
	ds_load_b128 v[38:41], v60 offset:352
	ds_load_b128 v[42:45], v59 offset:11264
	s_wait_dscnt 0x0
	v_mul_f64_e32 v[46:47], v[40:41], v[44:45]
	v_mul_f64_e32 v[48:49], v[38:39], v[44:45]
	s_delay_alu instid0(VALU_DEP_2) | instskip(NEXT) | instid1(VALU_DEP_2)
	v_fma_f64 v[46:47], v[38:39], v[42:43], -v[46:47]
	v_fma_f64 v[48:49], v[40:41], v[42:43], v[48:49]
	s_delay_alu instid0(VALU_DEP_2) | instskip(NEXT) | instid1(VALU_DEP_2)
	v_add_f64_e32 v[2:3], v[2:3], v[46:47]
	v_add_f64_e32 v[73:74], v[48:49], v[73:74]
	ds_load_b128 v[46:49], v59 offset:11520
	s_wait_dscnt 0x0
	v_mul_f64_e32 v[75:76], v[40:41], v[48:49]
	s_delay_alu instid0(VALU_DEP_1) | instskip(SKIP_1) | instid1(VALU_DEP_2)
	v_fma_f64 v[75:76], v[38:39], v[46:47], -v[75:76]
	v_mul_f64_e32 v[38:39], v[38:39], v[48:49]
	v_add_f64_e32 v[56:57], v[56:57], v[75:76]
	s_delay_alu instid0(VALU_DEP_2) | instskip(NEXT) | instid1(VALU_DEP_1)
	v_fma_f64 v[38:39], v[40:41], v[46:47], v[38:39]
	v_add_f64_e32 v[54:55], v[38:39], v[54:55]
	ds_load_b128 v[38:41], v60 offset:8544
	s_wait_dscnt 0x0
	v_mul_f64_e32 v[75:76], v[40:41], v[44:45]
	v_mul_f64_e32 v[44:45], v[38:39], v[44:45]
	s_delay_alu instid0(VALU_DEP_2) | instskip(NEXT) | instid1(VALU_DEP_2)
	v_fma_f64 v[75:76], v[38:39], v[42:43], -v[75:76]
	v_fma_f64 v[42:43], v[40:41], v[42:43], v[44:45]
	s_delay_alu instid0(VALU_DEP_2) | instskip(NEXT) | instid1(VALU_DEP_2)
	v_add_f64_e32 v[69:70], v[69:70], v[75:76]
	v_add_f64_e32 v[71:72], v[42:43], v[71:72]
	v_mul_f64_e32 v[42:43], v[40:41], v[48:49]
	s_delay_alu instid0(VALU_DEP_1) | instskip(SKIP_1) | instid1(VALU_DEP_2)
	v_fma_f64 v[42:43], v[38:39], v[46:47], -v[42:43]
	v_mul_f64_e32 v[38:39], v[38:39], v[48:49]
	v_add_f64_e32 v[50:51], v[50:51], v[42:43]
	s_delay_alu instid0(VALU_DEP_2) | instskip(NEXT) | instid1(VALU_DEP_1)
	v_fma_f64 v[38:39], v[40:41], v[46:47], v[38:39]
	v_add_f64_e32 v[52:53], v[38:39], v[52:53]
	ds_load_b128 v[38:41], v60 offset:368
	ds_load_b128 v[42:45], v59 offset:11776
	s_wait_dscnt 0x0
	v_mul_f64_e32 v[46:47], v[40:41], v[44:45]
	v_mul_f64_e32 v[48:49], v[38:39], v[44:45]
	s_delay_alu instid0(VALU_DEP_2) | instskip(NEXT) | instid1(VALU_DEP_2)
	v_fma_f64 v[46:47], v[38:39], v[42:43], -v[46:47]
	v_fma_f64 v[48:49], v[40:41], v[42:43], v[48:49]
	s_delay_alu instid0(VALU_DEP_2) | instskip(NEXT) | instid1(VALU_DEP_2)
	v_add_f64_e32 v[2:3], v[2:3], v[46:47]
	v_add_f64_e32 v[73:74], v[48:49], v[73:74]
	ds_load_b128 v[46:49], v59 offset:12032
	s_wait_dscnt 0x0
	v_mul_f64_e32 v[75:76], v[40:41], v[48:49]
	s_delay_alu instid0(VALU_DEP_1) | instskip(SKIP_1) | instid1(VALU_DEP_2)
	v_fma_f64 v[75:76], v[38:39], v[46:47], -v[75:76]
	v_mul_f64_e32 v[38:39], v[38:39], v[48:49]
	v_add_f64_e32 v[56:57], v[56:57], v[75:76]
	s_delay_alu instid0(VALU_DEP_2) | instskip(NEXT) | instid1(VALU_DEP_1)
	v_fma_f64 v[38:39], v[40:41], v[46:47], v[38:39]
	v_add_f64_e32 v[54:55], v[38:39], v[54:55]
	ds_load_b128 v[38:41], v60 offset:8560
	s_wait_dscnt 0x0
	v_mul_f64_e32 v[75:76], v[40:41], v[44:45]
	v_mul_f64_e32 v[44:45], v[38:39], v[44:45]
	s_delay_alu instid0(VALU_DEP_2) | instskip(NEXT) | instid1(VALU_DEP_2)
	v_fma_f64 v[75:76], v[38:39], v[42:43], -v[75:76]
	v_fma_f64 v[42:43], v[40:41], v[42:43], v[44:45]
	s_delay_alu instid0(VALU_DEP_2) | instskip(NEXT) | instid1(VALU_DEP_2)
	v_add_f64_e32 v[69:70], v[69:70], v[75:76]
	v_add_f64_e32 v[71:72], v[42:43], v[71:72]
	v_mul_f64_e32 v[42:43], v[40:41], v[48:49]
	s_delay_alu instid0(VALU_DEP_1) | instskip(SKIP_1) | instid1(VALU_DEP_2)
	v_fma_f64 v[42:43], v[38:39], v[46:47], -v[42:43]
	v_mul_f64_e32 v[38:39], v[38:39], v[48:49]
	v_add_f64_e32 v[50:51], v[50:51], v[42:43]
	s_delay_alu instid0(VALU_DEP_2) | instskip(NEXT) | instid1(VALU_DEP_1)
	v_fma_f64 v[38:39], v[40:41], v[46:47], v[38:39]
	v_add_f64_e32 v[52:53], v[38:39], v[52:53]
	ds_load_b128 v[38:41], v60 offset:384
	ds_load_b128 v[42:45], v59 offset:12288
	s_wait_dscnt 0x0
	v_mul_f64_e32 v[46:47], v[40:41], v[44:45]
	v_mul_f64_e32 v[48:49], v[38:39], v[44:45]
	s_delay_alu instid0(VALU_DEP_2) | instskip(NEXT) | instid1(VALU_DEP_2)
	v_fma_f64 v[46:47], v[38:39], v[42:43], -v[46:47]
	v_fma_f64 v[48:49], v[40:41], v[42:43], v[48:49]
	s_delay_alu instid0(VALU_DEP_2) | instskip(NEXT) | instid1(VALU_DEP_2)
	v_add_f64_e32 v[2:3], v[2:3], v[46:47]
	v_add_f64_e32 v[73:74], v[48:49], v[73:74]
	ds_load_b128 v[46:49], v59 offset:12544
	s_wait_dscnt 0x0
	v_mul_f64_e32 v[75:76], v[40:41], v[48:49]
	s_delay_alu instid0(VALU_DEP_1) | instskip(SKIP_1) | instid1(VALU_DEP_2)
	v_fma_f64 v[75:76], v[38:39], v[46:47], -v[75:76]
	v_mul_f64_e32 v[38:39], v[38:39], v[48:49]
	v_add_f64_e32 v[56:57], v[56:57], v[75:76]
	s_delay_alu instid0(VALU_DEP_2) | instskip(NEXT) | instid1(VALU_DEP_1)
	v_fma_f64 v[38:39], v[40:41], v[46:47], v[38:39]
	v_add_f64_e32 v[54:55], v[38:39], v[54:55]
	ds_load_b128 v[38:41], v60 offset:8576
	s_wait_dscnt 0x0
	v_mul_f64_e32 v[75:76], v[40:41], v[44:45]
	v_mul_f64_e32 v[44:45], v[38:39], v[44:45]
	s_delay_alu instid0(VALU_DEP_2) | instskip(NEXT) | instid1(VALU_DEP_2)
	v_fma_f64 v[75:76], v[38:39], v[42:43], -v[75:76]
	v_fma_f64 v[42:43], v[40:41], v[42:43], v[44:45]
	s_delay_alu instid0(VALU_DEP_2) | instskip(NEXT) | instid1(VALU_DEP_2)
	v_add_f64_e32 v[69:70], v[69:70], v[75:76]
	v_add_f64_e32 v[71:72], v[42:43], v[71:72]
	v_mul_f64_e32 v[42:43], v[40:41], v[48:49]
	s_delay_alu instid0(VALU_DEP_1) | instskip(SKIP_1) | instid1(VALU_DEP_2)
	v_fma_f64 v[42:43], v[38:39], v[46:47], -v[42:43]
	v_mul_f64_e32 v[38:39], v[38:39], v[48:49]
	v_add_f64_e32 v[50:51], v[50:51], v[42:43]
	s_delay_alu instid0(VALU_DEP_2) | instskip(NEXT) | instid1(VALU_DEP_1)
	v_fma_f64 v[38:39], v[40:41], v[46:47], v[38:39]
	v_add_f64_e32 v[52:53], v[38:39], v[52:53]
	ds_load_b128 v[38:41], v60 offset:400
	ds_load_b128 v[42:45], v59 offset:12800
	s_wait_dscnt 0x0
	v_mul_f64_e32 v[46:47], v[40:41], v[44:45]
	v_mul_f64_e32 v[48:49], v[38:39], v[44:45]
	s_delay_alu instid0(VALU_DEP_2) | instskip(NEXT) | instid1(VALU_DEP_2)
	v_fma_f64 v[46:47], v[38:39], v[42:43], -v[46:47]
	v_fma_f64 v[48:49], v[40:41], v[42:43], v[48:49]
	s_delay_alu instid0(VALU_DEP_2) | instskip(NEXT) | instid1(VALU_DEP_2)
	v_add_f64_e32 v[2:3], v[2:3], v[46:47]
	v_add_f64_e32 v[73:74], v[48:49], v[73:74]
	ds_load_b128 v[46:49], v59 offset:13056
	s_wait_dscnt 0x0
	v_mul_f64_e32 v[75:76], v[40:41], v[48:49]
	s_delay_alu instid0(VALU_DEP_1) | instskip(SKIP_1) | instid1(VALU_DEP_2)
	v_fma_f64 v[75:76], v[38:39], v[46:47], -v[75:76]
	v_mul_f64_e32 v[38:39], v[38:39], v[48:49]
	v_add_f64_e32 v[56:57], v[56:57], v[75:76]
	s_delay_alu instid0(VALU_DEP_2) | instskip(NEXT) | instid1(VALU_DEP_1)
	v_fma_f64 v[38:39], v[40:41], v[46:47], v[38:39]
	v_add_f64_e32 v[54:55], v[38:39], v[54:55]
	ds_load_b128 v[38:41], v60 offset:8592
	s_wait_dscnt 0x0
	v_mul_f64_e32 v[75:76], v[40:41], v[44:45]
	v_mul_f64_e32 v[44:45], v[38:39], v[44:45]
	s_delay_alu instid0(VALU_DEP_2) | instskip(NEXT) | instid1(VALU_DEP_2)
	v_fma_f64 v[75:76], v[38:39], v[42:43], -v[75:76]
	v_fma_f64 v[42:43], v[40:41], v[42:43], v[44:45]
	s_delay_alu instid0(VALU_DEP_2) | instskip(NEXT) | instid1(VALU_DEP_2)
	v_add_f64_e32 v[69:70], v[69:70], v[75:76]
	v_add_f64_e32 v[71:72], v[42:43], v[71:72]
	v_mul_f64_e32 v[42:43], v[40:41], v[48:49]
	s_delay_alu instid0(VALU_DEP_1) | instskip(SKIP_1) | instid1(VALU_DEP_2)
	v_fma_f64 v[42:43], v[38:39], v[46:47], -v[42:43]
	v_mul_f64_e32 v[38:39], v[38:39], v[48:49]
	v_add_f64_e32 v[50:51], v[50:51], v[42:43]
	s_delay_alu instid0(VALU_DEP_2) | instskip(NEXT) | instid1(VALU_DEP_1)
	v_fma_f64 v[38:39], v[40:41], v[46:47], v[38:39]
	v_add_f64_e32 v[52:53], v[38:39], v[52:53]
	ds_load_b128 v[38:41], v60 offset:416
	ds_load_b128 v[42:45], v59 offset:13312
	s_wait_dscnt 0x0
	v_mul_f64_e32 v[46:47], v[40:41], v[44:45]
	v_mul_f64_e32 v[48:49], v[38:39], v[44:45]
	s_delay_alu instid0(VALU_DEP_2) | instskip(NEXT) | instid1(VALU_DEP_2)
	v_fma_f64 v[46:47], v[38:39], v[42:43], -v[46:47]
	v_fma_f64 v[48:49], v[40:41], v[42:43], v[48:49]
	s_delay_alu instid0(VALU_DEP_2) | instskip(NEXT) | instid1(VALU_DEP_2)
	v_add_f64_e32 v[2:3], v[2:3], v[46:47]
	v_add_f64_e32 v[73:74], v[48:49], v[73:74]
	ds_load_b128 v[46:49], v59 offset:13568
	s_wait_dscnt 0x0
	v_mul_f64_e32 v[75:76], v[40:41], v[48:49]
	s_delay_alu instid0(VALU_DEP_1) | instskip(SKIP_1) | instid1(VALU_DEP_2)
	v_fma_f64 v[75:76], v[38:39], v[46:47], -v[75:76]
	v_mul_f64_e32 v[38:39], v[38:39], v[48:49]
	v_add_f64_e32 v[56:57], v[56:57], v[75:76]
	s_delay_alu instid0(VALU_DEP_2) | instskip(NEXT) | instid1(VALU_DEP_1)
	v_fma_f64 v[38:39], v[40:41], v[46:47], v[38:39]
	v_add_f64_e32 v[54:55], v[38:39], v[54:55]
	ds_load_b128 v[38:41], v60 offset:8608
	s_wait_dscnt 0x0
	v_mul_f64_e32 v[75:76], v[40:41], v[44:45]
	v_mul_f64_e32 v[44:45], v[38:39], v[44:45]
	s_delay_alu instid0(VALU_DEP_2) | instskip(NEXT) | instid1(VALU_DEP_2)
	v_fma_f64 v[75:76], v[38:39], v[42:43], -v[75:76]
	v_fma_f64 v[42:43], v[40:41], v[42:43], v[44:45]
	s_delay_alu instid0(VALU_DEP_2) | instskip(NEXT) | instid1(VALU_DEP_2)
	v_add_f64_e32 v[69:70], v[69:70], v[75:76]
	v_add_f64_e32 v[71:72], v[42:43], v[71:72]
	v_mul_f64_e32 v[42:43], v[40:41], v[48:49]
	s_delay_alu instid0(VALU_DEP_1) | instskip(SKIP_1) | instid1(VALU_DEP_2)
	v_fma_f64 v[42:43], v[38:39], v[46:47], -v[42:43]
	v_mul_f64_e32 v[38:39], v[38:39], v[48:49]
	v_add_f64_e32 v[50:51], v[50:51], v[42:43]
	s_delay_alu instid0(VALU_DEP_2) | instskip(NEXT) | instid1(VALU_DEP_1)
	v_fma_f64 v[38:39], v[40:41], v[46:47], v[38:39]
	v_add_f64_e32 v[52:53], v[38:39], v[52:53]
	ds_load_b128 v[38:41], v60 offset:432
	ds_load_b128 v[42:45], v59 offset:13824
	s_wait_dscnt 0x0
	v_mul_f64_e32 v[46:47], v[40:41], v[44:45]
	v_mul_f64_e32 v[48:49], v[38:39], v[44:45]
	s_delay_alu instid0(VALU_DEP_2) | instskip(NEXT) | instid1(VALU_DEP_2)
	v_fma_f64 v[46:47], v[38:39], v[42:43], -v[46:47]
	v_fma_f64 v[48:49], v[40:41], v[42:43], v[48:49]
	s_delay_alu instid0(VALU_DEP_2) | instskip(NEXT) | instid1(VALU_DEP_2)
	v_add_f64_e32 v[2:3], v[2:3], v[46:47]
	v_add_f64_e32 v[73:74], v[48:49], v[73:74]
	ds_load_b128 v[46:49], v59 offset:14080
	s_wait_dscnt 0x0
	v_mul_f64_e32 v[75:76], v[40:41], v[48:49]
	s_delay_alu instid0(VALU_DEP_1) | instskip(SKIP_1) | instid1(VALU_DEP_2)
	v_fma_f64 v[75:76], v[38:39], v[46:47], -v[75:76]
	v_mul_f64_e32 v[38:39], v[38:39], v[48:49]
	v_add_f64_e32 v[56:57], v[56:57], v[75:76]
	s_delay_alu instid0(VALU_DEP_2) | instskip(NEXT) | instid1(VALU_DEP_1)
	v_fma_f64 v[38:39], v[40:41], v[46:47], v[38:39]
	v_add_f64_e32 v[54:55], v[38:39], v[54:55]
	ds_load_b128 v[38:41], v60 offset:8624
	s_wait_dscnt 0x0
	v_mul_f64_e32 v[75:76], v[40:41], v[44:45]
	v_mul_f64_e32 v[44:45], v[38:39], v[44:45]
	s_delay_alu instid0(VALU_DEP_2) | instskip(NEXT) | instid1(VALU_DEP_2)
	v_fma_f64 v[75:76], v[38:39], v[42:43], -v[75:76]
	v_fma_f64 v[42:43], v[40:41], v[42:43], v[44:45]
	s_delay_alu instid0(VALU_DEP_2) | instskip(NEXT) | instid1(VALU_DEP_2)
	v_add_f64_e32 v[69:70], v[69:70], v[75:76]
	v_add_f64_e32 v[71:72], v[42:43], v[71:72]
	v_mul_f64_e32 v[42:43], v[40:41], v[48:49]
	s_delay_alu instid0(VALU_DEP_1) | instskip(SKIP_1) | instid1(VALU_DEP_2)
	v_fma_f64 v[42:43], v[38:39], v[46:47], -v[42:43]
	v_mul_f64_e32 v[38:39], v[38:39], v[48:49]
	v_add_f64_e32 v[50:51], v[50:51], v[42:43]
	s_delay_alu instid0(VALU_DEP_2) | instskip(NEXT) | instid1(VALU_DEP_1)
	v_fma_f64 v[38:39], v[40:41], v[46:47], v[38:39]
	v_add_f64_e32 v[52:53], v[38:39], v[52:53]
	ds_load_b128 v[38:41], v60 offset:448
	ds_load_b128 v[42:45], v59 offset:14336
	s_wait_dscnt 0x0
	v_mul_f64_e32 v[46:47], v[40:41], v[44:45]
	v_mul_f64_e32 v[48:49], v[38:39], v[44:45]
	s_delay_alu instid0(VALU_DEP_2) | instskip(NEXT) | instid1(VALU_DEP_2)
	v_fma_f64 v[46:47], v[38:39], v[42:43], -v[46:47]
	v_fma_f64 v[48:49], v[40:41], v[42:43], v[48:49]
	s_delay_alu instid0(VALU_DEP_2) | instskip(NEXT) | instid1(VALU_DEP_2)
	v_add_f64_e32 v[2:3], v[2:3], v[46:47]
	v_add_f64_e32 v[73:74], v[48:49], v[73:74]
	ds_load_b128 v[46:49], v59 offset:14592
	s_wait_dscnt 0x0
	v_mul_f64_e32 v[75:76], v[40:41], v[48:49]
	s_delay_alu instid0(VALU_DEP_1) | instskip(SKIP_1) | instid1(VALU_DEP_2)
	v_fma_f64 v[75:76], v[38:39], v[46:47], -v[75:76]
	v_mul_f64_e32 v[38:39], v[38:39], v[48:49]
	v_add_f64_e32 v[56:57], v[56:57], v[75:76]
	s_delay_alu instid0(VALU_DEP_2) | instskip(NEXT) | instid1(VALU_DEP_1)
	v_fma_f64 v[38:39], v[40:41], v[46:47], v[38:39]
	v_add_f64_e32 v[54:55], v[38:39], v[54:55]
	ds_load_b128 v[38:41], v60 offset:8640
	s_wait_dscnt 0x0
	v_mul_f64_e32 v[75:76], v[40:41], v[44:45]
	v_mul_f64_e32 v[44:45], v[38:39], v[44:45]
	s_delay_alu instid0(VALU_DEP_2) | instskip(NEXT) | instid1(VALU_DEP_2)
	v_fma_f64 v[75:76], v[38:39], v[42:43], -v[75:76]
	v_fma_f64 v[42:43], v[40:41], v[42:43], v[44:45]
	s_delay_alu instid0(VALU_DEP_2) | instskip(NEXT) | instid1(VALU_DEP_2)
	v_add_f64_e32 v[69:70], v[69:70], v[75:76]
	v_add_f64_e32 v[71:72], v[42:43], v[71:72]
	v_mul_f64_e32 v[42:43], v[40:41], v[48:49]
	s_delay_alu instid0(VALU_DEP_1) | instskip(SKIP_1) | instid1(VALU_DEP_2)
	v_fma_f64 v[42:43], v[38:39], v[46:47], -v[42:43]
	v_mul_f64_e32 v[38:39], v[38:39], v[48:49]
	v_add_f64_e32 v[50:51], v[50:51], v[42:43]
	s_delay_alu instid0(VALU_DEP_2) | instskip(NEXT) | instid1(VALU_DEP_1)
	v_fma_f64 v[38:39], v[40:41], v[46:47], v[38:39]
	v_add_f64_e32 v[52:53], v[38:39], v[52:53]
	ds_load_b128 v[38:41], v60 offset:464
	ds_load_b128 v[42:45], v59 offset:14848
	s_wait_dscnt 0x0
	v_mul_f64_e32 v[46:47], v[40:41], v[44:45]
	v_mul_f64_e32 v[48:49], v[38:39], v[44:45]
	s_delay_alu instid0(VALU_DEP_2) | instskip(NEXT) | instid1(VALU_DEP_2)
	v_fma_f64 v[46:47], v[38:39], v[42:43], -v[46:47]
	v_fma_f64 v[48:49], v[40:41], v[42:43], v[48:49]
	s_delay_alu instid0(VALU_DEP_2) | instskip(NEXT) | instid1(VALU_DEP_2)
	v_add_f64_e32 v[2:3], v[2:3], v[46:47]
	v_add_f64_e32 v[73:74], v[48:49], v[73:74]
	ds_load_b128 v[46:49], v59 offset:15104
	s_wait_dscnt 0x0
	v_mul_f64_e32 v[75:76], v[40:41], v[48:49]
	s_delay_alu instid0(VALU_DEP_1) | instskip(SKIP_1) | instid1(VALU_DEP_2)
	v_fma_f64 v[75:76], v[38:39], v[46:47], -v[75:76]
	v_mul_f64_e32 v[38:39], v[38:39], v[48:49]
	v_add_f64_e32 v[56:57], v[56:57], v[75:76]
	s_delay_alu instid0(VALU_DEP_2) | instskip(NEXT) | instid1(VALU_DEP_1)
	v_fma_f64 v[38:39], v[40:41], v[46:47], v[38:39]
	v_add_f64_e32 v[54:55], v[38:39], v[54:55]
	ds_load_b128 v[38:41], v60 offset:8656
	s_wait_dscnt 0x0
	v_mul_f64_e32 v[75:76], v[40:41], v[44:45]
	v_mul_f64_e32 v[44:45], v[38:39], v[44:45]
	s_delay_alu instid0(VALU_DEP_2) | instskip(NEXT) | instid1(VALU_DEP_2)
	v_fma_f64 v[75:76], v[38:39], v[42:43], -v[75:76]
	v_fma_f64 v[42:43], v[40:41], v[42:43], v[44:45]
	s_delay_alu instid0(VALU_DEP_2) | instskip(NEXT) | instid1(VALU_DEP_2)
	v_add_f64_e32 v[69:70], v[69:70], v[75:76]
	v_add_f64_e32 v[71:72], v[42:43], v[71:72]
	v_mul_f64_e32 v[42:43], v[40:41], v[48:49]
	s_delay_alu instid0(VALU_DEP_1) | instskip(SKIP_1) | instid1(VALU_DEP_2)
	v_fma_f64 v[42:43], v[38:39], v[46:47], -v[42:43]
	v_mul_f64_e32 v[38:39], v[38:39], v[48:49]
	v_add_f64_e32 v[50:51], v[50:51], v[42:43]
	s_delay_alu instid0(VALU_DEP_2) | instskip(NEXT) | instid1(VALU_DEP_1)
	v_fma_f64 v[38:39], v[40:41], v[46:47], v[38:39]
	v_add_f64_e32 v[52:53], v[38:39], v[52:53]
	ds_load_b128 v[38:41], v60 offset:480
	ds_load_b128 v[42:45], v59 offset:15360
	s_wait_dscnt 0x0
	v_mul_f64_e32 v[46:47], v[40:41], v[44:45]
	v_mul_f64_e32 v[48:49], v[38:39], v[44:45]
	s_delay_alu instid0(VALU_DEP_2) | instskip(NEXT) | instid1(VALU_DEP_2)
	v_fma_f64 v[46:47], v[38:39], v[42:43], -v[46:47]
	v_fma_f64 v[48:49], v[40:41], v[42:43], v[48:49]
	s_delay_alu instid0(VALU_DEP_2) | instskip(NEXT) | instid1(VALU_DEP_2)
	v_add_f64_e32 v[2:3], v[2:3], v[46:47]
	v_add_f64_e32 v[73:74], v[48:49], v[73:74]
	ds_load_b128 v[46:49], v59 offset:15616
	s_wait_dscnt 0x0
	v_mul_f64_e32 v[75:76], v[40:41], v[48:49]
	s_delay_alu instid0(VALU_DEP_1) | instskip(SKIP_1) | instid1(VALU_DEP_2)
	v_fma_f64 v[75:76], v[38:39], v[46:47], -v[75:76]
	v_mul_f64_e32 v[38:39], v[38:39], v[48:49]
	v_add_f64_e32 v[56:57], v[56:57], v[75:76]
	s_delay_alu instid0(VALU_DEP_2) | instskip(NEXT) | instid1(VALU_DEP_1)
	v_fma_f64 v[38:39], v[40:41], v[46:47], v[38:39]
	v_add_f64_e32 v[54:55], v[38:39], v[54:55]
	ds_load_b128 v[38:41], v60 offset:8672
	s_wait_dscnt 0x0
	v_mul_f64_e32 v[75:76], v[40:41], v[44:45]
	v_mul_f64_e32 v[44:45], v[38:39], v[44:45]
	s_delay_alu instid0(VALU_DEP_2) | instskip(NEXT) | instid1(VALU_DEP_2)
	v_fma_f64 v[75:76], v[38:39], v[42:43], -v[75:76]
	v_fma_f64 v[42:43], v[40:41], v[42:43], v[44:45]
	s_delay_alu instid0(VALU_DEP_2) | instskip(NEXT) | instid1(VALU_DEP_2)
	v_add_f64_e32 v[69:70], v[69:70], v[75:76]
	v_add_f64_e32 v[71:72], v[42:43], v[71:72]
	v_mul_f64_e32 v[42:43], v[40:41], v[48:49]
	s_delay_alu instid0(VALU_DEP_1) | instskip(SKIP_1) | instid1(VALU_DEP_2)
	v_fma_f64 v[42:43], v[38:39], v[46:47], -v[42:43]
	v_mul_f64_e32 v[38:39], v[38:39], v[48:49]
	v_add_f64_e32 v[75:76], v[50:51], v[42:43]
	s_delay_alu instid0(VALU_DEP_2) | instskip(NEXT) | instid1(VALU_DEP_1)
	v_fma_f64 v[38:39], v[40:41], v[46:47], v[38:39]
	v_add_f64_e32 v[77:78], v[38:39], v[52:53]
	ds_load_b128 v[38:41], v60 offset:496
	ds_load_b128 v[42:45], v59 offset:15872
	s_wait_dscnt 0x0
	v_mul_f64_e32 v[46:47], v[40:41], v[44:45]
	v_mul_f64_e32 v[48:49], v[38:39], v[44:45]
	s_delay_alu instid0(VALU_DEP_2) | instskip(NEXT) | instid1(VALU_DEP_2)
	v_fma_f64 v[46:47], v[38:39], v[42:43], -v[46:47]
	v_fma_f64 v[48:49], v[40:41], v[42:43], v[48:49]
	s_delay_alu instid0(VALU_DEP_2) | instskip(NEXT) | instid1(VALU_DEP_2)
	v_add_f64_e32 v[50:51], v[2:3], v[46:47]
	v_add_f64_e32 v[52:53], v[48:49], v[73:74]
	ds_load_b128 v[46:49], v59 offset:16128
	s_wait_dscnt 0x0
	v_mul_f64_e32 v[2:3], v[40:41], v[48:49]
	s_delay_alu instid0(VALU_DEP_1) | instskip(SKIP_1) | instid1(VALU_DEP_1)
	v_fma_f64 v[2:3], v[38:39], v[46:47], -v[2:3]
	v_mul_f64_e32 v[38:39], v[38:39], v[48:49]
	v_fma_f64 v[40:41], v[40:41], v[46:47], v[38:39]
	s_delay_alu instid0(VALU_DEP_3) | instskip(NEXT) | instid1(VALU_DEP_2)
	v_add_f64_e32 v[38:39], v[56:57], v[2:3]
	v_add_f64_e32 v[40:41], v[40:41], v[54:55]
	ds_load_b128 v[54:57], v60 offset:8688
	s_wait_loadcnt_dscnt 0x0
	s_barrier_signal -1
	s_barrier_wait -1
	global_inv scope:SCOPE_SE
	v_mul_f64_e32 v[2:3], v[56:57], v[44:45]
	v_mul_f64_e32 v[44:45], v[54:55], v[44:45]
	s_delay_alu instid0(VALU_DEP_2) | instskip(NEXT) | instid1(VALU_DEP_2)
	v_fma_f64 v[2:3], v[54:55], v[42:43], -v[2:3]
	v_fma_f64 v[44:45], v[56:57], v[42:43], v[44:45]
	s_delay_alu instid0(VALU_DEP_2) | instskip(SKIP_2) | instid1(VALU_DEP_4)
	v_add_f64_e32 v[42:43], v[69:70], v[2:3]
	v_mul_f64_e32 v[2:3], v[56:57], v[48:49]
	v_mul_f64_e32 v[48:49], v[54:55], v[48:49]
	v_add_f64_e32 v[44:45], v[44:45], v[71:72]
	s_delay_alu instid0(VALU_DEP_3) | instskip(NEXT) | instid1(VALU_DEP_3)
	v_fma_f64 v[2:3], v[54:55], v[46:47], -v[2:3]
	v_fma_f64 v[46:47], v[56:57], v[46:47], v[48:49]
	s_delay_alu instid0(VALU_DEP_2) | instskip(NEXT) | instid1(VALU_DEP_2)
	v_add_f64_e32 v[48:49], v[75:76], v[2:3]
	v_add_f64_e32 v[46:47], v[46:47], v[77:78]
	s_cbranch_scc1 .LBB117_59
.LBB117_10:                             ;   Parent Loop BB117_4 Depth=1
                                        ;     Parent Loop BB117_7 Depth=2
                                        ; =>    This Inner Loop Header: Depth=3
	s_wait_alu 0xfffe
	v_add_co_u32 v56, s5, v4, s44
	s_wait_alu 0xf1ff
	v_add_co_ci_u32_e64 v57, null, s45, v5, s5
	v_cmp_eq_u64_e64 s7, s[44:45], v[12:13]
	s_delay_alu instid0(VALU_DEP_2)
	v_cmp_le_i64_e64 s6, s[42:43], v[56:57]
	v_cmp_lt_i64_e64 s5, v[56:57], v[6:7]
	s_and_b32 s56, s51, s7
	v_add_co_u32 v54, s7, v28, s36
	s_wait_alu 0xf1ff
	v_add_co_ci_u32_e64 v55, null, s37, v29, s7
	s_or_b32 s8, s6, s5
	s_wait_alu 0xfffe
	s_or_b32 s7, s8, s56
	s_wait_alu 0xfffe
	s_nor_b32 s7, s0, s7
	s_wait_alu 0xfffe
	s_and_saveexec_b32 s8, s7
	s_wait_alu 0xfffe
	s_xor_b32 s7, exec_lo, s8
	s_cbranch_execz .LBB117_12
; %bb.11:                               ;   in Loop: Header=BB117_10 Depth=3
	global_load_b128 v[69:72], v[54:55], off
	s_wait_loadcnt 0x0
	v_xor_b32_e32 v72, 0x80000000, v72
	ds_store_b128 v61, v[69:72]
.LBB117_12:                             ;   in Loop: Header=BB117_10 Depth=3
	s_wait_alu 0xfffe
	s_or_saveexec_b32 s7, s7
	s_xor_b32 s55, s56, -1
	s_wait_alu 0xfffe
	s_xor_b32 exec_lo, exec_lo, s7
	s_cbranch_execz .LBB117_18
; %bb.13:                               ;   in Loop: Header=BB117_10 Depth=3
	s_and_saveexec_b32 s8, s55
	s_wait_alu 0xfffe
	s_xor_b32 s8, exec_lo, s8
; %bb.14:                               ;   in Loop: Header=BB117_10 Depth=3
	v_dual_mov_b32 v69, v0 :: v_dual_mov_b32 v70, v0
	v_dual_mov_b32 v71, v0 :: v_dual_mov_b32 v72, v0
	ds_store_b128 v61, v[69:72]
; %bb.15:                               ;   in Loop: Header=BB117_10 Depth=3
	s_wait_alu 0xfffe
	s_and_not1_saveexec_b32 s8, s8
; %bb.16:                               ;   in Loop: Header=BB117_10 Depth=3
	v_dual_mov_b32 v2, v0 :: v_dual_mov_b32 v3, v0
	ds_store_b128 v61, v[0:3]
; %bb.17:                               ;   in Loop: Header=BB117_10 Depth=3
	s_wait_alu 0xfffe
	s_or_b32 exec_lo, exec_lo, s8
.LBB117_18:                             ;   in Loop: Header=BB117_10 Depth=3
	s_delay_alu instid0(SALU_CYCLE_1)
	s_or_b32 exec_lo, exec_lo, s7
	v_cmp_eq_u64_e64 s7, s[44:45], v[14:15]
	v_cmp_gt_i64_e64 s8, v[10:11], v[56:57]
	s_and_b32 s7, s51, s7
	s_or_b32 s6, s6, s8
	s_wait_alu 0xfffe
	s_or_b32 s6, s6, s7
	s_wait_alu 0xfffe
	s_nor_b32 s6, s3, s6
	s_wait_alu 0xfffe
	s_and_saveexec_b32 s8, s6
	s_wait_alu 0xfffe
	s_xor_b32 s8, exec_lo, s8
	s_cbranch_execz .LBB117_20
; %bb.19:                               ;   in Loop: Header=BB117_10 Depth=3
	v_add_co_u32 v2, s6, v30, s36
	s_wait_alu 0xf1ff
	v_add_co_ci_u32_e64 v3, null, s37, v31, s6
	global_load_b128 v[69:72], v[2:3], off
	s_wait_loadcnt 0x0
	v_xor_b32_e32 v72, 0x80000000, v72
	ds_store_b128 v61, v[69:72] offset:256
.LBB117_20:                             ;   in Loop: Header=BB117_10 Depth=3
	s_wait_alu 0xfffe
	s_and_not1_saveexec_b32 s6, s8
	s_cbranch_execz .LBB117_26
; %bb.21:                               ;   in Loop: Header=BB117_10 Depth=3
	s_xor_b32 s7, s7, -1
	s_wait_alu 0xfffe
	s_and_saveexec_b32 s8, s7
	s_wait_alu 0xfffe
	s_xor_b32 s7, exec_lo, s8
; %bb.22:                               ;   in Loop: Header=BB117_10 Depth=3
	v_dual_mov_b32 v69, v0 :: v_dual_mov_b32 v70, v0
	v_dual_mov_b32 v71, v0 :: v_dual_mov_b32 v72, v0
	ds_store_b128 v61, v[69:72] offset:256
; %bb.23:                               ;   in Loop: Header=BB117_10 Depth=3
	s_wait_alu 0xfffe
	s_and_not1_saveexec_b32 s7, s7
; %bb.24:                               ;   in Loop: Header=BB117_10 Depth=3
	v_dual_mov_b32 v2, v0 :: v_dual_mov_b32 v3, v0
	ds_store_b128 v61, v[0:3] offset:256
; %bb.25:                               ;   in Loop: Header=BB117_10 Depth=3
	s_wait_alu 0xfffe
	s_or_b32 exec_lo, exec_lo, s7
.LBB117_26:                             ;   in Loop: Header=BB117_10 Depth=3
	s_wait_alu 0xfffe
	s_or_b32 exec_lo, exec_lo, s6
	v_add_co_u32 v2, s6, v56, 16
	s_wait_alu 0xf1ff
	v_add_co_ci_u32_e64 v3, null, 0, v57, s6
	v_cmp_eq_u64_e64 s7, s[44:45], v[18:19]
	s_delay_alu instid0(VALU_DEP_2)
	v_cmp_le_i64_e64 s6, s[42:43], v[2:3]
	v_cmp_lt_i64_e64 s8, v[2:3], v[6:7]
	s_and_b32 s57, s51, s7
	s_or_b32 s7, s6, s8
	s_wait_alu 0xfffe
	s_or_b32 s7, s7, s57
	s_wait_alu 0xfffe
	s_nor_b32 s7, s0, s7
	s_wait_alu 0xfffe
	s_and_saveexec_b32 s8, s7
	s_wait_alu 0xfffe
	s_xor_b32 s7, exec_lo, s8
	s_cbranch_execz .LBB117_28
; %bb.27:                               ;   in Loop: Header=BB117_10 Depth=3
	global_load_b128 v[54:57], v[54:55], off offset:256
	s_wait_loadcnt 0x0
	v_xor_b32_e32 v57, 0x80000000, v57
	ds_store_b128 v61, v[54:57] offset:8192
.LBB117_28:                             ;   in Loop: Header=BB117_10 Depth=3
	s_wait_alu 0xfffe
	s_and_not1_saveexec_b32 s7, s7
	s_cbranch_execz .LBB117_34
; %bb.29:                               ;   in Loop: Header=BB117_10 Depth=3
	s_xor_b32 s8, s57, -1
	s_wait_alu 0xfffe
	s_and_saveexec_b32 s57, s8
	s_delay_alu instid0(SALU_CYCLE_1)
	s_xor_b32 s8, exec_lo, s57
; %bb.30:                               ;   in Loop: Header=BB117_10 Depth=3
	v_dual_mov_b32 v54, v0 :: v_dual_mov_b32 v55, v0
	v_dual_mov_b32 v56, v0 :: v_dual_mov_b32 v57, v0
	ds_store_b128 v61, v[54:57] offset:8192
; %bb.31:                               ;   in Loop: Header=BB117_10 Depth=3
	s_wait_alu 0xfffe
	s_and_not1_saveexec_b32 s8, s8
; %bb.32:                               ;   in Loop: Header=BB117_10 Depth=3
	v_dual_mov_b32 v2, v0 :: v_dual_mov_b32 v3, v0
	ds_store_b128 v61, v[0:3] offset:8192
; %bb.33:                               ;   in Loop: Header=BB117_10 Depth=3
	s_wait_alu 0xfffe
	s_or_b32 exec_lo, exec_lo, s8
.LBB117_34:                             ;   in Loop: Header=BB117_10 Depth=3
	s_wait_alu 0xfffe
	s_or_b32 exec_lo, exec_lo, s7
	s_or_b32 s5, s6, s5
	s_wait_alu 0xfffe
	s_or_b32 s5, s5, s56
	s_wait_alu 0xfffe
	s_nor_b32 s5, s3, s5
	s_wait_alu 0xfffe
	s_and_saveexec_b32 s6, s5
	s_wait_alu 0xfffe
	s_xor_b32 s6, exec_lo, s6
	s_cbranch_execz .LBB117_36
; %bb.35:                               ;   in Loop: Header=BB117_10 Depth=3
	v_add_co_u32 v2, s5, v30, s36
	s_wait_alu 0xf1ff
	v_add_co_ci_u32_e64 v3, null, s37, v31, s5
	global_load_b128 v[54:57], v[2:3], off offset:256
	s_wait_loadcnt 0x0
	v_xor_b32_e32 v57, 0x80000000, v57
	ds_store_b128 v61, v[54:57] offset:8448
.LBB117_36:                             ;   in Loop: Header=BB117_10 Depth=3
	s_wait_alu 0xfffe
	s_and_not1_saveexec_b32 s5, s6
	s_cbranch_execz .LBB117_42
; %bb.37:                               ;   in Loop: Header=BB117_10 Depth=3
	s_and_saveexec_b32 s6, s55
	s_wait_alu 0xfffe
	s_xor_b32 s6, exec_lo, s6
; %bb.38:                               ;   in Loop: Header=BB117_10 Depth=3
	v_dual_mov_b32 v54, v0 :: v_dual_mov_b32 v55, v0
	v_dual_mov_b32 v56, v0 :: v_dual_mov_b32 v57, v0
	ds_store_b128 v61, v[54:57] offset:8448
; %bb.39:                               ;   in Loop: Header=BB117_10 Depth=3
	s_wait_alu 0xfffe
	s_and_not1_saveexec_b32 s6, s6
; %bb.40:                               ;   in Loop: Header=BB117_10 Depth=3
	v_dual_mov_b32 v2, v0 :: v_dual_mov_b32 v3, v0
	ds_store_b128 v61, v[0:3] offset:8448
; %bb.41:                               ;   in Loop: Header=BB117_10 Depth=3
	s_wait_alu 0xfffe
	s_or_b32 exec_lo, exec_lo, s6
.LBB117_42:                             ;   in Loop: Header=BB117_10 Depth=3
	s_wait_alu 0xfffe
	s_or_b32 exec_lo, exec_lo, s5
	v_add_co_u32 v2, s5, v6, s44
	s_wait_alu 0xf1ff
	v_add_co_ci_u32_e64 v3, null, s45, v7, s5
	s_delay_alu instid0(VALU_DEP_1)
	v_cmp_gt_i64_e64 s5, s[42:43], v[2:3]
	s_and_b32 s6, vcc_lo, s5
	s_wait_alu 0xfffe
	s_xor_b32 s6, s6, -1
	s_wait_alu 0xfffe
	s_and_saveexec_b32 s7, s6
	s_wait_alu 0xfffe
	s_xor_b32 s6, exec_lo, s7
; %bb.43:                               ;   in Loop: Header=BB117_10 Depth=3
	v_dual_mov_b32 v54, v0 :: v_dual_mov_b32 v55, v0
	v_dual_mov_b32 v56, v0 :: v_dual_mov_b32 v57, v0
	ds_store_b128 v62, v[54:57]
; %bb.44:                               ;   in Loop: Header=BB117_10 Depth=3
	s_wait_alu 0xfffe
	s_or_saveexec_b32 s7, s6
	v_add_co_u32 v54, s6, v34, s36
	s_wait_alu 0xf1ff
	v_add_co_ci_u32_e64 v55, null, s37, v35, s6
	s_wait_alu 0xfffe
	s_xor_b32 exec_lo, exec_lo, s7
	s_cbranch_execz .LBB117_46
; %bb.45:                               ;   in Loop: Header=BB117_10 Depth=3
	global_load_b128 v[69:72], v[54:55], off offset:-256
	s_wait_loadcnt 0x0
	ds_store_2addr_b64 v62, v[69:70], v[71:72] offset1:1
.LBB117_46:                             ;   in Loop: Header=BB117_10 Depth=3
	s_or_b32 exec_lo, exec_lo, s7
	v_cmp_gt_i64_e64 s6, s[22:23], v[2:3]
	s_and_b32 s7, vcc_lo, s6
	s_wait_alu 0xfffe
	s_xor_b32 s7, s7, -1
	s_wait_alu 0xfffe
	s_and_saveexec_b32 s8, s7
	s_wait_alu 0xfffe
	s_xor_b32 s7, exec_lo, s8
; %bb.47:                               ;   in Loop: Header=BB117_10 Depth=3
	v_dual_mov_b32 v54, v0 :: v_dual_mov_b32 v55, v0
	v_dual_mov_b32 v56, v0 :: v_dual_mov_b32 v57, v0
	ds_store_b128 v62, v[54:57] offset:256
                                        ; implicit-def: $vgpr54_vgpr55
; %bb.48:                               ;   in Loop: Header=BB117_10 Depth=3
	s_wait_alu 0xfffe
	s_and_not1_saveexec_b32 s7, s7
	s_cbranch_execz .LBB117_50
; %bb.49:                               ;   in Loop: Header=BB117_10 Depth=3
	global_load_b128 v[54:57], v[54:55], off
	s_wait_loadcnt 0x0
	ds_store_2addr_b64 v63, v[54:55], v[56:57] offset1:1
.LBB117_50:                             ;   in Loop: Header=BB117_10 Depth=3
	s_wait_alu 0xfffe
	s_or_b32 exec_lo, exec_lo, s7
	s_and_b32 s5, s4, s5
	s_wait_alu 0xfffe
	s_xor_b32 s5, s5, -1
	s_wait_alu 0xfffe
	s_and_saveexec_b32 s7, s5
	s_wait_alu 0xfffe
	s_xor_b32 s5, exec_lo, s7
; %bb.51:                               ;   in Loop: Header=BB117_10 Depth=3
	v_dual_mov_b32 v54, v0 :: v_dual_mov_b32 v55, v0
	v_dual_mov_b32 v56, v0 :: v_dual_mov_b32 v57, v0
	ds_store_b128 v62, v[54:57] offset:8192
; %bb.52:                               ;   in Loop: Header=BB117_10 Depth=3
	s_wait_alu 0xfffe
	s_or_saveexec_b32 s7, s5
	v_add_co_u32 v2, s5, v36, s36
	s_wait_alu 0xf1ff
	v_add_co_ci_u32_e64 v3, null, s37, v37, s5
	s_wait_alu 0xfffe
	s_xor_b32 exec_lo, exec_lo, s7
	s_cbranch_execz .LBB117_54
; %bb.53:                               ;   in Loop: Header=BB117_10 Depth=3
	global_load_b128 v[54:57], v[2:3], off offset:-256
	s_wait_loadcnt 0x0
	ds_store_2addr_b64 v64, v[54:55], v[56:57] offset1:1
.LBB117_54:                             ;   in Loop: Header=BB117_10 Depth=3
	s_or_b32 exec_lo, exec_lo, s7
	s_and_b32 s5, s4, s6
	s_wait_alu 0xfffe
	s_xor_b32 s5, s5, -1
	s_wait_alu 0xfffe
	s_and_saveexec_b32 s6, s5
	s_wait_alu 0xfffe
	s_xor_b32 s5, exec_lo, s6
; %bb.55:                               ;   in Loop: Header=BB117_10 Depth=3
	v_dual_mov_b32 v54, v0 :: v_dual_mov_b32 v55, v0
	v_dual_mov_b32 v56, v0 :: v_dual_mov_b32 v57, v0
                                        ; implicit-def: $vgpr2_vgpr3
	ds_store_b128 v62, v[54:57] offset:8448
; %bb.56:                               ;   in Loop: Header=BB117_10 Depth=3
	s_wait_alu 0xfffe
	s_and_not1_saveexec_b32 s5, s5
	s_cbranch_execz .LBB117_9
; %bb.57:                               ;   in Loop: Header=BB117_10 Depth=3
	global_load_b128 v[54:57], v[2:3], off
	s_wait_loadcnt 0x0
	ds_store_2addr_b64 v65, v[54:55], v[56:57] offset1:1
	s_branch .LBB117_9
.LBB117_58:                             ;   in Loop: Header=BB117_7 Depth=2
	v_mov_b32_e32 v50, 0
	v_mov_b32_e32 v38, 0
	;; [unrolled: 1-line block ×3, first 2 shown]
	v_dual_mov_b32 v48, 0 :: v_dual_mov_b32 v51, 0
	v_dual_mov_b32 v52, 0 :: v_dual_mov_b32 v39, 0
	;; [unrolled: 1-line block ×5, first 2 shown]
	v_mov_b32_e32 v41, 0
	v_mov_b32_e32 v45, 0
	;; [unrolled: 1-line block ×3, first 2 shown]
.LBB117_59:                             ;   in Loop: Header=BB117_7 Depth=2
	v_mul_lo_u32 v33, s25, v67
	v_mul_lo_u32 v34, s24, v68
	v_mad_co_u64_u32 v[2:3], null, s24, v67, 0
	v_cmp_gt_i32_e32 vcc_lo, s38, v67
	s_delay_alu instid0(VALU_DEP_2) | instskip(NEXT) | instid1(VALU_DEP_1)
	v_add3_u32 v3, v3, v34, v33
	v_lshlrev_b64_e32 v[2:3], 4, v[2:3]
	s_delay_alu instid0(VALU_DEP_1) | instskip(SKIP_1) | instid1(VALU_DEP_2)
	v_add_co_u32 v2, s4, s18, v2
	s_wait_alu 0xf1ff
	v_add_co_ci_u32_e64 v3, null, s19, v3, s4
	s_and_b32 s4, s1, vcc_lo
	s_wait_alu 0xfffe
	s_and_saveexec_b32 s5, s4
	s_cbranch_execz .LBB117_61
; %bb.60:                               ;   in Loop: Header=BB117_7 Depth=2
	v_add_co_u32 v54, s4, v2, v16
	s_wait_alu 0xf1ff
	v_add_co_ci_u32_e64 v55, null, v3, v17, s4
	v_mul_f64_e32 v[56:57], s[30:31], v[52:53]
	v_mul_f64_e32 v[52:53], s[28:29], v[52:53]
	global_load_b128 v[33:36], v[54:55], off
	v_fma_f64 v[56:57], s[28:29], v[50:51], -v[56:57]
	v_fma_f64 v[50:51], s[30:31], v[50:51], v[52:53]
	s_wait_loadcnt 0x0
	s_delay_alu instid0(VALU_DEP_2) | instskip(NEXT) | instid1(VALU_DEP_2)
	v_add_f64_e32 v[33:34], v[33:34], v[56:57]
	v_add_f64_e32 v[35:36], v[50:51], v[35:36]
	global_store_b128 v[54:55], v[33:36], off
.LBB117_61:                             ;   in Loop: Header=BB117_7 Depth=2
	s_wait_alu 0xfffe
	s_or_b32 exec_lo, exec_lo, s5
	s_and_b32 s5, s2, vcc_lo
	s_wait_alu 0xfffe
	s_and_saveexec_b32 s4, s5
	s_cbranch_execz .LBB117_63
; %bb.62:                               ;   in Loop: Header=BB117_7 Depth=2
	v_lshlrev_b64_e32 v[33:34], 4, v[8:9]
	v_mul_f64_e32 v[50:51], s[30:31], v[40:41]
	v_mul_f64_e32 v[40:41], s[28:29], v[40:41]
	s_delay_alu instid0(VALU_DEP_3) | instskip(SKIP_1) | instid1(VALU_DEP_4)
	v_add_co_u32 v2, vcc_lo, v2, v33
	s_wait_alu 0xfffd
	v_add_co_ci_u32_e64 v3, null, v3, v34, vcc_lo
	global_load_b128 v[33:36], v[2:3], off
	v_fma_f64 v[50:51], s[28:29], v[38:39], -v[50:51]
	v_fma_f64 v[37:38], s[30:31], v[38:39], v[40:41]
	s_wait_loadcnt 0x0
	s_delay_alu instid0(VALU_DEP_2) | instskip(NEXT) | instid1(VALU_DEP_2)
	v_add_f64_e32 v[33:34], v[33:34], v[50:51]
	v_add_f64_e32 v[35:36], v[37:38], v[35:36]
	global_store_b128 v[2:3], v[33:36], off
.LBB117_63:                             ;   in Loop: Header=BB117_7 Depth=2
	s_wait_alu 0xfffe
	s_or_b32 exec_lo, exec_lo, s4
	v_add_nc_u32_e32 v33, 16, v67
	s_delay_alu instid0(VALU_DEP_1) | instskip(SKIP_3) | instid1(VALU_DEP_4)
	v_ashrrev_i32_e32 v34, 31, v33
	v_mul_lo_u32 v35, s25, v33
	v_mad_co_u64_u32 v[2:3], null, s24, v33, 0
	v_cmp_gt_i32_e32 vcc_lo, s38, v33
	v_mul_lo_u32 v34, s24, v34
	s_delay_alu instid0(VALU_DEP_1) | instskip(NEXT) | instid1(VALU_DEP_1)
	v_add3_u32 v3, v3, v34, v35
	v_lshlrev_b64_e32 v[2:3], 4, v[2:3]
	s_delay_alu instid0(VALU_DEP_1) | instskip(SKIP_1) | instid1(VALU_DEP_2)
	v_add_co_u32 v2, s4, s18, v2
	s_wait_alu 0xf1ff
	v_add_co_ci_u32_e64 v3, null, s19, v3, s4
	s_and_b32 s4, s1, vcc_lo
	s_wait_alu 0xfffe
	s_and_saveexec_b32 s5, s4
	s_cbranch_execz .LBB117_65
; %bb.64:                               ;   in Loop: Header=BB117_7 Depth=2
	v_add_co_u32 v37, s4, v2, v16
	s_wait_alu 0xf1ff
	v_add_co_ci_u32_e64 v38, null, v3, v17, s4
	v_mul_f64_e32 v[39:40], s[30:31], v[44:45]
	v_mul_f64_e32 v[44:45], s[28:29], v[44:45]
	global_load_b128 v[33:36], v[37:38], off
	v_fma_f64 v[39:40], s[28:29], v[42:43], -v[39:40]
	v_fma_f64 v[41:42], s[30:31], v[42:43], v[44:45]
	s_wait_loadcnt 0x0
	s_delay_alu instid0(VALU_DEP_2) | instskip(NEXT) | instid1(VALU_DEP_2)
	v_add_f64_e32 v[33:34], v[33:34], v[39:40]
	v_add_f64_e32 v[35:36], v[41:42], v[35:36]
	global_store_b128 v[37:38], v[33:36], off
.LBB117_65:                             ;   in Loop: Header=BB117_7 Depth=2
	s_wait_alu 0xfffe
	s_or_b32 exec_lo, exec_lo, s5
	s_and_b32 s5, s2, vcc_lo
	s_wait_alu 0xfffe
	s_and_saveexec_b32 s4, s5
	s_cbranch_execz .LBB117_6
; %bb.66:                               ;   in Loop: Header=BB117_7 Depth=2
	v_lshlrev_b64_e32 v[33:34], 4, v[8:9]
	v_mul_f64_e32 v[37:38], s[30:31], v[46:47]
	v_mul_f64_e32 v[39:40], s[28:29], v[46:47]
	s_delay_alu instid0(VALU_DEP_3) | instskip(SKIP_1) | instid1(VALU_DEP_4)
	v_add_co_u32 v2, vcc_lo, v2, v33
	s_wait_alu 0xfffd
	v_add_co_ci_u32_e64 v3, null, v3, v34, vcc_lo
	global_load_b128 v[33:36], v[2:3], off
	v_fma_f64 v[37:38], s[28:29], v[48:49], -v[37:38]
	v_fma_f64 v[39:40], s[30:31], v[48:49], v[39:40]
	s_wait_loadcnt 0x0
	s_delay_alu instid0(VALU_DEP_2) | instskip(NEXT) | instid1(VALU_DEP_2)
	v_add_f64_e32 v[33:34], v[33:34], v[37:38]
	v_add_f64_e32 v[35:36], v[39:40], v[35:36]
	global_store_b128 v[2:3], v[33:36], off
	s_branch .LBB117_6
.LBB117_67:
	s_endpgm
	.section	.rodata,"a",@progbits
	.p2align	6, 0x0
	.amdhsa_kernel _ZL30rocblas_trmm_outofplace_kernelI19rocblas_complex_numIdELi32ELi2ELb1ELb0ELb1ELb1ES1_KS1_S1_Ev17rocblas_diagonal_iiT6_lPT7_lllS6_lllPT8_llli
		.amdhsa_group_segment_fixed_size 32768
		.amdhsa_private_segment_fixed_size 0
		.amdhsa_kernarg_size 400
		.amdhsa_user_sgpr_count 2
		.amdhsa_user_sgpr_dispatch_ptr 0
		.amdhsa_user_sgpr_queue_ptr 0
		.amdhsa_user_sgpr_kernarg_segment_ptr 1
		.amdhsa_user_sgpr_dispatch_id 0
		.amdhsa_user_sgpr_private_segment_size 0
		.amdhsa_wavefront_size32 1
		.amdhsa_uses_dynamic_stack 0
		.amdhsa_enable_private_segment 0
		.amdhsa_system_sgpr_workgroup_id_x 1
		.amdhsa_system_sgpr_workgroup_id_y 1
		.amdhsa_system_sgpr_workgroup_id_z 1
		.amdhsa_system_sgpr_workgroup_info 0
		.amdhsa_system_vgpr_workitem_id 1
		.amdhsa_next_free_vgpr 89
		.amdhsa_next_free_sgpr 58
		.amdhsa_reserve_vcc 1
		.amdhsa_float_round_mode_32 0
		.amdhsa_float_round_mode_16_64 0
		.amdhsa_float_denorm_mode_32 3
		.amdhsa_float_denorm_mode_16_64 3
		.amdhsa_fp16_overflow 0
		.amdhsa_workgroup_processor_mode 1
		.amdhsa_memory_ordered 1
		.amdhsa_forward_progress 1
		.amdhsa_inst_pref_size 76
		.amdhsa_round_robin_scheduling 0
		.amdhsa_exception_fp_ieee_invalid_op 0
		.amdhsa_exception_fp_denorm_src 0
		.amdhsa_exception_fp_ieee_div_zero 0
		.amdhsa_exception_fp_ieee_overflow 0
		.amdhsa_exception_fp_ieee_underflow 0
		.amdhsa_exception_fp_ieee_inexact 0
		.amdhsa_exception_int_div_zero 0
	.end_amdhsa_kernel
	.section	.text._ZL30rocblas_trmm_outofplace_kernelI19rocblas_complex_numIdELi32ELi2ELb1ELb0ELb1ELb1ES1_KS1_S1_Ev17rocblas_diagonal_iiT6_lPT7_lllS6_lllPT8_llli,"axG",@progbits,_ZL30rocblas_trmm_outofplace_kernelI19rocblas_complex_numIdELi32ELi2ELb1ELb0ELb1ELb1ES1_KS1_S1_Ev17rocblas_diagonal_iiT6_lPT7_lllS6_lllPT8_llli,comdat
.Lfunc_end117:
	.size	_ZL30rocblas_trmm_outofplace_kernelI19rocblas_complex_numIdELi32ELi2ELb1ELb0ELb1ELb1ES1_KS1_S1_Ev17rocblas_diagonal_iiT6_lPT7_lllS6_lllPT8_llli, .Lfunc_end117-_ZL30rocblas_trmm_outofplace_kernelI19rocblas_complex_numIdELi32ELi2ELb1ELb0ELb1ELb1ES1_KS1_S1_Ev17rocblas_diagonal_iiT6_lPT7_lllS6_lllPT8_llli
                                        ; -- End function
	.set _ZL30rocblas_trmm_outofplace_kernelI19rocblas_complex_numIdELi32ELi2ELb1ELb0ELb1ELb1ES1_KS1_S1_Ev17rocblas_diagonal_iiT6_lPT7_lllS6_lllPT8_llli.num_vgpr, 89
	.set _ZL30rocblas_trmm_outofplace_kernelI19rocblas_complex_numIdELi32ELi2ELb1ELb0ELb1ELb1ES1_KS1_S1_Ev17rocblas_diagonal_iiT6_lPT7_lllS6_lllPT8_llli.num_agpr, 0
	.set _ZL30rocblas_trmm_outofplace_kernelI19rocblas_complex_numIdELi32ELi2ELb1ELb0ELb1ELb1ES1_KS1_S1_Ev17rocblas_diagonal_iiT6_lPT7_lllS6_lllPT8_llli.numbered_sgpr, 58
	.set _ZL30rocblas_trmm_outofplace_kernelI19rocblas_complex_numIdELi32ELi2ELb1ELb0ELb1ELb1ES1_KS1_S1_Ev17rocblas_diagonal_iiT6_lPT7_lllS6_lllPT8_llli.num_named_barrier, 0
	.set _ZL30rocblas_trmm_outofplace_kernelI19rocblas_complex_numIdELi32ELi2ELb1ELb0ELb1ELb1ES1_KS1_S1_Ev17rocblas_diagonal_iiT6_lPT7_lllS6_lllPT8_llli.private_seg_size, 0
	.set _ZL30rocblas_trmm_outofplace_kernelI19rocblas_complex_numIdELi32ELi2ELb1ELb0ELb1ELb1ES1_KS1_S1_Ev17rocblas_diagonal_iiT6_lPT7_lllS6_lllPT8_llli.uses_vcc, 1
	.set _ZL30rocblas_trmm_outofplace_kernelI19rocblas_complex_numIdELi32ELi2ELb1ELb0ELb1ELb1ES1_KS1_S1_Ev17rocblas_diagonal_iiT6_lPT7_lllS6_lllPT8_llli.uses_flat_scratch, 0
	.set _ZL30rocblas_trmm_outofplace_kernelI19rocblas_complex_numIdELi32ELi2ELb1ELb0ELb1ELb1ES1_KS1_S1_Ev17rocblas_diagonal_iiT6_lPT7_lllS6_lllPT8_llli.has_dyn_sized_stack, 0
	.set _ZL30rocblas_trmm_outofplace_kernelI19rocblas_complex_numIdELi32ELi2ELb1ELb0ELb1ELb1ES1_KS1_S1_Ev17rocblas_diagonal_iiT6_lPT7_lllS6_lllPT8_llli.has_recursion, 0
	.set _ZL30rocblas_trmm_outofplace_kernelI19rocblas_complex_numIdELi32ELi2ELb1ELb0ELb1ELb1ES1_KS1_S1_Ev17rocblas_diagonal_iiT6_lPT7_lllS6_lllPT8_llli.has_indirect_call, 0
	.section	.AMDGPU.csdata,"",@progbits
; Kernel info:
; codeLenInByte = 9724
; TotalNumSgprs: 60
; NumVgprs: 89
; ScratchSize: 0
; MemoryBound: 0
; FloatMode: 240
; IeeeMode: 1
; LDSByteSize: 32768 bytes/workgroup (compile time only)
; SGPRBlocks: 0
; VGPRBlocks: 11
; NumSGPRsForWavesPerEU: 60
; NumVGPRsForWavesPerEU: 89
; Occupancy: 16
; WaveLimiterHint : 0
; COMPUTE_PGM_RSRC2:SCRATCH_EN: 0
; COMPUTE_PGM_RSRC2:USER_SGPR: 2
; COMPUTE_PGM_RSRC2:TRAP_HANDLER: 0
; COMPUTE_PGM_RSRC2:TGID_X_EN: 1
; COMPUTE_PGM_RSRC2:TGID_Y_EN: 1
; COMPUTE_PGM_RSRC2:TGID_Z_EN: 1
; COMPUTE_PGM_RSRC2:TIDIG_COMP_CNT: 1
	.section	.text._ZL30rocblas_trmm_outofplace_kernelI19rocblas_complex_numIdELi32ELi2ELb1ELb1ELb1ELb1EPKS1_S2_S1_Ev17rocblas_diagonal_iiT6_lPT7_lllS7_lllPT8_llli,"axG",@progbits,_ZL30rocblas_trmm_outofplace_kernelI19rocblas_complex_numIdELi32ELi2ELb1ELb1ELb1ELb1EPKS1_S2_S1_Ev17rocblas_diagonal_iiT6_lPT7_lllS7_lllPT8_llli,comdat
	.globl	_ZL30rocblas_trmm_outofplace_kernelI19rocblas_complex_numIdELi32ELi2ELb1ELb1ELb1ELb1EPKS1_S2_S1_Ev17rocblas_diagonal_iiT6_lPT7_lllS7_lllPT8_llli ; -- Begin function _ZL30rocblas_trmm_outofplace_kernelI19rocblas_complex_numIdELi32ELi2ELb1ELb1ELb1ELb1EPKS1_S2_S1_Ev17rocblas_diagonal_iiT6_lPT7_lllS7_lllPT8_llli
	.p2align	8
	.type	_ZL30rocblas_trmm_outofplace_kernelI19rocblas_complex_numIdELi32ELi2ELb1ELb1ELb1ELb1EPKS1_S2_S1_Ev17rocblas_diagonal_iiT6_lPT7_lllS7_lllPT8_llli,@function
_ZL30rocblas_trmm_outofplace_kernelI19rocblas_complex_numIdELi32ELi2ELb1ELb1ELb1ELb1EPKS1_S2_S1_Ev17rocblas_diagonal_iiT6_lPT7_lllS7_lllPT8_llli: ; @_ZL30rocblas_trmm_outofplace_kernelI19rocblas_complex_numIdELi32ELi2ELb1ELb1ELb1ELb1EPKS1_S2_S1_Ev17rocblas_diagonal_iiT6_lPT7_lllS7_lllPT8_llli
; %bb.0:
	s_load_b32 s11, s[0:1], 0x80
	s_lshr_b32 s34, ttmp7, 16
	s_wait_kmcnt 0x0
	s_cmp_ge_u32 s34, s11
	s_cbranch_scc1 .LBB118_67
; %bb.1:
	s_clause 0x3
	s_load_b96 s[8:10], s[0:1], 0x0
	s_load_b256 s[36:43], s[0:1], 0x50
	s_load_b512 s[12:27], s[0:1], 0x10
	s_load_b128 s[28:31], s[0:1], 0x70
	s_and_b32 s33, ttmp7, 0xffff
	v_and_b32_e32 v61, 0x3ff, v0
	s_add_nc_u64 s[44:45], s[0:1], 0x88
	v_bfe_u32 v60, v0, 10, 10
	v_mov_b32_e32 v0, 0
	s_mov_b32 s35, 0
	v_lshlrev_b32_e32 v62, 4, v61
	s_delay_alu instid0(VALU_DEP_3) | instskip(SKIP_2) | instid1(VALU_DEP_3)
	v_lshlrev_b32_e32 v1, 9, v60
	v_lshlrev_b32_e32 v23, 4, v60
	v_lshl_add_u32 v69, s33, 5, v60
	v_add_nc_u32_e32 v63, 0x4000, v1
	v_add_nc_u32_e32 v64, v62, v1
	s_wait_kmcnt 0x0
	s_add_co_i32 s2, s10, -1
	s_lshl_b64 s[0:1], s[42:43], 4
	s_ashr_i32 s3, s2, 31
	s_mov_b32 s42, s9
	s_lshr_b32 s3, s3, 27
	s_add_nc_u64 s[40:41], s[40:41], s[0:1]
	s_add_co_i32 s2, s2, s3
	s_mov_b32 s48, s10
	s_ashr_i32 s49, s2, 5
	s_delay_alu instid0(SALU_CYCLE_1)
	s_cmp_le_i32 s33, s49
	s_cselect_b32 s50, -1, 0
	s_lshl_b32 s51, ttmp9, 5
	s_cmp_gt_i32 ttmp9, -1
	v_add_nc_u32_e32 v8, s51, v61
	s_cselect_b32 s52, -1, 0
	s_cmp_eq_u32 s8, 0x84
	s_cselect_b32 s53, -1, 0
	s_delay_alu instid0(VALU_DEP_1) | instskip(SKIP_3) | instid1(VALU_DEP_4)
	v_ashrrev_i32_e32 v9, 31, v8
	v_add_co_u32 v10, vcc_lo, v8, 16
	v_add_nc_u32_e32 v1, 16, v8
	v_mul_lo_u32 v6, s21, v8
	v_add_co_ci_u32_e64 v11, null, 0, v9, vcc_lo
	v_sub_co_u32 v12, vcc_lo, v8, v60
	v_mul_lo_u32 v5, s20, v9
	v_mad_co_u64_u32 v[3:4], null, s20, v8, 0
	s_wait_alu 0xfffd
	v_subrev_co_ci_u32_e64 v13, null, 0, v9, vcc_lo
	v_lshlrev_b64_e32 v[18:19], 4, v[8:9]
	v_add_co_u32 v14, vcc_lo, v12, 16
	v_ashrrev_i32_e32 v2, 31, v1
	s_wait_alu 0xfffd
	v_add_co_ci_u32_e64 v15, null, 0, v13, vcc_lo
	s_lshl_b64 s[4:5], s[26:27], 4
	v_add_co_u32 v16, vcc_lo, v12, -16
	s_wait_alu 0xfffd
	v_add_co_ci_u32_e64 v17, null, -1, v13, vcc_lo
	s_add_nc_u64 s[4:5], s[24:25], s[4:5]
	v_add3_u32 v4, v4, v5, v6
	v_add_co_u32 v5, vcc_lo, 0x100, v18
	v_cmp_gt_i32_e64 s2, s9, v1
	s_wait_alu 0xfffd
	v_add_co_ci_u32_e64 v6, null, 0, v19, vcc_lo
	v_lshlrev_b64_e32 v[26:27], 4, v[1:2]
	v_mov_b32_e32 v1, 0x3ff00000
	v_add_co_u32 v7, s4, s4, v62
	s_wait_alu 0xf1ff
	v_add_co_ci_u32_e64 v21, null, s5, 0, s4
	v_lshlrev_b64_e32 v[3:4], 4, v[3:4]
	s_lshl_b64 s[4:5], s[18:19], 4
	v_add_co_u32 v20, vcc_lo, 0x100, v7
	v_mul_lo_u32 v7, s20, v6
	v_mul_lo_u32 v22, s21, v5
	s_wait_alu 0xfffe
	v_mad_co_u64_u32 v[5:6], null, s20, v5, s[4:5]
	s_wait_alu 0xfffd
	v_add_co_ci_u32_e64 v21, null, 0, v21, vcc_lo
	v_add_co_u32 v3, vcc_lo, v3, s4
	s_wait_alu 0xfffd
	v_add_co_ci_u32_e64 v4, null, s5, v4, vcc_lo
	s_delay_alu instid0(VALU_DEP_4) | instskip(NEXT) | instid1(VALU_DEP_3)
	v_add3_u32 v6, v22, v6, v7
	v_add_co_u32 v3, vcc_lo, v3, v23
	s_wait_alu 0xfffd
	s_delay_alu instid0(VALU_DEP_3)
	v_add_co_ci_u32_e64 v4, null, 0, v4, vcc_lo
	v_add_co_u32 v5, vcc_lo, v5, v23
	v_add_nc_u32_e32 v65, v63, v62
	s_wait_alu 0xfffd
	v_add_co_ci_u32_e64 v6, null, 0, v6, vcc_lo
	v_add_co_u32 v22, vcc_lo, s16, v3
	s_ashr_i32 s43, s9, 31
	s_wait_alu 0xfffd
	v_add_co_ci_u32_e64 v23, null, s17, v4, vcc_lo
	v_add_co_u32 v24, vcc_lo, s16, v5
	v_cmp_le_i64_e64 s3, s[42:43], v[10:11]
	v_add_nc_u32_e32 v66, 0x100, v65
	v_add_nc_u32_e32 v67, 0x2000, v65
	;; [unrolled: 1-line block ×3, first 2 shown]
	v_cmp_le_i32_e64 s0, s9, v8
	v_cmp_gt_i32_e64 s1, s9, v8
	s_wait_alu 0xfffd
	v_add_co_ci_u32_e64 v25, null, s17, v6, vcc_lo
	s_ashr_i32 s54, s10, 31
	s_add_nc_u64 s[46:47], s[42:43], -16
	s_lshl_b64 s[18:19], s[38:39], 4
	s_lshl_b64 s[16:17], s[36:37], 4
	;; [unrolled: 1-line block ×3, first 2 shown]
	s_branch .LBB118_4
.LBB118_2:                              ;   in Loop: Header=BB118_4 Depth=1
	s_add_co_i32 s34, s34, 0x10000
	s_wait_alu 0xfffe
	s_cmp_ge_u32 s34, s11
	s_cselect_b32 s4, -1, 0
.LBB118_3:                              ;   in Loop: Header=BB118_4 Depth=1
	s_wait_alu 0xfffe
	s_and_b32 vcc_lo, exec_lo, s4
	s_wait_alu 0xfffe
	s_cbranch_vccnz .LBB118_67
.LBB118_4:                              ; =>This Loop Header: Depth=1
                                        ;     Child Loop BB118_8 Depth 2
                                        ;       Child Loop BB118_11 Depth 3
	s_mul_u64 s[4:5], s[14:15], s[34:35]
	s_wait_alu 0xfffe
	s_lshl_b64 s[4:5], s[4:5], 4
	s_wait_alu 0xfffe
	s_add_nc_u64 s[4:5], s[12:13], s[4:5]
	global_load_b128 v[4:7], v0, s[4:5]
	s_wait_loadcnt 0x0
	v_cmp_eq_f64_e32 vcc_lo, 0, v[4:5]
	v_cmp_eq_f64_e64 s4, 0, v[6:7]
	s_wait_alu 0xfffe
	s_and_b32 s4, vcc_lo, s4
	s_wait_alu 0xfffe
	s_and_b32 vcc_lo, exec_lo, s4
	s_mov_b32 s4, -1
	s_wait_alu 0xfffe
	s_cbranch_vccnz .LBB118_3
; %bb.5:                                ;   in Loop: Header=BB118_4 Depth=1
	s_and_not1_b32 vcc_lo, exec_lo, s50
	s_wait_alu 0xfffe
	s_cbranch_vccnz .LBB118_2
; %bb.6:                                ;   in Loop: Header=BB118_4 Depth=1
	v_mad_co_u64_u32 v[28:29], null, s18, s34, v[20:21]
	s_load_b32 s9, s[44:45], 0x4
	v_mad_co_u64_u32 v[30:31], null, s20, s34, v[22:23]
	s_mul_i32 s6, s21, s34
	v_mad_co_u64_u32 v[32:33], null, s20, s34, v[24:25]
	v_mov_b32_e32 v2, v29
	s_mul_u64 s[4:5], s[30:31], s[34:35]
	s_wait_alu 0xfffe
	v_dual_mov_b32 v34, v69 :: v_dual_add_nc_u32 v31, s6, v31
	s_lshl_b64 s[4:5], s[4:5], 4
	v_mad_co_u64_u32 v[2:3], null, s19, s34, v[2:3]
	s_delay_alu instid0(VALU_DEP_4) | instskip(SKIP_3) | instid1(VALU_DEP_2)
	v_add_nc_u32_e32 v33, s6, v33
	s_wait_alu 0xfffe
	s_add_nc_u64 s[22:23], s[40:41], s[4:5]
	s_mov_b32 s39, s33
	v_mov_b32_e32 v29, v2
	s_wait_kmcnt 0x0
	s_lshl_b32 s38, s9, 5
	s_branch .LBB118_8
.LBB118_7:                              ;   in Loop: Header=BB118_8 Depth=2
	s_wait_alu 0xfffe
	s_or_b32 exec_lo, exec_lo, s4
	v_add_nc_u32_e32 v34, s38, v34
	s_add_co_i32 s39, s9, s39
	s_wait_alu 0xfffe
	s_cmp_gt_i32 s39, s49
	s_cbranch_scc1 .LBB118_2
.LBB118_8:                              ;   Parent Loop BB118_4 Depth=1
                                        ; =>  This Loop Header: Depth=2
                                        ;       Child Loop BB118_11 Depth 3
	s_wait_alu 0xfffe
	v_lshl_add_u32 v70, s39, 5, v60
	v_mov_b32_e32 v52, 0
	v_mov_b32_e32 v40, 0
	;; [unrolled: 1-line block ×3, first 2 shown]
	v_dual_mov_b32 v50, 0 :: v_dual_mov_b32 v53, 0
	v_dual_mov_b32 v54, 0 :: v_dual_mov_b32 v41, 0
	;; [unrolled: 1-line block ×5, first 2 shown]
	v_mov_b32_e32 v43, 0
	v_mov_b32_e32 v47, 0
	;; [unrolled: 1-line block ×3, first 2 shown]
	v_ashrrev_i32_e32 v71, 31, v70
	s_and_not1_b32 vcc_lo, exec_lo, s52
	s_wait_alu 0xfffe
	s_cbranch_vccnz .LBB118_59
; %bb.9:                                ;   in Loop: Header=BB118_8 Depth=2
	v_ashrrev_i32_e32 v35, 31, v34
	v_mad_co_u64_u32 v[36:37], null, s16, v34, v[28:29]
	v_mul_lo_u32 v38, s17, v34
	v_mov_b32_e32 v48, 0
	s_delay_alu instid0(VALU_DEP_4)
	v_lshlrev_b64_e32 v[2:3], 4, v[34:35]
	v_mul_lo_u32 v35, s16, v35
	v_mov_b32_e32 v46, 0
	v_mov_b32_e32 v42, 0
	v_dual_mov_b32 v54, 0 :: v_dual_mov_b32 v49, 0
	v_mov_b32_e32 v50, 0
	v_add_co_u32 v39, vcc_lo, 0x100, v2
	s_wait_alu 0xfffd
	v_add_co_ci_u32_e64 v40, null, 0, v3, vcc_lo
	v_sub_co_u32 v2, vcc_lo, s48, v70
	v_add3_u32 v37, v38, v37, v35
	s_delay_alu instid0(VALU_DEP_3)
	v_mul_lo_u32 v35, s36, v40
	v_mul_lo_u32 v56, s37, v39
	v_mad_co_u64_u32 v[38:39], null, s36, v39, v[28:29]
	s_wait_alu 0xfffd
	v_sub_co_ci_u32_e64 v3, null, s54, v71, vcc_lo
	v_dual_mov_b32 v47, 0 :: v_dual_mov_b32 v44, 0
	v_dual_mov_b32 v43, 0 :: v_dual_mov_b32 v40, 0
	s_delay_alu instid0(VALU_DEP_3)
	v_cmp_lt_i64_e64 s4, 16, v[2:3]
	v_dual_mov_b32 v55, 0 :: v_dual_mov_b32 v52, 0
	v_mov_b32_e32 v51, 0
	v_mov_b32_e32 v45, 0
	;; [unrolled: 1-line block ×4, first 2 shown]
	v_add3_u32 v39, v56, v39, v35
	s_mov_b64 s[24:25], 0
	s_mov_b64 s[26:27], 0
	v_cmp_lt_i64_e32 vcc_lo, 0, v[2:3]
	s_branch .LBB118_11
.LBB118_10:                             ;   in Loop: Header=BB118_11 Depth=3
	s_wait_alu 0xfffe
	s_or_b32 exec_lo, exec_lo, s5
	s_wait_dscnt 0x0
	s_barrier_signal -1
	s_barrier_wait -1
	global_inv scope:SCOPE_SE
	ds_load_b128 v[56:59], v63
	ds_load_b128 v[72:75], v63 offset:16
	ds_load_b128 v[76:79], v63 offset:32
	;; [unrolled: 1-line block ×3, first 2 shown]
	ds_load_b128 v[84:87], v62
	s_add_nc_u64 s[26:27], s[26:27], 32
	s_add_nc_u64 s[24:25], s[24:25], 0x200
	s_wait_alu 0xfffe
	s_sub_co_i32 s5, s26, 32
	s_wait_alu 0xfffe
	s_cmp_ge_i32 s5, s51
	s_wait_dscnt 0x0
	v_mul_f64_e32 v[2:3], v[58:59], v[86:87]
	v_mul_f64_e32 v[88:89], v[56:57], v[86:87]
	s_delay_alu instid0(VALU_DEP_2) | instskip(NEXT) | instid1(VALU_DEP_2)
	v_fma_f64 v[2:3], v[56:57], v[84:85], -v[2:3]
	v_fma_f64 v[88:89], v[58:59], v[84:85], v[88:89]
	s_delay_alu instid0(VALU_DEP_2) | instskip(NEXT) | instid1(VALU_DEP_2)
	v_add_f64_e32 v[2:3], v[52:53], v[2:3]
	v_add_f64_e32 v[88:89], v[88:89], v[54:55]
	ds_load_b128 v[52:55], v62 offset:256
	s_wait_dscnt 0x0
	v_mul_f64_e32 v[90:91], v[58:59], v[54:55]
	s_delay_alu instid0(VALU_DEP_1) | instskip(SKIP_1) | instid1(VALU_DEP_1)
	v_fma_f64 v[90:91], v[56:57], v[52:53], -v[90:91]
	v_mul_f64_e32 v[56:57], v[56:57], v[54:55]
	v_fma_f64 v[56:57], v[58:59], v[52:53], v[56:57]
	s_delay_alu instid0(VALU_DEP_3) | instskip(NEXT) | instid1(VALU_DEP_2)
	v_add_f64_e32 v[58:59], v[40:41], v[90:91]
	v_add_f64_e32 v[56:57], v[56:57], v[42:43]
	ds_load_b128 v[40:43], v63 offset:8192
	s_wait_dscnt 0x0
	v_mul_f64_e32 v[90:91], v[42:43], v[86:87]
	v_mul_f64_e32 v[86:87], v[40:41], v[86:87]
	s_delay_alu instid0(VALU_DEP_2) | instskip(NEXT) | instid1(VALU_DEP_2)
	v_fma_f64 v[90:91], v[40:41], v[84:85], -v[90:91]
	v_fma_f64 v[84:85], v[42:43], v[84:85], v[86:87]
	s_delay_alu instid0(VALU_DEP_2) | instskip(SKIP_1) | instid1(VALU_DEP_3)
	v_add_f64_e32 v[86:87], v[44:45], v[90:91]
	v_mul_f64_e32 v[44:45], v[42:43], v[54:55]
	v_add_f64_e32 v[84:85], v[84:85], v[46:47]
	s_delay_alu instid0(VALU_DEP_2) | instskip(SKIP_1) | instid1(VALU_DEP_1)
	v_fma_f64 v[44:45], v[40:41], v[52:53], -v[44:45]
	v_mul_f64_e32 v[40:41], v[40:41], v[54:55]
	v_fma_f64 v[40:41], v[42:43], v[52:53], v[40:41]
	s_delay_alu instid0(VALU_DEP_3) | instskip(NEXT) | instid1(VALU_DEP_2)
	v_add_f64_e32 v[52:53], v[50:51], v[44:45]
	v_add_f64_e32 v[54:55], v[40:41], v[48:49]
	ds_load_b128 v[40:43], v62 offset:512
	s_wait_dscnt 0x0
	v_mul_f64_e32 v[44:45], v[74:75], v[42:43]
	v_mul_f64_e32 v[46:47], v[72:73], v[42:43]
	s_delay_alu instid0(VALU_DEP_2) | instskip(NEXT) | instid1(VALU_DEP_2)
	v_fma_f64 v[44:45], v[72:73], v[40:41], -v[44:45]
	v_fma_f64 v[46:47], v[74:75], v[40:41], v[46:47]
	s_delay_alu instid0(VALU_DEP_2) | instskip(NEXT) | instid1(VALU_DEP_2)
	v_add_f64_e32 v[2:3], v[2:3], v[44:45]
	v_add_f64_e32 v[88:89], v[46:47], v[88:89]
	ds_load_b128 v[44:47], v62 offset:768
	s_wait_dscnt 0x0
	v_mul_f64_e32 v[48:49], v[74:75], v[46:47]
	v_mul_f64_e32 v[50:51], v[72:73], v[46:47]
	s_delay_alu instid0(VALU_DEP_2) | instskip(NEXT) | instid1(VALU_DEP_2)
	v_fma_f64 v[48:49], v[72:73], v[44:45], -v[48:49]
	v_fma_f64 v[50:51], v[74:75], v[44:45], v[50:51]
	s_delay_alu instid0(VALU_DEP_2) | instskip(NEXT) | instid1(VALU_DEP_2)
	v_add_f64_e32 v[58:59], v[58:59], v[48:49]
	v_add_f64_e32 v[56:57], v[50:51], v[56:57]
	ds_load_b128 v[48:51], v63 offset:8208
	s_wait_dscnt 0x0
	v_mul_f64_e32 v[72:73], v[50:51], v[42:43]
	v_mul_f64_e32 v[42:43], v[48:49], v[42:43]
	s_delay_alu instid0(VALU_DEP_2) | instskip(NEXT) | instid1(VALU_DEP_2)
	v_fma_f64 v[72:73], v[48:49], v[40:41], -v[72:73]
	v_fma_f64 v[40:41], v[50:51], v[40:41], v[42:43]
	v_mul_f64_e32 v[42:43], v[48:49], v[46:47]
	s_delay_alu instid0(VALU_DEP_3) | instskip(NEXT) | instid1(VALU_DEP_3)
	v_add_f64_e32 v[72:73], v[86:87], v[72:73]
	v_add_f64_e32 v[74:75], v[40:41], v[84:85]
	v_mul_f64_e32 v[40:41], v[50:51], v[46:47]
	s_delay_alu instid0(VALU_DEP_4) | instskip(NEXT) | instid1(VALU_DEP_2)
	v_fma_f64 v[42:43], v[50:51], v[44:45], v[42:43]
	v_fma_f64 v[40:41], v[48:49], v[44:45], -v[40:41]
	s_delay_alu instid0(VALU_DEP_2) | instskip(NEXT) | instid1(VALU_DEP_2)
	v_add_f64_e32 v[54:55], v[42:43], v[54:55]
	v_add_f64_e32 v[52:53], v[52:53], v[40:41]
	ds_load_b128 v[40:43], v62 offset:1024
	s_wait_dscnt 0x0
	v_mul_f64_e32 v[44:45], v[78:79], v[42:43]
	v_mul_f64_e32 v[46:47], v[76:77], v[42:43]
	s_delay_alu instid0(VALU_DEP_2) | instskip(NEXT) | instid1(VALU_DEP_2)
	v_fma_f64 v[44:45], v[76:77], v[40:41], -v[44:45]
	v_fma_f64 v[46:47], v[78:79], v[40:41], v[46:47]
	s_delay_alu instid0(VALU_DEP_2) | instskip(NEXT) | instid1(VALU_DEP_2)
	v_add_f64_e32 v[2:3], v[2:3], v[44:45]
	v_add_f64_e32 v[84:85], v[46:47], v[88:89]
	ds_load_b128 v[44:47], v62 offset:1280
	s_wait_dscnt 0x0
	v_mul_f64_e32 v[48:49], v[78:79], v[46:47]
	v_mul_f64_e32 v[50:51], v[76:77], v[46:47]
	s_delay_alu instid0(VALU_DEP_2) | instskip(NEXT) | instid1(VALU_DEP_2)
	v_fma_f64 v[48:49], v[76:77], v[44:45], -v[48:49]
	v_fma_f64 v[50:51], v[78:79], v[44:45], v[50:51]
	s_delay_alu instid0(VALU_DEP_2) | instskip(NEXT) | instid1(VALU_DEP_2)
	v_add_f64_e32 v[58:59], v[58:59], v[48:49]
	v_add_f64_e32 v[56:57], v[50:51], v[56:57]
	ds_load_b128 v[48:51], v63 offset:8224
	s_wait_dscnt 0x0
	v_mul_f64_e32 v[76:77], v[50:51], v[42:43]
	v_mul_f64_e32 v[42:43], v[48:49], v[42:43]
	s_delay_alu instid0(VALU_DEP_2) | instskip(NEXT) | instid1(VALU_DEP_2)
	v_fma_f64 v[76:77], v[48:49], v[40:41], -v[76:77]
	v_fma_f64 v[40:41], v[50:51], v[40:41], v[42:43]
	v_mul_f64_e32 v[42:43], v[48:49], v[46:47]
	s_delay_alu instid0(VALU_DEP_3) | instskip(NEXT) | instid1(VALU_DEP_3)
	v_add_f64_e32 v[72:73], v[72:73], v[76:77]
	v_add_f64_e32 v[74:75], v[40:41], v[74:75]
	v_mul_f64_e32 v[40:41], v[50:51], v[46:47]
	s_delay_alu instid0(VALU_DEP_4) | instskip(NEXT) | instid1(VALU_DEP_2)
	v_fma_f64 v[42:43], v[50:51], v[44:45], v[42:43]
	v_fma_f64 v[40:41], v[48:49], v[44:45], -v[40:41]
	s_delay_alu instid0(VALU_DEP_2) | instskip(NEXT) | instid1(VALU_DEP_2)
	;; [unrolled: 38-line block ×3, first 2 shown]
	v_add_f64_e32 v[54:55], v[42:43], v[54:55]
	v_add_f64_e32 v[52:53], v[52:53], v[40:41]
	ds_load_b128 v[40:43], v63 offset:64
	ds_load_b128 v[44:47], v62 offset:2048
	s_wait_dscnt 0x0
	v_mul_f64_e32 v[48:49], v[42:43], v[46:47]
	v_mul_f64_e32 v[50:51], v[40:41], v[46:47]
	s_delay_alu instid0(VALU_DEP_2) | instskip(NEXT) | instid1(VALU_DEP_2)
	v_fma_f64 v[48:49], v[40:41], v[44:45], -v[48:49]
	v_fma_f64 v[50:51], v[42:43], v[44:45], v[50:51]
	s_delay_alu instid0(VALU_DEP_2) | instskip(NEXT) | instid1(VALU_DEP_2)
	v_add_f64_e32 v[2:3], v[2:3], v[48:49]
	v_add_f64_e32 v[76:77], v[50:51], v[76:77]
	ds_load_b128 v[48:51], v62 offset:2304
	s_wait_dscnt 0x0
	v_mul_f64_e32 v[78:79], v[42:43], v[50:51]
	s_delay_alu instid0(VALU_DEP_1) | instskip(SKIP_1) | instid1(VALU_DEP_2)
	v_fma_f64 v[78:79], v[40:41], v[48:49], -v[78:79]
	v_mul_f64_e32 v[40:41], v[40:41], v[50:51]
	v_add_f64_e32 v[58:59], v[58:59], v[78:79]
	s_delay_alu instid0(VALU_DEP_2) | instskip(NEXT) | instid1(VALU_DEP_1)
	v_fma_f64 v[40:41], v[42:43], v[48:49], v[40:41]
	v_add_f64_e32 v[56:57], v[40:41], v[56:57]
	ds_load_b128 v[40:43], v63 offset:8256
	s_wait_dscnt 0x0
	v_mul_f64_e32 v[78:79], v[42:43], v[46:47]
	v_mul_f64_e32 v[46:47], v[40:41], v[46:47]
	s_delay_alu instid0(VALU_DEP_2) | instskip(NEXT) | instid1(VALU_DEP_2)
	v_fma_f64 v[78:79], v[40:41], v[44:45], -v[78:79]
	v_fma_f64 v[44:45], v[42:43], v[44:45], v[46:47]
	s_delay_alu instid0(VALU_DEP_2) | instskip(NEXT) | instid1(VALU_DEP_2)
	v_add_f64_e32 v[72:73], v[72:73], v[78:79]
	v_add_f64_e32 v[74:75], v[44:45], v[74:75]
	v_mul_f64_e32 v[44:45], v[42:43], v[50:51]
	s_delay_alu instid0(VALU_DEP_1) | instskip(SKIP_1) | instid1(VALU_DEP_2)
	v_fma_f64 v[44:45], v[40:41], v[48:49], -v[44:45]
	v_mul_f64_e32 v[40:41], v[40:41], v[50:51]
	v_add_f64_e32 v[52:53], v[52:53], v[44:45]
	s_delay_alu instid0(VALU_DEP_2) | instskip(NEXT) | instid1(VALU_DEP_1)
	v_fma_f64 v[40:41], v[42:43], v[48:49], v[40:41]
	v_add_f64_e32 v[54:55], v[40:41], v[54:55]
	ds_load_b128 v[40:43], v63 offset:80
	ds_load_b128 v[44:47], v62 offset:2560
	s_wait_dscnt 0x0
	v_mul_f64_e32 v[48:49], v[42:43], v[46:47]
	v_mul_f64_e32 v[50:51], v[40:41], v[46:47]
	s_delay_alu instid0(VALU_DEP_2) | instskip(NEXT) | instid1(VALU_DEP_2)
	v_fma_f64 v[48:49], v[40:41], v[44:45], -v[48:49]
	v_fma_f64 v[50:51], v[42:43], v[44:45], v[50:51]
	s_delay_alu instid0(VALU_DEP_2) | instskip(NEXT) | instid1(VALU_DEP_2)
	v_add_f64_e32 v[2:3], v[2:3], v[48:49]
	v_add_f64_e32 v[76:77], v[50:51], v[76:77]
	ds_load_b128 v[48:51], v62 offset:2816
	s_wait_dscnt 0x0
	v_mul_f64_e32 v[78:79], v[42:43], v[50:51]
	s_delay_alu instid0(VALU_DEP_1) | instskip(SKIP_1) | instid1(VALU_DEP_2)
	v_fma_f64 v[78:79], v[40:41], v[48:49], -v[78:79]
	v_mul_f64_e32 v[40:41], v[40:41], v[50:51]
	v_add_f64_e32 v[58:59], v[58:59], v[78:79]
	s_delay_alu instid0(VALU_DEP_2) | instskip(NEXT) | instid1(VALU_DEP_1)
	v_fma_f64 v[40:41], v[42:43], v[48:49], v[40:41]
	v_add_f64_e32 v[56:57], v[40:41], v[56:57]
	ds_load_b128 v[40:43], v63 offset:8272
	s_wait_dscnt 0x0
	v_mul_f64_e32 v[78:79], v[42:43], v[46:47]
	v_mul_f64_e32 v[46:47], v[40:41], v[46:47]
	s_delay_alu instid0(VALU_DEP_2) | instskip(NEXT) | instid1(VALU_DEP_2)
	v_fma_f64 v[78:79], v[40:41], v[44:45], -v[78:79]
	v_fma_f64 v[44:45], v[42:43], v[44:45], v[46:47]
	s_delay_alu instid0(VALU_DEP_2) | instskip(NEXT) | instid1(VALU_DEP_2)
	v_add_f64_e32 v[72:73], v[72:73], v[78:79]
	v_add_f64_e32 v[74:75], v[44:45], v[74:75]
	v_mul_f64_e32 v[44:45], v[42:43], v[50:51]
	s_delay_alu instid0(VALU_DEP_1) | instskip(SKIP_1) | instid1(VALU_DEP_2)
	v_fma_f64 v[44:45], v[40:41], v[48:49], -v[44:45]
	v_mul_f64_e32 v[40:41], v[40:41], v[50:51]
	v_add_f64_e32 v[52:53], v[52:53], v[44:45]
	s_delay_alu instid0(VALU_DEP_2) | instskip(NEXT) | instid1(VALU_DEP_1)
	v_fma_f64 v[40:41], v[42:43], v[48:49], v[40:41]
	;; [unrolled: 39-line block ×27, first 2 shown]
	v_add_f64_e32 v[80:81], v[40:41], v[54:55]
	ds_load_b128 v[40:43], v63 offset:496
	ds_load_b128 v[44:47], v62 offset:15872
	s_wait_dscnt 0x0
	v_mul_f64_e32 v[48:49], v[42:43], v[46:47]
	v_mul_f64_e32 v[50:51], v[40:41], v[46:47]
	s_delay_alu instid0(VALU_DEP_2) | instskip(NEXT) | instid1(VALU_DEP_2)
	v_fma_f64 v[48:49], v[40:41], v[44:45], -v[48:49]
	v_fma_f64 v[50:51], v[42:43], v[44:45], v[50:51]
	s_delay_alu instid0(VALU_DEP_2) | instskip(NEXT) | instid1(VALU_DEP_2)
	v_add_f64_e32 v[52:53], v[2:3], v[48:49]
	v_add_f64_e32 v[54:55], v[50:51], v[76:77]
	ds_load_b128 v[48:51], v62 offset:16128
	s_wait_dscnt 0x0
	v_mul_f64_e32 v[2:3], v[42:43], v[50:51]
	s_delay_alu instid0(VALU_DEP_1) | instskip(SKIP_1) | instid1(VALU_DEP_1)
	v_fma_f64 v[2:3], v[40:41], v[48:49], -v[2:3]
	v_mul_f64_e32 v[40:41], v[40:41], v[50:51]
	v_fma_f64 v[42:43], v[42:43], v[48:49], v[40:41]
	s_delay_alu instid0(VALU_DEP_3) | instskip(NEXT) | instid1(VALU_DEP_2)
	v_add_f64_e32 v[40:41], v[58:59], v[2:3]
	v_add_f64_e32 v[42:43], v[42:43], v[56:57]
	ds_load_b128 v[56:59], v63 offset:8688
	s_wait_loadcnt_dscnt 0x0
	s_barrier_signal -1
	s_barrier_wait -1
	global_inv scope:SCOPE_SE
	v_mul_f64_e32 v[2:3], v[58:59], v[46:47]
	v_mul_f64_e32 v[46:47], v[56:57], v[46:47]
	s_delay_alu instid0(VALU_DEP_2) | instskip(NEXT) | instid1(VALU_DEP_2)
	v_fma_f64 v[2:3], v[56:57], v[44:45], -v[2:3]
	v_fma_f64 v[46:47], v[58:59], v[44:45], v[46:47]
	s_delay_alu instid0(VALU_DEP_2) | instskip(SKIP_2) | instid1(VALU_DEP_4)
	v_add_f64_e32 v[44:45], v[72:73], v[2:3]
	v_mul_f64_e32 v[2:3], v[58:59], v[50:51]
	v_mul_f64_e32 v[50:51], v[56:57], v[50:51]
	v_add_f64_e32 v[46:47], v[46:47], v[74:75]
	s_delay_alu instid0(VALU_DEP_3) | instskip(NEXT) | instid1(VALU_DEP_3)
	v_fma_f64 v[2:3], v[56:57], v[48:49], -v[2:3]
	v_fma_f64 v[48:49], v[58:59], v[48:49], v[50:51]
	s_delay_alu instid0(VALU_DEP_2) | instskip(NEXT) | instid1(VALU_DEP_2)
	v_add_f64_e32 v[50:51], v[78:79], v[2:3]
	v_add_f64_e32 v[48:49], v[48:49], v[80:81]
	s_cbranch_scc1 .LBB118_59
.LBB118_11:                             ;   Parent Loop BB118_4 Depth=1
                                        ;     Parent Loop BB118_8 Depth=2
                                        ; =>    This Inner Loop Header: Depth=3
	s_wait_alu 0xfffe
	v_add_co_u32 v58, s5, v60, s26
	s_wait_alu 0xf1ff
	v_add_co_ci_u32_e64 v59, null, 0, s27, s5
	v_cmp_eq_u64_e64 s7, s[26:27], v[12:13]
	s_delay_alu instid0(VALU_DEP_2)
	v_cmp_le_i64_e64 s6, s[42:43], v[58:59]
	v_cmp_gt_i64_e64 s5, v[58:59], v[8:9]
	s_and_b32 s56, s53, s7
	v_add_co_u32 v56, s7, v30, s24
	s_wait_alu 0xf1ff
	v_add_co_ci_u32_e64 v57, null, s25, v31, s7
	s_or_b32 s8, s6, s5
	s_wait_alu 0xfffe
	s_or_b32 s7, s8, s56
	s_wait_alu 0xfffe
	s_nor_b32 s7, s0, s7
	s_wait_alu 0xfffe
	s_and_saveexec_b32 s8, s7
	s_wait_alu 0xfffe
	s_xor_b32 s7, exec_lo, s8
	s_cbranch_execz .LBB118_13
; %bb.12:                               ;   in Loop: Header=BB118_11 Depth=3
	global_load_b128 v[72:75], v[56:57], off
	s_wait_loadcnt 0x0
	v_xor_b32_e32 v75, 0x80000000, v75
	ds_store_b128 v64, v[72:75]
.LBB118_13:                             ;   in Loop: Header=BB118_11 Depth=3
	s_wait_alu 0xfffe
	s_or_saveexec_b32 s7, s7
	s_xor_b32 s55, s56, -1
	s_wait_alu 0xfffe
	s_xor_b32 exec_lo, exec_lo, s7
	s_cbranch_execz .LBB118_19
; %bb.14:                               ;   in Loop: Header=BB118_11 Depth=3
	s_and_saveexec_b32 s8, s55
	s_wait_alu 0xfffe
	s_xor_b32 s8, exec_lo, s8
; %bb.15:                               ;   in Loop: Header=BB118_11 Depth=3
	v_dual_mov_b32 v72, v0 :: v_dual_mov_b32 v73, v0
	v_dual_mov_b32 v74, v0 :: v_dual_mov_b32 v75, v0
	ds_store_b128 v64, v[72:75]
; %bb.16:                               ;   in Loop: Header=BB118_11 Depth=3
	s_wait_alu 0xfffe
	s_and_not1_saveexec_b32 s8, s8
; %bb.17:                               ;   in Loop: Header=BB118_11 Depth=3
	v_dual_mov_b32 v2, v0 :: v_dual_mov_b32 v3, v0
	ds_store_b128 v64, v[0:3]
; %bb.18:                               ;   in Loop: Header=BB118_11 Depth=3
	s_wait_alu 0xfffe
	s_or_b32 exec_lo, exec_lo, s8
.LBB118_19:                             ;   in Loop: Header=BB118_11 Depth=3
	s_delay_alu instid0(SALU_CYCLE_1)
	s_or_b32 exec_lo, exec_lo, s7
	v_cmp_eq_u64_e64 s7, s[26:27], v[14:15]
	v_cmp_lt_i64_e64 s8, v[10:11], v[58:59]
	s_and_b32 s7, s53, s7
	s_or_b32 s6, s6, s8
	s_wait_alu 0xfffe
	s_or_b32 s6, s6, s7
	s_wait_alu 0xfffe
	s_nor_b32 s6, s3, s6
	s_wait_alu 0xfffe
	s_and_saveexec_b32 s8, s6
	s_wait_alu 0xfffe
	s_xor_b32 s8, exec_lo, s8
	s_cbranch_execz .LBB118_21
; %bb.20:                               ;   in Loop: Header=BB118_11 Depth=3
	v_add_co_u32 v2, s6, v32, s24
	s_wait_alu 0xf1ff
	v_add_co_ci_u32_e64 v3, null, s25, v33, s6
	global_load_b128 v[72:75], v[2:3], off
	s_wait_loadcnt 0x0
	v_xor_b32_e32 v75, 0x80000000, v75
	ds_store_b128 v64, v[72:75] offset:256
.LBB118_21:                             ;   in Loop: Header=BB118_11 Depth=3
	s_wait_alu 0xfffe
	s_and_not1_saveexec_b32 s6, s8
	s_cbranch_execz .LBB118_27
; %bb.22:                               ;   in Loop: Header=BB118_11 Depth=3
	s_xor_b32 s7, s7, -1
	s_wait_alu 0xfffe
	s_and_saveexec_b32 s8, s7
	s_wait_alu 0xfffe
	s_xor_b32 s7, exec_lo, s8
; %bb.23:                               ;   in Loop: Header=BB118_11 Depth=3
	v_dual_mov_b32 v72, v0 :: v_dual_mov_b32 v73, v0
	v_dual_mov_b32 v74, v0 :: v_dual_mov_b32 v75, v0
	ds_store_b128 v64, v[72:75] offset:256
; %bb.24:                               ;   in Loop: Header=BB118_11 Depth=3
	s_wait_alu 0xfffe
	s_and_not1_saveexec_b32 s7, s7
; %bb.25:                               ;   in Loop: Header=BB118_11 Depth=3
	v_dual_mov_b32 v2, v0 :: v_dual_mov_b32 v3, v0
	ds_store_b128 v64, v[0:3] offset:256
; %bb.26:                               ;   in Loop: Header=BB118_11 Depth=3
	s_wait_alu 0xfffe
	s_or_b32 exec_lo, exec_lo, s7
.LBB118_27:                             ;   in Loop: Header=BB118_11 Depth=3
	s_wait_alu 0xfffe
	s_or_b32 exec_lo, exec_lo, s6
	v_add_co_u32 v2, s6, v58, 16
	s_wait_alu 0xf1ff
	v_add_co_ci_u32_e64 v3, null, 0, v59, s6
	v_cmp_eq_u64_e64 s7, s[26:27], v[16:17]
	s_delay_alu instid0(VALU_DEP_2)
	v_cmp_le_i64_e64 s6, s[42:43], v[2:3]
	v_cmp_gt_i64_e64 s8, v[2:3], v[8:9]
	s_and_b32 s57, s53, s7
	s_or_b32 s7, s6, s8
	s_wait_alu 0xfffe
	s_or_b32 s7, s7, s57
	s_wait_alu 0xfffe
	s_nor_b32 s7, s0, s7
	s_wait_alu 0xfffe
	s_and_saveexec_b32 s8, s7
	s_wait_alu 0xfffe
	s_xor_b32 s7, exec_lo, s8
	s_cbranch_execz .LBB118_29
; %bb.28:                               ;   in Loop: Header=BB118_11 Depth=3
	global_load_b128 v[56:59], v[56:57], off offset:256
	s_wait_loadcnt 0x0
	v_xor_b32_e32 v59, 0x80000000, v59
	ds_store_b128 v64, v[56:59] offset:8192
.LBB118_29:                             ;   in Loop: Header=BB118_11 Depth=3
	s_wait_alu 0xfffe
	s_and_not1_saveexec_b32 s7, s7
	s_cbranch_execz .LBB118_35
; %bb.30:                               ;   in Loop: Header=BB118_11 Depth=3
	s_xor_b32 s8, s57, -1
	s_wait_alu 0xfffe
	s_and_saveexec_b32 s57, s8
	s_delay_alu instid0(SALU_CYCLE_1)
	s_xor_b32 s8, exec_lo, s57
; %bb.31:                               ;   in Loop: Header=BB118_11 Depth=3
	v_dual_mov_b32 v56, v0 :: v_dual_mov_b32 v57, v0
	v_dual_mov_b32 v58, v0 :: v_dual_mov_b32 v59, v0
	ds_store_b128 v64, v[56:59] offset:8192
; %bb.32:                               ;   in Loop: Header=BB118_11 Depth=3
	s_wait_alu 0xfffe
	s_and_not1_saveexec_b32 s8, s8
; %bb.33:                               ;   in Loop: Header=BB118_11 Depth=3
	v_dual_mov_b32 v2, v0 :: v_dual_mov_b32 v3, v0
	ds_store_b128 v64, v[0:3] offset:8192
; %bb.34:                               ;   in Loop: Header=BB118_11 Depth=3
	s_wait_alu 0xfffe
	s_or_b32 exec_lo, exec_lo, s8
.LBB118_35:                             ;   in Loop: Header=BB118_11 Depth=3
	s_wait_alu 0xfffe
	s_or_b32 exec_lo, exec_lo, s7
	s_or_b32 s5, s6, s5
	s_wait_alu 0xfffe
	s_or_b32 s5, s5, s56
	s_wait_alu 0xfffe
	s_nor_b32 s5, s3, s5
	s_wait_alu 0xfffe
	s_and_saveexec_b32 s6, s5
	s_wait_alu 0xfffe
	s_xor_b32 s6, exec_lo, s6
	s_cbranch_execz .LBB118_37
; %bb.36:                               ;   in Loop: Header=BB118_11 Depth=3
	v_add_co_u32 v2, s5, v32, s24
	s_wait_alu 0xf1ff
	v_add_co_ci_u32_e64 v3, null, s25, v33, s5
	global_load_b128 v[56:59], v[2:3], off offset:256
	s_wait_loadcnt 0x0
	v_xor_b32_e32 v59, 0x80000000, v59
	ds_store_b128 v64, v[56:59] offset:8448
.LBB118_37:                             ;   in Loop: Header=BB118_11 Depth=3
	s_wait_alu 0xfffe
	s_and_not1_saveexec_b32 s5, s6
	s_cbranch_execz .LBB118_43
; %bb.38:                               ;   in Loop: Header=BB118_11 Depth=3
	s_and_saveexec_b32 s6, s55
	s_wait_alu 0xfffe
	s_xor_b32 s6, exec_lo, s6
; %bb.39:                               ;   in Loop: Header=BB118_11 Depth=3
	v_dual_mov_b32 v56, v0 :: v_dual_mov_b32 v57, v0
	v_dual_mov_b32 v58, v0 :: v_dual_mov_b32 v59, v0
	ds_store_b128 v64, v[56:59] offset:8448
; %bb.40:                               ;   in Loop: Header=BB118_11 Depth=3
	s_wait_alu 0xfffe
	s_and_not1_saveexec_b32 s6, s6
; %bb.41:                               ;   in Loop: Header=BB118_11 Depth=3
	v_dual_mov_b32 v2, v0 :: v_dual_mov_b32 v3, v0
	ds_store_b128 v64, v[0:3] offset:8448
; %bb.42:                               ;   in Loop: Header=BB118_11 Depth=3
	s_wait_alu 0xfffe
	s_or_b32 exec_lo, exec_lo, s6
.LBB118_43:                             ;   in Loop: Header=BB118_11 Depth=3
	s_wait_alu 0xfffe
	s_or_b32 exec_lo, exec_lo, s5
	v_add_co_u32 v2, s5, v61, s26
	s_wait_alu 0xf1ff
	v_add_co_ci_u32_e64 v3, null, 0, s27, s5
	s_delay_alu instid0(VALU_DEP_1)
	v_cmp_gt_i64_e64 s5, s[42:43], v[2:3]
	s_and_b32 s6, vcc_lo, s5
	s_wait_alu 0xfffe
	s_xor_b32 s6, s6, -1
	s_wait_alu 0xfffe
	s_and_saveexec_b32 s7, s6
	s_wait_alu 0xfffe
	s_xor_b32 s6, exec_lo, s7
; %bb.44:                               ;   in Loop: Header=BB118_11 Depth=3
	v_dual_mov_b32 v56, v0 :: v_dual_mov_b32 v57, v0
	v_dual_mov_b32 v58, v0 :: v_dual_mov_b32 v59, v0
	ds_store_b128 v65, v[56:59]
; %bb.45:                               ;   in Loop: Header=BB118_11 Depth=3
	s_wait_alu 0xfffe
	s_or_saveexec_b32 s7, s6
	v_add_co_u32 v56, s6, v36, s24
	s_wait_alu 0xf1ff
	v_add_co_ci_u32_e64 v57, null, s25, v37, s6
	s_wait_alu 0xfffe
	s_xor_b32 exec_lo, exec_lo, s7
	s_cbranch_execz .LBB118_47
; %bb.46:                               ;   in Loop: Header=BB118_11 Depth=3
	global_load_b128 v[72:75], v[56:57], off offset:-256
	s_wait_loadcnt 0x0
	ds_store_2addr_b64 v65, v[72:73], v[74:75] offset1:1
.LBB118_47:                             ;   in Loop: Header=BB118_11 Depth=3
	s_or_b32 exec_lo, exec_lo, s7
	v_cmp_gt_i64_e64 s6, s[46:47], v[2:3]
	s_and_b32 s7, vcc_lo, s6
	s_wait_alu 0xfffe
	s_xor_b32 s7, s7, -1
	s_wait_alu 0xfffe
	s_and_saveexec_b32 s8, s7
	s_wait_alu 0xfffe
	s_xor_b32 s7, exec_lo, s8
; %bb.48:                               ;   in Loop: Header=BB118_11 Depth=3
	v_dual_mov_b32 v56, v0 :: v_dual_mov_b32 v57, v0
	v_dual_mov_b32 v58, v0 :: v_dual_mov_b32 v59, v0
	ds_store_b128 v65, v[56:59] offset:256
                                        ; implicit-def: $vgpr56_vgpr57
; %bb.49:                               ;   in Loop: Header=BB118_11 Depth=3
	s_wait_alu 0xfffe
	s_and_not1_saveexec_b32 s7, s7
	s_cbranch_execz .LBB118_51
; %bb.50:                               ;   in Loop: Header=BB118_11 Depth=3
	global_load_b128 v[56:59], v[56:57], off
	s_wait_loadcnt 0x0
	ds_store_2addr_b64 v66, v[56:57], v[58:59] offset1:1
.LBB118_51:                             ;   in Loop: Header=BB118_11 Depth=3
	s_wait_alu 0xfffe
	s_or_b32 exec_lo, exec_lo, s7
	s_and_b32 s5, s4, s5
	s_wait_alu 0xfffe
	s_xor_b32 s5, s5, -1
	s_wait_alu 0xfffe
	s_and_saveexec_b32 s7, s5
	s_wait_alu 0xfffe
	s_xor_b32 s5, exec_lo, s7
; %bb.52:                               ;   in Loop: Header=BB118_11 Depth=3
	v_dual_mov_b32 v56, v0 :: v_dual_mov_b32 v57, v0
	v_dual_mov_b32 v58, v0 :: v_dual_mov_b32 v59, v0
	ds_store_b128 v65, v[56:59] offset:8192
; %bb.53:                               ;   in Loop: Header=BB118_11 Depth=3
	s_wait_alu 0xfffe
	s_or_saveexec_b32 s7, s5
	v_add_co_u32 v2, s5, v38, s24
	s_wait_alu 0xf1ff
	v_add_co_ci_u32_e64 v3, null, s25, v39, s5
	s_wait_alu 0xfffe
	s_xor_b32 exec_lo, exec_lo, s7
	s_cbranch_execz .LBB118_55
; %bb.54:                               ;   in Loop: Header=BB118_11 Depth=3
	global_load_b128 v[56:59], v[2:3], off offset:-256
	s_wait_loadcnt 0x0
	ds_store_2addr_b64 v67, v[56:57], v[58:59] offset1:1
.LBB118_55:                             ;   in Loop: Header=BB118_11 Depth=3
	s_or_b32 exec_lo, exec_lo, s7
	s_and_b32 s5, s4, s6
	s_wait_alu 0xfffe
	s_xor_b32 s5, s5, -1
	s_wait_alu 0xfffe
	s_and_saveexec_b32 s6, s5
	s_wait_alu 0xfffe
	s_xor_b32 s5, exec_lo, s6
; %bb.56:                               ;   in Loop: Header=BB118_11 Depth=3
	v_dual_mov_b32 v56, v0 :: v_dual_mov_b32 v57, v0
	v_dual_mov_b32 v58, v0 :: v_dual_mov_b32 v59, v0
                                        ; implicit-def: $vgpr2_vgpr3
	ds_store_b128 v65, v[56:59] offset:8448
; %bb.57:                               ;   in Loop: Header=BB118_11 Depth=3
	s_wait_alu 0xfffe
	s_and_not1_saveexec_b32 s5, s5
	s_cbranch_execz .LBB118_10
; %bb.58:                               ;   in Loop: Header=BB118_11 Depth=3
	global_load_b128 v[56:59], v[2:3], off
	s_wait_loadcnt 0x0
	ds_store_2addr_b64 v68, v[56:57], v[58:59] offset1:1
	s_branch .LBB118_10
.LBB118_59:                             ;   in Loop: Header=BB118_8 Depth=2
	v_mul_lo_u32 v35, s29, v70
	v_mul_lo_u32 v36, s28, v71
	v_mad_co_u64_u32 v[2:3], null, s28, v70, 0
	v_cmp_gt_i32_e32 vcc_lo, s10, v70
	s_delay_alu instid0(VALU_DEP_2) | instskip(NEXT) | instid1(VALU_DEP_1)
	v_add3_u32 v3, v3, v36, v35
	v_lshlrev_b64_e32 v[2:3], 4, v[2:3]
	s_delay_alu instid0(VALU_DEP_1) | instskip(SKIP_1) | instid1(VALU_DEP_2)
	v_add_co_u32 v2, s4, s22, v2
	s_wait_alu 0xf1ff
	v_add_co_ci_u32_e64 v3, null, s23, v3, s4
	s_and_b32 s4, s1, vcc_lo
	s_wait_alu 0xfffe
	s_and_saveexec_b32 s5, s4
	s_cbranch_execz .LBB118_61
; %bb.60:                               ;   in Loop: Header=BB118_8 Depth=2
	v_add_co_u32 v56, s4, v2, v18
	s_wait_alu 0xf1ff
	v_add_co_ci_u32_e64 v57, null, v3, v19, s4
	v_mul_f64_e32 v[58:59], v[6:7], v[54:55]
	v_mul_f64_e32 v[54:55], v[4:5], v[54:55]
	global_load_b128 v[35:38], v[56:57], off
	v_fma_f64 v[58:59], v[4:5], v[52:53], -v[58:59]
	v_fma_f64 v[52:53], v[6:7], v[52:53], v[54:55]
	s_wait_loadcnt 0x0
	s_delay_alu instid0(VALU_DEP_2) | instskip(NEXT) | instid1(VALU_DEP_2)
	v_add_f64_e32 v[35:36], v[35:36], v[58:59]
	v_add_f64_e32 v[37:38], v[52:53], v[37:38]
	global_store_b128 v[56:57], v[35:38], off
.LBB118_61:                             ;   in Loop: Header=BB118_8 Depth=2
	s_wait_alu 0xfffe
	s_or_b32 exec_lo, exec_lo, s5
	s_and_b32 s5, s2, vcc_lo
	s_wait_alu 0xfffe
	s_and_saveexec_b32 s4, s5
	s_cbranch_execz .LBB118_63
; %bb.62:                               ;   in Loop: Header=BB118_8 Depth=2
	v_add_co_u32 v2, vcc_lo, v2, v26
	s_wait_alu 0xfffd
	v_add_co_ci_u32_e64 v3, null, v3, v27, vcc_lo
	v_mul_f64_e32 v[52:53], v[6:7], v[42:43]
	v_mul_f64_e32 v[42:43], v[4:5], v[42:43]
	global_load_b128 v[35:38], v[2:3], off
	v_fma_f64 v[52:53], v[4:5], v[40:41], -v[52:53]
	v_fma_f64 v[39:40], v[6:7], v[40:41], v[42:43]
	s_wait_loadcnt 0x0
	s_delay_alu instid0(VALU_DEP_2) | instskip(NEXT) | instid1(VALU_DEP_2)
	v_add_f64_e32 v[35:36], v[35:36], v[52:53]
	v_add_f64_e32 v[37:38], v[39:40], v[37:38]
	global_store_b128 v[2:3], v[35:38], off
.LBB118_63:                             ;   in Loop: Header=BB118_8 Depth=2
	s_wait_alu 0xfffe
	s_or_b32 exec_lo, exec_lo, s4
	v_add_nc_u32_e32 v35, 16, v70
	s_delay_alu instid0(VALU_DEP_1) | instskip(SKIP_3) | instid1(VALU_DEP_4)
	v_ashrrev_i32_e32 v36, 31, v35
	v_mul_lo_u32 v37, s29, v35
	v_mad_co_u64_u32 v[2:3], null, s28, v35, 0
	v_cmp_gt_i32_e32 vcc_lo, s10, v35
	v_mul_lo_u32 v36, s28, v36
	s_delay_alu instid0(VALU_DEP_1) | instskip(NEXT) | instid1(VALU_DEP_1)
	v_add3_u32 v3, v3, v36, v37
	v_lshlrev_b64_e32 v[2:3], 4, v[2:3]
	s_delay_alu instid0(VALU_DEP_1) | instskip(SKIP_1) | instid1(VALU_DEP_2)
	v_add_co_u32 v2, s4, s22, v2
	s_wait_alu 0xf1ff
	v_add_co_ci_u32_e64 v3, null, s23, v3, s4
	s_and_b32 s4, s1, vcc_lo
	s_wait_alu 0xfffe
	s_and_saveexec_b32 s5, s4
	s_cbranch_execz .LBB118_65
; %bb.64:                               ;   in Loop: Header=BB118_8 Depth=2
	v_add_co_u32 v39, s4, v2, v18
	s_wait_alu 0xf1ff
	v_add_co_ci_u32_e64 v40, null, v3, v19, s4
	v_mul_f64_e32 v[41:42], v[6:7], v[46:47]
	v_mul_f64_e32 v[46:47], v[4:5], v[46:47]
	global_load_b128 v[35:38], v[39:40], off
	v_fma_f64 v[41:42], v[4:5], v[44:45], -v[41:42]
	v_fma_f64 v[43:44], v[6:7], v[44:45], v[46:47]
	s_wait_loadcnt 0x0
	s_delay_alu instid0(VALU_DEP_2) | instskip(NEXT) | instid1(VALU_DEP_2)
	v_add_f64_e32 v[35:36], v[35:36], v[41:42]
	v_add_f64_e32 v[37:38], v[43:44], v[37:38]
	global_store_b128 v[39:40], v[35:38], off
.LBB118_65:                             ;   in Loop: Header=BB118_8 Depth=2
	s_wait_alu 0xfffe
	s_or_b32 exec_lo, exec_lo, s5
	s_and_b32 s5, s2, vcc_lo
	s_wait_alu 0xfffe
	s_and_saveexec_b32 s4, s5
	s_cbranch_execz .LBB118_7
; %bb.66:                               ;   in Loop: Header=BB118_8 Depth=2
	v_add_co_u32 v2, vcc_lo, v2, v26
	s_wait_alu 0xfffd
	v_add_co_ci_u32_e64 v3, null, v3, v27, vcc_lo
	v_mul_f64_e32 v[39:40], v[6:7], v[48:49]
	v_mul_f64_e32 v[41:42], v[4:5], v[48:49]
	global_load_b128 v[35:38], v[2:3], off
	v_fma_f64 v[39:40], v[4:5], v[50:51], -v[39:40]
	v_fma_f64 v[41:42], v[6:7], v[50:51], v[41:42]
	s_wait_loadcnt 0x0
	s_delay_alu instid0(VALU_DEP_2) | instskip(NEXT) | instid1(VALU_DEP_2)
	v_add_f64_e32 v[35:36], v[35:36], v[39:40]
	v_add_f64_e32 v[37:38], v[41:42], v[37:38]
	global_store_b128 v[2:3], v[35:38], off
	s_branch .LBB118_7
.LBB118_67:
	s_endpgm
	.section	.rodata,"a",@progbits
	.p2align	6, 0x0
	.amdhsa_kernel _ZL30rocblas_trmm_outofplace_kernelI19rocblas_complex_numIdELi32ELi2ELb1ELb1ELb1ELb1EPKS1_S2_S1_Ev17rocblas_diagonal_iiT6_lPT7_lllS7_lllPT8_llli
		.amdhsa_group_segment_fixed_size 32768
		.amdhsa_private_segment_fixed_size 0
		.amdhsa_kernarg_size 392
		.amdhsa_user_sgpr_count 2
		.amdhsa_user_sgpr_dispatch_ptr 0
		.amdhsa_user_sgpr_queue_ptr 0
		.amdhsa_user_sgpr_kernarg_segment_ptr 1
		.amdhsa_user_sgpr_dispatch_id 0
		.amdhsa_user_sgpr_private_segment_size 0
		.amdhsa_wavefront_size32 1
		.amdhsa_uses_dynamic_stack 0
		.amdhsa_enable_private_segment 0
		.amdhsa_system_sgpr_workgroup_id_x 1
		.amdhsa_system_sgpr_workgroup_id_y 1
		.amdhsa_system_sgpr_workgroup_id_z 1
		.amdhsa_system_sgpr_workgroup_info 0
		.amdhsa_system_vgpr_workitem_id 1
		.amdhsa_next_free_vgpr 92
		.amdhsa_next_free_sgpr 58
		.amdhsa_reserve_vcc 1
		.amdhsa_float_round_mode_32 0
		.amdhsa_float_round_mode_16_64 0
		.amdhsa_float_denorm_mode_32 3
		.amdhsa_float_denorm_mode_16_64 3
		.amdhsa_fp16_overflow 0
		.amdhsa_workgroup_processor_mode 1
		.amdhsa_memory_ordered 1
		.amdhsa_forward_progress 1
		.amdhsa_inst_pref_size 77
		.amdhsa_round_robin_scheduling 0
		.amdhsa_exception_fp_ieee_invalid_op 0
		.amdhsa_exception_fp_denorm_src 0
		.amdhsa_exception_fp_ieee_div_zero 0
		.amdhsa_exception_fp_ieee_overflow 0
		.amdhsa_exception_fp_ieee_underflow 0
		.amdhsa_exception_fp_ieee_inexact 0
		.amdhsa_exception_int_div_zero 0
	.end_amdhsa_kernel
	.section	.text._ZL30rocblas_trmm_outofplace_kernelI19rocblas_complex_numIdELi32ELi2ELb1ELb1ELb1ELb1EPKS1_S2_S1_Ev17rocblas_diagonal_iiT6_lPT7_lllS7_lllPT8_llli,"axG",@progbits,_ZL30rocblas_trmm_outofplace_kernelI19rocblas_complex_numIdELi32ELi2ELb1ELb1ELb1ELb1EPKS1_S2_S1_Ev17rocblas_diagonal_iiT6_lPT7_lllS7_lllPT8_llli,comdat
.Lfunc_end118:
	.size	_ZL30rocblas_trmm_outofplace_kernelI19rocblas_complex_numIdELi32ELi2ELb1ELb1ELb1ELb1EPKS1_S2_S1_Ev17rocblas_diagonal_iiT6_lPT7_lllS7_lllPT8_llli, .Lfunc_end118-_ZL30rocblas_trmm_outofplace_kernelI19rocblas_complex_numIdELi32ELi2ELb1ELb1ELb1ELb1EPKS1_S2_S1_Ev17rocblas_diagonal_iiT6_lPT7_lllS7_lllPT8_llli
                                        ; -- End function
	.set _ZL30rocblas_trmm_outofplace_kernelI19rocblas_complex_numIdELi32ELi2ELb1ELb1ELb1ELb1EPKS1_S2_S1_Ev17rocblas_diagonal_iiT6_lPT7_lllS7_lllPT8_llli.num_vgpr, 92
	.set _ZL30rocblas_trmm_outofplace_kernelI19rocblas_complex_numIdELi32ELi2ELb1ELb1ELb1ELb1EPKS1_S2_S1_Ev17rocblas_diagonal_iiT6_lPT7_lllS7_lllPT8_llli.num_agpr, 0
	.set _ZL30rocblas_trmm_outofplace_kernelI19rocblas_complex_numIdELi32ELi2ELb1ELb1ELb1ELb1EPKS1_S2_S1_Ev17rocblas_diagonal_iiT6_lPT7_lllS7_lllPT8_llli.numbered_sgpr, 58
	.set _ZL30rocblas_trmm_outofplace_kernelI19rocblas_complex_numIdELi32ELi2ELb1ELb1ELb1ELb1EPKS1_S2_S1_Ev17rocblas_diagonal_iiT6_lPT7_lllS7_lllPT8_llli.num_named_barrier, 0
	.set _ZL30rocblas_trmm_outofplace_kernelI19rocblas_complex_numIdELi32ELi2ELb1ELb1ELb1ELb1EPKS1_S2_S1_Ev17rocblas_diagonal_iiT6_lPT7_lllS7_lllPT8_llli.private_seg_size, 0
	.set _ZL30rocblas_trmm_outofplace_kernelI19rocblas_complex_numIdELi32ELi2ELb1ELb1ELb1ELb1EPKS1_S2_S1_Ev17rocblas_diagonal_iiT6_lPT7_lllS7_lllPT8_llli.uses_vcc, 1
	.set _ZL30rocblas_trmm_outofplace_kernelI19rocblas_complex_numIdELi32ELi2ELb1ELb1ELb1ELb1EPKS1_S2_S1_Ev17rocblas_diagonal_iiT6_lPT7_lllS7_lllPT8_llli.uses_flat_scratch, 0
	.set _ZL30rocblas_trmm_outofplace_kernelI19rocblas_complex_numIdELi32ELi2ELb1ELb1ELb1ELb1EPKS1_S2_S1_Ev17rocblas_diagonal_iiT6_lPT7_lllS7_lllPT8_llli.has_dyn_sized_stack, 0
	.set _ZL30rocblas_trmm_outofplace_kernelI19rocblas_complex_numIdELi32ELi2ELb1ELb1ELb1ELb1EPKS1_S2_S1_Ev17rocblas_diagonal_iiT6_lPT7_lllS7_lllPT8_llli.has_recursion, 0
	.set _ZL30rocblas_trmm_outofplace_kernelI19rocblas_complex_numIdELi32ELi2ELb1ELb1ELb1ELb1EPKS1_S2_S1_Ev17rocblas_diagonal_iiT6_lPT7_lllS7_lllPT8_llli.has_indirect_call, 0
	.section	.AMDGPU.csdata,"",@progbits
; Kernel info:
; codeLenInByte = 9752
; TotalNumSgprs: 60
; NumVgprs: 92
; ScratchSize: 0
; MemoryBound: 0
; FloatMode: 240
; IeeeMode: 1
; LDSByteSize: 32768 bytes/workgroup (compile time only)
; SGPRBlocks: 0
; VGPRBlocks: 11
; NumSGPRsForWavesPerEU: 60
; NumVGPRsForWavesPerEU: 92
; Occupancy: 16
; WaveLimiterHint : 0
; COMPUTE_PGM_RSRC2:SCRATCH_EN: 0
; COMPUTE_PGM_RSRC2:USER_SGPR: 2
; COMPUTE_PGM_RSRC2:TRAP_HANDLER: 0
; COMPUTE_PGM_RSRC2:TGID_X_EN: 1
; COMPUTE_PGM_RSRC2:TGID_Y_EN: 1
; COMPUTE_PGM_RSRC2:TGID_Z_EN: 1
; COMPUTE_PGM_RSRC2:TIDIG_COMP_CNT: 1
	.section	.text._ZL30rocblas_trmm_outofplace_kernelI19rocblas_complex_numIdELi32ELi2ELb1ELb1ELb1ELb1ES1_KS1_S1_Ev17rocblas_diagonal_iiT6_lPT7_lllS6_lllPT8_llli,"axG",@progbits,_ZL30rocblas_trmm_outofplace_kernelI19rocblas_complex_numIdELi32ELi2ELb1ELb1ELb1ELb1ES1_KS1_S1_Ev17rocblas_diagonal_iiT6_lPT7_lllS6_lllPT8_llli,comdat
	.globl	_ZL30rocblas_trmm_outofplace_kernelI19rocblas_complex_numIdELi32ELi2ELb1ELb1ELb1ELb1ES1_KS1_S1_Ev17rocblas_diagonal_iiT6_lPT7_lllS6_lllPT8_llli ; -- Begin function _ZL30rocblas_trmm_outofplace_kernelI19rocblas_complex_numIdELi32ELi2ELb1ELb1ELb1ELb1ES1_KS1_S1_Ev17rocblas_diagonal_iiT6_lPT7_lllS6_lllPT8_llli
	.p2align	8
	.type	_ZL30rocblas_trmm_outofplace_kernelI19rocblas_complex_numIdELi32ELi2ELb1ELb1ELb1ELb1ES1_KS1_S1_Ev17rocblas_diagonal_iiT6_lPT7_lllS6_lllPT8_llli,@function
_ZL30rocblas_trmm_outofplace_kernelI19rocblas_complex_numIdELi32ELi2ELb1ELb1ELb1ELb1ES1_KS1_S1_Ev17rocblas_diagonal_iiT6_lPT7_lllS6_lllPT8_llli: ; @_ZL30rocblas_trmm_outofplace_kernelI19rocblas_complex_numIdELi32ELi2ELb1ELb1ELb1ELb1ES1_KS1_S1_Ev17rocblas_diagonal_iiT6_lPT7_lllS6_lllPT8_llli
; %bb.0:
	s_load_b32 s33, s[0:1], 0x88
	s_lshr_b32 s34, ttmp7, 16
	s_wait_kmcnt 0x0
	s_cmp_ge_u32 s34, s33
	s_cbranch_scc1 .LBB119_66
; %bb.1:
	s_load_b128 s[28:31], s[0:1], 0x10
	s_wait_kmcnt 0x0
	v_cmp_eq_f64_e64 s2, s[28:29], 0
	v_cmp_eq_f64_e64 s3, s[30:31], 0
	s_and_b32 s2, s2, s3
	s_delay_alu instid0(SALU_CYCLE_1)
	s_and_b32 vcc_lo, exec_lo, s2
	s_cbranch_vccnz .LBB119_66
; %bb.2:
	s_clause 0x1
	s_load_b96 s[36:38], s[0:1], 0x0
	s_load_b512 s[4:19], s[0:1], 0x28
	s_add_nc_u64 s[40:41], s[0:1], 0x90
	s_load_b256 s[20:27], s[0:1], 0x68
	s_and_b32 s39, ttmp7, 0xffff
	v_and_b32_e32 v57, 0x3ff, v0
	v_bfe_u32 v56, v0, 10, 10
	v_mov_b32_e32 v0, 0
	s_mov_b32 s35, 0
	s_delay_alu instid0(VALU_DEP_3) | instskip(NEXT) | instid1(VALU_DEP_3)
	v_lshlrev_b32_e32 v58, 4, v57
	v_lshlrev_b32_e32 v1, 9, v56
	v_lshl_add_u32 v65, s39, 5, v56
	s_delay_alu instid0(VALU_DEP_2) | instskip(NEXT) | instid1(VALU_DEP_4)
	v_add_nc_u32_e32 v59, 0x4000, v1
	v_add_nc_u32_e32 v60, v58, v1
	s_wait_kmcnt 0x0
	s_add_co_i32 s0, s38, -1
	s_mov_b32 s42, s37
	s_ashr_i32 s1, s0, 31
	s_mov_b32 s46, s38
	s_lshr_b32 s1, s1, 27
	s_delay_alu instid0(SALU_CYCLE_1) | instskip(NEXT) | instid1(SALU_CYCLE_1)
	s_add_co_i32 s0, s0, s1
	s_ashr_i32 s47, s0, 5
	s_delay_alu instid0(SALU_CYCLE_1)
	s_cmp_le_i32 s39, s47
	s_cselect_b32 s48, -1, 0
	s_lshl_b32 s49, ttmp9, 5
	s_cmp_gt_i32 ttmp9, -1
	v_add_nc_u32_e32 v4, s49, v57
	s_cselect_b32 s50, -1, 0
	s_cmp_eq_u32 s36, 0x84
	s_cselect_b32 s51, -1, 0
	s_delay_alu instid0(VALU_DEP_1) | instskip(SKIP_3) | instid1(VALU_DEP_4)
	v_ashrrev_i32_e32 v5, 31, v4
	v_add_co_u32 v6, vcc_lo, v4, 16
	v_mul_lo_u32 v16, s9, v4
	v_mad_co_u64_u32 v[18:19], null, s8, v4, 0
	v_add_co_ci_u32_e64 v7, null, 0, v5, vcc_lo
	v_sub_co_u32 v8, vcc_lo, v4, v56
	v_mul_lo_u32 v3, s8, v5
	s_wait_alu 0xfffd
	v_subrev_co_ci_u32_e64 v9, null, 0, v5, vcc_lo
	v_lshlrev_b64_e32 v[14:15], 4, v[4:5]
	v_add_co_u32 v10, vcc_lo, v8, 16
	s_lshl_b64 s[14:15], s[14:15], 4
	s_wait_alu 0xfffd
	v_add_co_ci_u32_e64 v11, null, 0, v9, vcc_lo
	v_add_co_u32 v12, vcc_lo, v8, -16
	s_add_nc_u64 s[12:13], s[12:13], s[14:15]
	s_wait_alu 0xfffd
	v_add_co_ci_u32_e64 v13, null, -1, v9, vcc_lo
	v_add_co_u32 v17, s12, s12, v58
	v_add3_u32 v19, v19, v3, v16
	v_add_co_u32 v3, vcc_lo, 0x100, v14
	s_wait_alu 0xf1ff
	v_add_co_ci_u32_e64 v20, null, s13, 0, s12
	s_wait_alu 0xfffd
	v_add_co_ci_u32_e64 v21, null, 0, v15, vcc_lo
	v_add_co_u32 v16, vcc_lo, 0x100, v17
	v_lshlrev_b64_e32 v[18:19], 4, v[18:19]
	s_lshl_b64 s[6:7], s[6:7], 4
	s_wait_alu 0xfffd
	v_add_co_ci_u32_e64 v17, null, 0, v20, vcc_lo
	v_mul_lo_u32 v22, s8, v21
	v_mul_lo_u32 v23, s9, v3
	v_mad_co_u64_u32 v[20:21], null, s8, v3, s[6:7]
	v_add_nc_u32_e32 v1, 16, v4
	v_lshlrev_b32_e32 v3, 4, v56
	v_add_co_u32 v18, vcc_lo, v18, s6
	s_wait_alu 0xfffd
	v_add_co_ci_u32_e64 v19, null, s7, v19, vcc_lo
	v_ashrrev_i32_e32 v2, 31, v1
	v_add3_u32 v21, v23, v21, v22
	v_add_co_u32 v18, vcc_lo, v18, v3
	s_wait_alu 0xfffd
	v_add_co_ci_u32_e64 v19, null, 0, v19, vcc_lo
	v_add_co_u32 v3, vcc_lo, v20, v3
	v_cmp_gt_i32_e64 s2, s37, v1
	s_wait_alu 0xfffd
	v_add_co_ci_u32_e64 v21, null, 0, v21, vcc_lo
	v_lshlrev_b64_e32 v[22:23], 4, v[1:2]
	v_mov_b32_e32 v1, 0x3ff00000
	v_add_nc_u32_e32 v61, v59, v58
	v_add_co_u32 v18, vcc_lo, s4, v18
	s_ashr_i32 s43, s37, 31
	s_lshl_b64 s[0:1], s[22:23], 4
	s_wait_alu 0xfffd
	v_add_co_ci_u32_e64 v19, null, s5, v19, vcc_lo
	v_add_co_u32 v20, vcc_lo, s4, v3
	v_cmp_le_i64_e64 s3, s[42:43], v[6:7]
	v_add_nc_u32_e32 v62, 0x100, v61
	v_add_nc_u32_e32 v63, 0x2000, v61
	;; [unrolled: 1-line block ×3, first 2 shown]
	s_add_nc_u64 s[20:21], s[20:21], s[0:1]
	v_cmp_le_i32_e64 s0, s37, v4
	v_cmp_gt_i32_e64 s1, s37, v4
	s_wait_alu 0xfffd
	v_add_co_ci_u32_e64 v21, null, s5, v21, vcc_lo
	s_ashr_i32 s52, s38, 31
	s_add_nc_u64 s[22:23], s[42:43], -16
	s_lshl_b64 s[12:13], s[18:19], 4
	s_lshl_b64 s[14:15], s[16:17], 4
	;; [unrolled: 1-line block ×3, first 2 shown]
	s_branch .LBB119_4
.LBB119_3:                              ;   in Loop: Header=BB119_4 Depth=1
	s_add_co_i32 s34, s34, 0x10000
	s_wait_alu 0xfffe
	s_cmp_ge_u32 s34, s33
	s_cbranch_scc1 .LBB119_66
.LBB119_4:                              ; =>This Loop Header: Depth=1
                                        ;     Child Loop BB119_7 Depth 2
                                        ;       Child Loop BB119_10 Depth 3
	s_and_not1_b32 vcc_lo, exec_lo, s48
	s_wait_alu 0xfffe
	s_cbranch_vccnz .LBB119_3
; %bb.5:                                ;   in Loop: Header=BB119_4 Depth=1
	v_mad_co_u64_u32 v[24:25], null, s12, s34, v[16:17]
	s_load_b32 s9, s[40:41], 0x4
	v_mad_co_u64_u32 v[26:27], null, s10, s34, v[18:19]
	s_mul_i32 s6, s11, s34
	v_mad_co_u64_u32 v[28:29], null, s10, s34, v[20:21]
	v_mov_b32_e32 v2, v25
	s_mul_u64 s[4:5], s[26:27], s[34:35]
	s_wait_alu 0xfffe
	v_dual_mov_b32 v30, v65 :: v_dual_add_nc_u32 v27, s6, v27
	s_lshl_b64 s[4:5], s[4:5], 4
	v_mad_co_u64_u32 v[2:3], null, s13, s34, v[2:3]
	s_delay_alu instid0(VALU_DEP_4) | instskip(SKIP_3) | instid1(VALU_DEP_2)
	v_add_nc_u32_e32 v29, s6, v29
	s_wait_alu 0xfffe
	s_add_nc_u64 s[18:19], s[20:21], s[4:5]
	s_mov_b32 s54, s39
	v_mov_b32_e32 v25, v2
	s_wait_kmcnt 0x0
	s_lshl_b32 s53, s9, 5
	s_branch .LBB119_7
.LBB119_6:                              ;   in Loop: Header=BB119_7 Depth=2
	s_wait_alu 0xfffe
	s_or_b32 exec_lo, exec_lo, s4
	v_add_nc_u32_e32 v30, s53, v30
	s_add_co_i32 s54, s9, s54
	s_wait_alu 0xfffe
	s_cmp_gt_i32 s54, s47
	s_cbranch_scc1 .LBB119_3
.LBB119_7:                              ;   Parent Loop BB119_4 Depth=1
                                        ; =>  This Loop Header: Depth=2
                                        ;       Child Loop BB119_10 Depth 3
	s_wait_alu 0xfffe
	v_lshl_add_u32 v66, s54, 5, v56
	v_mov_b32_e32 v48, 0
	v_mov_b32_e32 v36, 0
	v_mov_b32_e32 v40, 0
	v_dual_mov_b32 v46, 0 :: v_dual_mov_b32 v49, 0
	v_dual_mov_b32 v50, 0 :: v_dual_mov_b32 v37, 0
	v_dual_mov_b32 v38, 0 :: v_dual_mov_b32 v41, 0
	v_dual_mov_b32 v42, 0 :: v_dual_mov_b32 v47, 0
	v_dual_mov_b32 v44, 0 :: v_dual_mov_b32 v51, 0
	v_mov_b32_e32 v39, 0
	v_mov_b32_e32 v43, 0
	v_mov_b32_e32 v45, 0
	v_ashrrev_i32_e32 v67, 31, v66
	s_and_not1_b32 vcc_lo, exec_lo, s50
	s_wait_alu 0xfffe
	s_cbranch_vccnz .LBB119_58
; %bb.8:                                ;   in Loop: Header=BB119_7 Depth=2
	v_ashrrev_i32_e32 v31, 31, v30
	v_mad_co_u64_u32 v[32:33], null, s14, v30, v[24:25]
	v_mul_lo_u32 v34, s15, v30
	v_mov_b32_e32 v44, 0
	s_delay_alu instid0(VALU_DEP_4)
	v_lshlrev_b64_e32 v[2:3], 4, v[30:31]
	v_mul_lo_u32 v31, s14, v31
	v_mov_b32_e32 v42, 0
	v_mov_b32_e32 v38, 0
	v_dual_mov_b32 v50, 0 :: v_dual_mov_b32 v45, 0
	v_mov_b32_e32 v46, 0
	v_add_co_u32 v35, vcc_lo, 0x100, v2
	s_wait_alu 0xfffd
	v_add_co_ci_u32_e64 v36, null, 0, v3, vcc_lo
	v_sub_co_u32 v2, vcc_lo, s46, v66
	v_add3_u32 v33, v34, v33, v31
	s_delay_alu instid0(VALU_DEP_3)
	v_mul_lo_u32 v31, s16, v36
	v_mul_lo_u32 v52, s17, v35
	v_mad_co_u64_u32 v[34:35], null, s16, v35, v[24:25]
	s_wait_alu 0xfffd
	v_sub_co_ci_u32_e64 v3, null, s52, v67, vcc_lo
	v_dual_mov_b32 v43, 0 :: v_dual_mov_b32 v40, 0
	v_dual_mov_b32 v39, 0 :: v_dual_mov_b32 v36, 0
	s_delay_alu instid0(VALU_DEP_3)
	v_cmp_lt_i64_e64 s4, 16, v[2:3]
	v_dual_mov_b32 v51, 0 :: v_dual_mov_b32 v48, 0
	v_mov_b32_e32 v47, 0
	v_mov_b32_e32 v41, 0
	;; [unrolled: 1-line block ×4, first 2 shown]
	v_add3_u32 v35, v52, v35, v31
	s_mov_b64 s[36:37], 0
	s_mov_b64 s[44:45], 0
	v_cmp_lt_i64_e32 vcc_lo, 0, v[2:3]
	s_branch .LBB119_10
.LBB119_9:                              ;   in Loop: Header=BB119_10 Depth=3
	s_wait_alu 0xfffe
	s_or_b32 exec_lo, exec_lo, s5
	s_wait_dscnt 0x0
	s_barrier_signal -1
	s_barrier_wait -1
	global_inv scope:SCOPE_SE
	ds_load_b128 v[52:55], v59
	ds_load_b128 v[68:71], v59 offset:16
	ds_load_b128 v[72:75], v59 offset:32
	;; [unrolled: 1-line block ×3, first 2 shown]
	ds_load_b128 v[80:83], v58
	s_add_nc_u64 s[44:45], s[44:45], 32
	s_add_nc_u64 s[36:37], s[36:37], 0x200
	s_wait_alu 0xfffe
	s_sub_co_i32 s5, s44, 32
	s_wait_alu 0xfffe
	s_cmp_ge_i32 s5, s49
	s_wait_dscnt 0x0
	v_mul_f64_e32 v[2:3], v[54:55], v[82:83]
	v_mul_f64_e32 v[84:85], v[52:53], v[82:83]
	s_delay_alu instid0(VALU_DEP_2) | instskip(NEXT) | instid1(VALU_DEP_2)
	v_fma_f64 v[2:3], v[52:53], v[80:81], -v[2:3]
	v_fma_f64 v[84:85], v[54:55], v[80:81], v[84:85]
	s_delay_alu instid0(VALU_DEP_2) | instskip(NEXT) | instid1(VALU_DEP_2)
	v_add_f64_e32 v[2:3], v[48:49], v[2:3]
	v_add_f64_e32 v[84:85], v[84:85], v[50:51]
	ds_load_b128 v[48:51], v58 offset:256
	s_wait_dscnt 0x0
	v_mul_f64_e32 v[86:87], v[54:55], v[50:51]
	s_delay_alu instid0(VALU_DEP_1) | instskip(SKIP_1) | instid1(VALU_DEP_1)
	v_fma_f64 v[86:87], v[52:53], v[48:49], -v[86:87]
	v_mul_f64_e32 v[52:53], v[52:53], v[50:51]
	v_fma_f64 v[52:53], v[54:55], v[48:49], v[52:53]
	s_delay_alu instid0(VALU_DEP_3) | instskip(NEXT) | instid1(VALU_DEP_2)
	v_add_f64_e32 v[54:55], v[36:37], v[86:87]
	v_add_f64_e32 v[52:53], v[52:53], v[38:39]
	ds_load_b128 v[36:39], v59 offset:8192
	s_wait_dscnt 0x0
	v_mul_f64_e32 v[86:87], v[38:39], v[82:83]
	v_mul_f64_e32 v[82:83], v[36:37], v[82:83]
	s_delay_alu instid0(VALU_DEP_2) | instskip(NEXT) | instid1(VALU_DEP_2)
	v_fma_f64 v[86:87], v[36:37], v[80:81], -v[86:87]
	v_fma_f64 v[80:81], v[38:39], v[80:81], v[82:83]
	s_delay_alu instid0(VALU_DEP_2) | instskip(SKIP_1) | instid1(VALU_DEP_3)
	v_add_f64_e32 v[82:83], v[40:41], v[86:87]
	v_mul_f64_e32 v[40:41], v[38:39], v[50:51]
	v_add_f64_e32 v[80:81], v[80:81], v[42:43]
	s_delay_alu instid0(VALU_DEP_2) | instskip(SKIP_1) | instid1(VALU_DEP_1)
	v_fma_f64 v[40:41], v[36:37], v[48:49], -v[40:41]
	v_mul_f64_e32 v[36:37], v[36:37], v[50:51]
	v_fma_f64 v[36:37], v[38:39], v[48:49], v[36:37]
	s_delay_alu instid0(VALU_DEP_3) | instskip(NEXT) | instid1(VALU_DEP_2)
	v_add_f64_e32 v[48:49], v[46:47], v[40:41]
	v_add_f64_e32 v[50:51], v[36:37], v[44:45]
	ds_load_b128 v[36:39], v58 offset:512
	s_wait_dscnt 0x0
	v_mul_f64_e32 v[40:41], v[70:71], v[38:39]
	v_mul_f64_e32 v[42:43], v[68:69], v[38:39]
	s_delay_alu instid0(VALU_DEP_2) | instskip(NEXT) | instid1(VALU_DEP_2)
	v_fma_f64 v[40:41], v[68:69], v[36:37], -v[40:41]
	v_fma_f64 v[42:43], v[70:71], v[36:37], v[42:43]
	s_delay_alu instid0(VALU_DEP_2) | instskip(NEXT) | instid1(VALU_DEP_2)
	v_add_f64_e32 v[2:3], v[2:3], v[40:41]
	v_add_f64_e32 v[84:85], v[42:43], v[84:85]
	ds_load_b128 v[40:43], v58 offset:768
	s_wait_dscnt 0x0
	v_mul_f64_e32 v[44:45], v[70:71], v[42:43]
	v_mul_f64_e32 v[46:47], v[68:69], v[42:43]
	s_delay_alu instid0(VALU_DEP_2) | instskip(NEXT) | instid1(VALU_DEP_2)
	v_fma_f64 v[44:45], v[68:69], v[40:41], -v[44:45]
	v_fma_f64 v[46:47], v[70:71], v[40:41], v[46:47]
	s_delay_alu instid0(VALU_DEP_2) | instskip(NEXT) | instid1(VALU_DEP_2)
	v_add_f64_e32 v[54:55], v[54:55], v[44:45]
	v_add_f64_e32 v[52:53], v[46:47], v[52:53]
	ds_load_b128 v[44:47], v59 offset:8208
	s_wait_dscnt 0x0
	v_mul_f64_e32 v[68:69], v[46:47], v[38:39]
	v_mul_f64_e32 v[38:39], v[44:45], v[38:39]
	s_delay_alu instid0(VALU_DEP_2) | instskip(NEXT) | instid1(VALU_DEP_2)
	v_fma_f64 v[68:69], v[44:45], v[36:37], -v[68:69]
	v_fma_f64 v[36:37], v[46:47], v[36:37], v[38:39]
	v_mul_f64_e32 v[38:39], v[44:45], v[42:43]
	s_delay_alu instid0(VALU_DEP_3) | instskip(NEXT) | instid1(VALU_DEP_3)
	v_add_f64_e32 v[68:69], v[82:83], v[68:69]
	v_add_f64_e32 v[70:71], v[36:37], v[80:81]
	v_mul_f64_e32 v[36:37], v[46:47], v[42:43]
	s_delay_alu instid0(VALU_DEP_4) | instskip(NEXT) | instid1(VALU_DEP_2)
	v_fma_f64 v[38:39], v[46:47], v[40:41], v[38:39]
	v_fma_f64 v[36:37], v[44:45], v[40:41], -v[36:37]
	s_delay_alu instid0(VALU_DEP_2) | instskip(NEXT) | instid1(VALU_DEP_2)
	v_add_f64_e32 v[50:51], v[38:39], v[50:51]
	v_add_f64_e32 v[48:49], v[48:49], v[36:37]
	ds_load_b128 v[36:39], v58 offset:1024
	s_wait_dscnt 0x0
	v_mul_f64_e32 v[40:41], v[74:75], v[38:39]
	v_mul_f64_e32 v[42:43], v[72:73], v[38:39]
	s_delay_alu instid0(VALU_DEP_2) | instskip(NEXT) | instid1(VALU_DEP_2)
	v_fma_f64 v[40:41], v[72:73], v[36:37], -v[40:41]
	v_fma_f64 v[42:43], v[74:75], v[36:37], v[42:43]
	s_delay_alu instid0(VALU_DEP_2) | instskip(NEXT) | instid1(VALU_DEP_2)
	v_add_f64_e32 v[2:3], v[2:3], v[40:41]
	v_add_f64_e32 v[80:81], v[42:43], v[84:85]
	ds_load_b128 v[40:43], v58 offset:1280
	s_wait_dscnt 0x0
	v_mul_f64_e32 v[44:45], v[74:75], v[42:43]
	v_mul_f64_e32 v[46:47], v[72:73], v[42:43]
	s_delay_alu instid0(VALU_DEP_2) | instskip(NEXT) | instid1(VALU_DEP_2)
	v_fma_f64 v[44:45], v[72:73], v[40:41], -v[44:45]
	v_fma_f64 v[46:47], v[74:75], v[40:41], v[46:47]
	s_delay_alu instid0(VALU_DEP_2) | instskip(NEXT) | instid1(VALU_DEP_2)
	v_add_f64_e32 v[54:55], v[54:55], v[44:45]
	v_add_f64_e32 v[52:53], v[46:47], v[52:53]
	ds_load_b128 v[44:47], v59 offset:8224
	s_wait_dscnt 0x0
	v_mul_f64_e32 v[72:73], v[46:47], v[38:39]
	v_mul_f64_e32 v[38:39], v[44:45], v[38:39]
	s_delay_alu instid0(VALU_DEP_2) | instskip(NEXT) | instid1(VALU_DEP_2)
	v_fma_f64 v[72:73], v[44:45], v[36:37], -v[72:73]
	v_fma_f64 v[36:37], v[46:47], v[36:37], v[38:39]
	v_mul_f64_e32 v[38:39], v[44:45], v[42:43]
	s_delay_alu instid0(VALU_DEP_3) | instskip(NEXT) | instid1(VALU_DEP_3)
	v_add_f64_e32 v[68:69], v[68:69], v[72:73]
	v_add_f64_e32 v[70:71], v[36:37], v[70:71]
	v_mul_f64_e32 v[36:37], v[46:47], v[42:43]
	s_delay_alu instid0(VALU_DEP_4) | instskip(NEXT) | instid1(VALU_DEP_2)
	v_fma_f64 v[38:39], v[46:47], v[40:41], v[38:39]
	v_fma_f64 v[36:37], v[44:45], v[40:41], -v[36:37]
	s_delay_alu instid0(VALU_DEP_2) | instskip(NEXT) | instid1(VALU_DEP_2)
	;; [unrolled: 38-line block ×3, first 2 shown]
	v_add_f64_e32 v[50:51], v[38:39], v[50:51]
	v_add_f64_e32 v[48:49], v[48:49], v[36:37]
	ds_load_b128 v[36:39], v59 offset:64
	ds_load_b128 v[40:43], v58 offset:2048
	s_wait_dscnt 0x0
	v_mul_f64_e32 v[44:45], v[38:39], v[42:43]
	v_mul_f64_e32 v[46:47], v[36:37], v[42:43]
	s_delay_alu instid0(VALU_DEP_2) | instskip(NEXT) | instid1(VALU_DEP_2)
	v_fma_f64 v[44:45], v[36:37], v[40:41], -v[44:45]
	v_fma_f64 v[46:47], v[38:39], v[40:41], v[46:47]
	s_delay_alu instid0(VALU_DEP_2) | instskip(NEXT) | instid1(VALU_DEP_2)
	v_add_f64_e32 v[2:3], v[2:3], v[44:45]
	v_add_f64_e32 v[72:73], v[46:47], v[72:73]
	ds_load_b128 v[44:47], v58 offset:2304
	s_wait_dscnt 0x0
	v_mul_f64_e32 v[74:75], v[38:39], v[46:47]
	s_delay_alu instid0(VALU_DEP_1) | instskip(SKIP_1) | instid1(VALU_DEP_2)
	v_fma_f64 v[74:75], v[36:37], v[44:45], -v[74:75]
	v_mul_f64_e32 v[36:37], v[36:37], v[46:47]
	v_add_f64_e32 v[54:55], v[54:55], v[74:75]
	s_delay_alu instid0(VALU_DEP_2) | instskip(NEXT) | instid1(VALU_DEP_1)
	v_fma_f64 v[36:37], v[38:39], v[44:45], v[36:37]
	v_add_f64_e32 v[52:53], v[36:37], v[52:53]
	ds_load_b128 v[36:39], v59 offset:8256
	s_wait_dscnt 0x0
	v_mul_f64_e32 v[74:75], v[38:39], v[42:43]
	v_mul_f64_e32 v[42:43], v[36:37], v[42:43]
	s_delay_alu instid0(VALU_DEP_2) | instskip(NEXT) | instid1(VALU_DEP_2)
	v_fma_f64 v[74:75], v[36:37], v[40:41], -v[74:75]
	v_fma_f64 v[40:41], v[38:39], v[40:41], v[42:43]
	s_delay_alu instid0(VALU_DEP_2) | instskip(NEXT) | instid1(VALU_DEP_2)
	v_add_f64_e32 v[68:69], v[68:69], v[74:75]
	v_add_f64_e32 v[70:71], v[40:41], v[70:71]
	v_mul_f64_e32 v[40:41], v[38:39], v[46:47]
	s_delay_alu instid0(VALU_DEP_1) | instskip(SKIP_1) | instid1(VALU_DEP_2)
	v_fma_f64 v[40:41], v[36:37], v[44:45], -v[40:41]
	v_mul_f64_e32 v[36:37], v[36:37], v[46:47]
	v_add_f64_e32 v[48:49], v[48:49], v[40:41]
	s_delay_alu instid0(VALU_DEP_2) | instskip(NEXT) | instid1(VALU_DEP_1)
	v_fma_f64 v[36:37], v[38:39], v[44:45], v[36:37]
	v_add_f64_e32 v[50:51], v[36:37], v[50:51]
	ds_load_b128 v[36:39], v59 offset:80
	ds_load_b128 v[40:43], v58 offset:2560
	s_wait_dscnt 0x0
	v_mul_f64_e32 v[44:45], v[38:39], v[42:43]
	v_mul_f64_e32 v[46:47], v[36:37], v[42:43]
	s_delay_alu instid0(VALU_DEP_2) | instskip(NEXT) | instid1(VALU_DEP_2)
	v_fma_f64 v[44:45], v[36:37], v[40:41], -v[44:45]
	v_fma_f64 v[46:47], v[38:39], v[40:41], v[46:47]
	s_delay_alu instid0(VALU_DEP_2) | instskip(NEXT) | instid1(VALU_DEP_2)
	v_add_f64_e32 v[2:3], v[2:3], v[44:45]
	v_add_f64_e32 v[72:73], v[46:47], v[72:73]
	ds_load_b128 v[44:47], v58 offset:2816
	s_wait_dscnt 0x0
	v_mul_f64_e32 v[74:75], v[38:39], v[46:47]
	s_delay_alu instid0(VALU_DEP_1) | instskip(SKIP_1) | instid1(VALU_DEP_2)
	v_fma_f64 v[74:75], v[36:37], v[44:45], -v[74:75]
	v_mul_f64_e32 v[36:37], v[36:37], v[46:47]
	v_add_f64_e32 v[54:55], v[54:55], v[74:75]
	s_delay_alu instid0(VALU_DEP_2) | instskip(NEXT) | instid1(VALU_DEP_1)
	v_fma_f64 v[36:37], v[38:39], v[44:45], v[36:37]
	v_add_f64_e32 v[52:53], v[36:37], v[52:53]
	ds_load_b128 v[36:39], v59 offset:8272
	s_wait_dscnt 0x0
	v_mul_f64_e32 v[74:75], v[38:39], v[42:43]
	v_mul_f64_e32 v[42:43], v[36:37], v[42:43]
	s_delay_alu instid0(VALU_DEP_2) | instskip(NEXT) | instid1(VALU_DEP_2)
	v_fma_f64 v[74:75], v[36:37], v[40:41], -v[74:75]
	v_fma_f64 v[40:41], v[38:39], v[40:41], v[42:43]
	s_delay_alu instid0(VALU_DEP_2) | instskip(NEXT) | instid1(VALU_DEP_2)
	v_add_f64_e32 v[68:69], v[68:69], v[74:75]
	v_add_f64_e32 v[70:71], v[40:41], v[70:71]
	v_mul_f64_e32 v[40:41], v[38:39], v[46:47]
	s_delay_alu instid0(VALU_DEP_1) | instskip(SKIP_1) | instid1(VALU_DEP_2)
	v_fma_f64 v[40:41], v[36:37], v[44:45], -v[40:41]
	v_mul_f64_e32 v[36:37], v[36:37], v[46:47]
	v_add_f64_e32 v[48:49], v[48:49], v[40:41]
	s_delay_alu instid0(VALU_DEP_2) | instskip(NEXT) | instid1(VALU_DEP_1)
	v_fma_f64 v[36:37], v[38:39], v[44:45], v[36:37]
	;; [unrolled: 39-line block ×27, first 2 shown]
	v_add_f64_e32 v[76:77], v[36:37], v[50:51]
	ds_load_b128 v[36:39], v59 offset:496
	ds_load_b128 v[40:43], v58 offset:15872
	s_wait_dscnt 0x0
	v_mul_f64_e32 v[44:45], v[38:39], v[42:43]
	v_mul_f64_e32 v[46:47], v[36:37], v[42:43]
	s_delay_alu instid0(VALU_DEP_2) | instskip(NEXT) | instid1(VALU_DEP_2)
	v_fma_f64 v[44:45], v[36:37], v[40:41], -v[44:45]
	v_fma_f64 v[46:47], v[38:39], v[40:41], v[46:47]
	s_delay_alu instid0(VALU_DEP_2) | instskip(NEXT) | instid1(VALU_DEP_2)
	v_add_f64_e32 v[48:49], v[2:3], v[44:45]
	v_add_f64_e32 v[50:51], v[46:47], v[72:73]
	ds_load_b128 v[44:47], v58 offset:16128
	s_wait_dscnt 0x0
	v_mul_f64_e32 v[2:3], v[38:39], v[46:47]
	s_delay_alu instid0(VALU_DEP_1) | instskip(SKIP_1) | instid1(VALU_DEP_1)
	v_fma_f64 v[2:3], v[36:37], v[44:45], -v[2:3]
	v_mul_f64_e32 v[36:37], v[36:37], v[46:47]
	v_fma_f64 v[38:39], v[38:39], v[44:45], v[36:37]
	s_delay_alu instid0(VALU_DEP_3) | instskip(NEXT) | instid1(VALU_DEP_2)
	v_add_f64_e32 v[36:37], v[54:55], v[2:3]
	v_add_f64_e32 v[38:39], v[38:39], v[52:53]
	ds_load_b128 v[52:55], v59 offset:8688
	s_wait_loadcnt_dscnt 0x0
	s_barrier_signal -1
	s_barrier_wait -1
	global_inv scope:SCOPE_SE
	v_mul_f64_e32 v[2:3], v[54:55], v[42:43]
	v_mul_f64_e32 v[42:43], v[52:53], v[42:43]
	s_delay_alu instid0(VALU_DEP_2) | instskip(NEXT) | instid1(VALU_DEP_2)
	v_fma_f64 v[2:3], v[52:53], v[40:41], -v[2:3]
	v_fma_f64 v[42:43], v[54:55], v[40:41], v[42:43]
	s_delay_alu instid0(VALU_DEP_2) | instskip(SKIP_2) | instid1(VALU_DEP_4)
	v_add_f64_e32 v[40:41], v[68:69], v[2:3]
	v_mul_f64_e32 v[2:3], v[54:55], v[46:47]
	v_mul_f64_e32 v[46:47], v[52:53], v[46:47]
	v_add_f64_e32 v[42:43], v[42:43], v[70:71]
	s_delay_alu instid0(VALU_DEP_3) | instskip(NEXT) | instid1(VALU_DEP_3)
	v_fma_f64 v[2:3], v[52:53], v[44:45], -v[2:3]
	v_fma_f64 v[44:45], v[54:55], v[44:45], v[46:47]
	s_delay_alu instid0(VALU_DEP_2) | instskip(NEXT) | instid1(VALU_DEP_2)
	v_add_f64_e32 v[46:47], v[74:75], v[2:3]
	v_add_f64_e32 v[44:45], v[44:45], v[76:77]
	s_cbranch_scc1 .LBB119_58
.LBB119_10:                             ;   Parent Loop BB119_4 Depth=1
                                        ;     Parent Loop BB119_7 Depth=2
                                        ; =>    This Inner Loop Header: Depth=3
	s_wait_alu 0xfffe
	v_add_co_u32 v54, s5, v56, s44
	s_wait_alu 0xf1ff
	v_add_co_ci_u32_e64 v55, null, 0, s45, s5
	v_cmp_eq_u64_e64 s7, s[44:45], v[8:9]
	s_delay_alu instid0(VALU_DEP_2)
	v_cmp_le_i64_e64 s6, s[42:43], v[54:55]
	v_cmp_gt_i64_e64 s5, v[54:55], v[4:5]
	s_and_b32 s56, s51, s7
	v_add_co_u32 v52, s7, v26, s36
	s_wait_alu 0xf1ff
	v_add_co_ci_u32_e64 v53, null, s37, v27, s7
	s_or_b32 s8, s6, s5
	s_wait_alu 0xfffe
	s_or_b32 s7, s8, s56
	s_wait_alu 0xfffe
	s_nor_b32 s7, s0, s7
	s_wait_alu 0xfffe
	s_and_saveexec_b32 s8, s7
	s_wait_alu 0xfffe
	s_xor_b32 s7, exec_lo, s8
	s_cbranch_execz .LBB119_12
; %bb.11:                               ;   in Loop: Header=BB119_10 Depth=3
	global_load_b128 v[68:71], v[52:53], off
	s_wait_loadcnt 0x0
	v_xor_b32_e32 v71, 0x80000000, v71
	ds_store_b128 v60, v[68:71]
.LBB119_12:                             ;   in Loop: Header=BB119_10 Depth=3
	s_wait_alu 0xfffe
	s_or_saveexec_b32 s7, s7
	s_xor_b32 s55, s56, -1
	s_wait_alu 0xfffe
	s_xor_b32 exec_lo, exec_lo, s7
	s_cbranch_execz .LBB119_18
; %bb.13:                               ;   in Loop: Header=BB119_10 Depth=3
	s_and_saveexec_b32 s8, s55
	s_wait_alu 0xfffe
	s_xor_b32 s8, exec_lo, s8
; %bb.14:                               ;   in Loop: Header=BB119_10 Depth=3
	v_dual_mov_b32 v68, v0 :: v_dual_mov_b32 v69, v0
	v_dual_mov_b32 v70, v0 :: v_dual_mov_b32 v71, v0
	ds_store_b128 v60, v[68:71]
; %bb.15:                               ;   in Loop: Header=BB119_10 Depth=3
	s_wait_alu 0xfffe
	s_and_not1_saveexec_b32 s8, s8
; %bb.16:                               ;   in Loop: Header=BB119_10 Depth=3
	v_dual_mov_b32 v2, v0 :: v_dual_mov_b32 v3, v0
	ds_store_b128 v60, v[0:3]
; %bb.17:                               ;   in Loop: Header=BB119_10 Depth=3
	s_wait_alu 0xfffe
	s_or_b32 exec_lo, exec_lo, s8
.LBB119_18:                             ;   in Loop: Header=BB119_10 Depth=3
	s_delay_alu instid0(SALU_CYCLE_1)
	s_or_b32 exec_lo, exec_lo, s7
	v_cmp_eq_u64_e64 s7, s[44:45], v[10:11]
	v_cmp_lt_i64_e64 s8, v[6:7], v[54:55]
	s_and_b32 s7, s51, s7
	s_or_b32 s6, s6, s8
	s_wait_alu 0xfffe
	s_or_b32 s6, s6, s7
	s_wait_alu 0xfffe
	s_nor_b32 s6, s3, s6
	s_wait_alu 0xfffe
	s_and_saveexec_b32 s8, s6
	s_wait_alu 0xfffe
	s_xor_b32 s8, exec_lo, s8
	s_cbranch_execz .LBB119_20
; %bb.19:                               ;   in Loop: Header=BB119_10 Depth=3
	v_add_co_u32 v2, s6, v28, s36
	s_wait_alu 0xf1ff
	v_add_co_ci_u32_e64 v3, null, s37, v29, s6
	global_load_b128 v[68:71], v[2:3], off
	s_wait_loadcnt 0x0
	v_xor_b32_e32 v71, 0x80000000, v71
	ds_store_b128 v60, v[68:71] offset:256
.LBB119_20:                             ;   in Loop: Header=BB119_10 Depth=3
	s_wait_alu 0xfffe
	s_and_not1_saveexec_b32 s6, s8
	s_cbranch_execz .LBB119_26
; %bb.21:                               ;   in Loop: Header=BB119_10 Depth=3
	s_xor_b32 s7, s7, -1
	s_wait_alu 0xfffe
	s_and_saveexec_b32 s8, s7
	s_wait_alu 0xfffe
	s_xor_b32 s7, exec_lo, s8
; %bb.22:                               ;   in Loop: Header=BB119_10 Depth=3
	v_dual_mov_b32 v68, v0 :: v_dual_mov_b32 v69, v0
	v_dual_mov_b32 v70, v0 :: v_dual_mov_b32 v71, v0
	ds_store_b128 v60, v[68:71] offset:256
; %bb.23:                               ;   in Loop: Header=BB119_10 Depth=3
	s_wait_alu 0xfffe
	s_and_not1_saveexec_b32 s7, s7
; %bb.24:                               ;   in Loop: Header=BB119_10 Depth=3
	v_dual_mov_b32 v2, v0 :: v_dual_mov_b32 v3, v0
	ds_store_b128 v60, v[0:3] offset:256
; %bb.25:                               ;   in Loop: Header=BB119_10 Depth=3
	s_wait_alu 0xfffe
	s_or_b32 exec_lo, exec_lo, s7
.LBB119_26:                             ;   in Loop: Header=BB119_10 Depth=3
	s_wait_alu 0xfffe
	s_or_b32 exec_lo, exec_lo, s6
	v_add_co_u32 v2, s6, v54, 16
	s_wait_alu 0xf1ff
	v_add_co_ci_u32_e64 v3, null, 0, v55, s6
	v_cmp_eq_u64_e64 s7, s[44:45], v[12:13]
	s_delay_alu instid0(VALU_DEP_2)
	v_cmp_le_i64_e64 s6, s[42:43], v[2:3]
	v_cmp_gt_i64_e64 s8, v[2:3], v[4:5]
	s_and_b32 s57, s51, s7
	s_or_b32 s7, s6, s8
	s_wait_alu 0xfffe
	s_or_b32 s7, s7, s57
	s_wait_alu 0xfffe
	s_nor_b32 s7, s0, s7
	s_wait_alu 0xfffe
	s_and_saveexec_b32 s8, s7
	s_wait_alu 0xfffe
	s_xor_b32 s7, exec_lo, s8
	s_cbranch_execz .LBB119_28
; %bb.27:                               ;   in Loop: Header=BB119_10 Depth=3
	global_load_b128 v[52:55], v[52:53], off offset:256
	s_wait_loadcnt 0x0
	v_xor_b32_e32 v55, 0x80000000, v55
	ds_store_b128 v60, v[52:55] offset:8192
.LBB119_28:                             ;   in Loop: Header=BB119_10 Depth=3
	s_wait_alu 0xfffe
	s_and_not1_saveexec_b32 s7, s7
	s_cbranch_execz .LBB119_34
; %bb.29:                               ;   in Loop: Header=BB119_10 Depth=3
	s_xor_b32 s8, s57, -1
	s_wait_alu 0xfffe
	s_and_saveexec_b32 s57, s8
	s_delay_alu instid0(SALU_CYCLE_1)
	s_xor_b32 s8, exec_lo, s57
; %bb.30:                               ;   in Loop: Header=BB119_10 Depth=3
	v_dual_mov_b32 v52, v0 :: v_dual_mov_b32 v53, v0
	v_dual_mov_b32 v54, v0 :: v_dual_mov_b32 v55, v0
	ds_store_b128 v60, v[52:55] offset:8192
; %bb.31:                               ;   in Loop: Header=BB119_10 Depth=3
	s_wait_alu 0xfffe
	s_and_not1_saveexec_b32 s8, s8
; %bb.32:                               ;   in Loop: Header=BB119_10 Depth=3
	v_dual_mov_b32 v2, v0 :: v_dual_mov_b32 v3, v0
	ds_store_b128 v60, v[0:3] offset:8192
; %bb.33:                               ;   in Loop: Header=BB119_10 Depth=3
	s_wait_alu 0xfffe
	s_or_b32 exec_lo, exec_lo, s8
.LBB119_34:                             ;   in Loop: Header=BB119_10 Depth=3
	s_wait_alu 0xfffe
	s_or_b32 exec_lo, exec_lo, s7
	s_or_b32 s5, s6, s5
	s_wait_alu 0xfffe
	s_or_b32 s5, s5, s56
	s_wait_alu 0xfffe
	s_nor_b32 s5, s3, s5
	s_wait_alu 0xfffe
	s_and_saveexec_b32 s6, s5
	s_wait_alu 0xfffe
	s_xor_b32 s6, exec_lo, s6
	s_cbranch_execz .LBB119_36
; %bb.35:                               ;   in Loop: Header=BB119_10 Depth=3
	v_add_co_u32 v2, s5, v28, s36
	s_wait_alu 0xf1ff
	v_add_co_ci_u32_e64 v3, null, s37, v29, s5
	global_load_b128 v[52:55], v[2:3], off offset:256
	s_wait_loadcnt 0x0
	v_xor_b32_e32 v55, 0x80000000, v55
	ds_store_b128 v60, v[52:55] offset:8448
.LBB119_36:                             ;   in Loop: Header=BB119_10 Depth=3
	s_wait_alu 0xfffe
	s_and_not1_saveexec_b32 s5, s6
	s_cbranch_execz .LBB119_42
; %bb.37:                               ;   in Loop: Header=BB119_10 Depth=3
	s_and_saveexec_b32 s6, s55
	s_wait_alu 0xfffe
	s_xor_b32 s6, exec_lo, s6
; %bb.38:                               ;   in Loop: Header=BB119_10 Depth=3
	v_dual_mov_b32 v52, v0 :: v_dual_mov_b32 v53, v0
	v_dual_mov_b32 v54, v0 :: v_dual_mov_b32 v55, v0
	ds_store_b128 v60, v[52:55] offset:8448
; %bb.39:                               ;   in Loop: Header=BB119_10 Depth=3
	s_wait_alu 0xfffe
	s_and_not1_saveexec_b32 s6, s6
; %bb.40:                               ;   in Loop: Header=BB119_10 Depth=3
	v_dual_mov_b32 v2, v0 :: v_dual_mov_b32 v3, v0
	ds_store_b128 v60, v[0:3] offset:8448
; %bb.41:                               ;   in Loop: Header=BB119_10 Depth=3
	s_wait_alu 0xfffe
	s_or_b32 exec_lo, exec_lo, s6
.LBB119_42:                             ;   in Loop: Header=BB119_10 Depth=3
	s_wait_alu 0xfffe
	s_or_b32 exec_lo, exec_lo, s5
	v_add_co_u32 v2, s5, v57, s44
	s_wait_alu 0xf1ff
	v_add_co_ci_u32_e64 v3, null, 0, s45, s5
	s_delay_alu instid0(VALU_DEP_1)
	v_cmp_gt_i64_e64 s5, s[42:43], v[2:3]
	s_and_b32 s6, vcc_lo, s5
	s_wait_alu 0xfffe
	s_xor_b32 s6, s6, -1
	s_wait_alu 0xfffe
	s_and_saveexec_b32 s7, s6
	s_wait_alu 0xfffe
	s_xor_b32 s6, exec_lo, s7
; %bb.43:                               ;   in Loop: Header=BB119_10 Depth=3
	v_dual_mov_b32 v52, v0 :: v_dual_mov_b32 v53, v0
	v_dual_mov_b32 v54, v0 :: v_dual_mov_b32 v55, v0
	ds_store_b128 v61, v[52:55]
; %bb.44:                               ;   in Loop: Header=BB119_10 Depth=3
	s_wait_alu 0xfffe
	s_or_saveexec_b32 s7, s6
	v_add_co_u32 v52, s6, v32, s36
	s_wait_alu 0xf1ff
	v_add_co_ci_u32_e64 v53, null, s37, v33, s6
	s_wait_alu 0xfffe
	s_xor_b32 exec_lo, exec_lo, s7
	s_cbranch_execz .LBB119_46
; %bb.45:                               ;   in Loop: Header=BB119_10 Depth=3
	global_load_b128 v[68:71], v[52:53], off offset:-256
	s_wait_loadcnt 0x0
	ds_store_2addr_b64 v61, v[68:69], v[70:71] offset1:1
.LBB119_46:                             ;   in Loop: Header=BB119_10 Depth=3
	s_or_b32 exec_lo, exec_lo, s7
	v_cmp_gt_i64_e64 s6, s[22:23], v[2:3]
	s_and_b32 s7, vcc_lo, s6
	s_wait_alu 0xfffe
	s_xor_b32 s7, s7, -1
	s_wait_alu 0xfffe
	s_and_saveexec_b32 s8, s7
	s_wait_alu 0xfffe
	s_xor_b32 s7, exec_lo, s8
; %bb.47:                               ;   in Loop: Header=BB119_10 Depth=3
	v_dual_mov_b32 v52, v0 :: v_dual_mov_b32 v53, v0
	v_dual_mov_b32 v54, v0 :: v_dual_mov_b32 v55, v0
	ds_store_b128 v61, v[52:55] offset:256
                                        ; implicit-def: $vgpr52_vgpr53
; %bb.48:                               ;   in Loop: Header=BB119_10 Depth=3
	s_wait_alu 0xfffe
	s_and_not1_saveexec_b32 s7, s7
	s_cbranch_execz .LBB119_50
; %bb.49:                               ;   in Loop: Header=BB119_10 Depth=3
	global_load_b128 v[52:55], v[52:53], off
	s_wait_loadcnt 0x0
	ds_store_2addr_b64 v62, v[52:53], v[54:55] offset1:1
.LBB119_50:                             ;   in Loop: Header=BB119_10 Depth=3
	s_wait_alu 0xfffe
	s_or_b32 exec_lo, exec_lo, s7
	s_and_b32 s5, s4, s5
	s_wait_alu 0xfffe
	s_xor_b32 s5, s5, -1
	s_wait_alu 0xfffe
	s_and_saveexec_b32 s7, s5
	s_wait_alu 0xfffe
	s_xor_b32 s5, exec_lo, s7
; %bb.51:                               ;   in Loop: Header=BB119_10 Depth=3
	v_dual_mov_b32 v52, v0 :: v_dual_mov_b32 v53, v0
	v_dual_mov_b32 v54, v0 :: v_dual_mov_b32 v55, v0
	ds_store_b128 v61, v[52:55] offset:8192
; %bb.52:                               ;   in Loop: Header=BB119_10 Depth=3
	s_wait_alu 0xfffe
	s_or_saveexec_b32 s7, s5
	v_add_co_u32 v2, s5, v34, s36
	s_wait_alu 0xf1ff
	v_add_co_ci_u32_e64 v3, null, s37, v35, s5
	s_wait_alu 0xfffe
	s_xor_b32 exec_lo, exec_lo, s7
	s_cbranch_execz .LBB119_54
; %bb.53:                               ;   in Loop: Header=BB119_10 Depth=3
	global_load_b128 v[52:55], v[2:3], off offset:-256
	s_wait_loadcnt 0x0
	ds_store_2addr_b64 v63, v[52:53], v[54:55] offset1:1
.LBB119_54:                             ;   in Loop: Header=BB119_10 Depth=3
	s_or_b32 exec_lo, exec_lo, s7
	s_and_b32 s5, s4, s6
	s_wait_alu 0xfffe
	s_xor_b32 s5, s5, -1
	s_wait_alu 0xfffe
	s_and_saveexec_b32 s6, s5
	s_wait_alu 0xfffe
	s_xor_b32 s5, exec_lo, s6
; %bb.55:                               ;   in Loop: Header=BB119_10 Depth=3
	v_dual_mov_b32 v52, v0 :: v_dual_mov_b32 v53, v0
	v_dual_mov_b32 v54, v0 :: v_dual_mov_b32 v55, v0
                                        ; implicit-def: $vgpr2_vgpr3
	ds_store_b128 v61, v[52:55] offset:8448
; %bb.56:                               ;   in Loop: Header=BB119_10 Depth=3
	s_wait_alu 0xfffe
	s_and_not1_saveexec_b32 s5, s5
	s_cbranch_execz .LBB119_9
; %bb.57:                               ;   in Loop: Header=BB119_10 Depth=3
	global_load_b128 v[52:55], v[2:3], off
	s_wait_loadcnt 0x0
	ds_store_2addr_b64 v64, v[52:53], v[54:55] offset1:1
	s_branch .LBB119_9
.LBB119_58:                             ;   in Loop: Header=BB119_7 Depth=2
	v_mul_lo_u32 v31, s25, v66
	v_mul_lo_u32 v32, s24, v67
	v_mad_co_u64_u32 v[2:3], null, s24, v66, 0
	v_cmp_gt_i32_e32 vcc_lo, s38, v66
	s_delay_alu instid0(VALU_DEP_2) | instskip(NEXT) | instid1(VALU_DEP_1)
	v_add3_u32 v3, v3, v32, v31
	v_lshlrev_b64_e32 v[2:3], 4, v[2:3]
	s_delay_alu instid0(VALU_DEP_1) | instskip(SKIP_1) | instid1(VALU_DEP_2)
	v_add_co_u32 v2, s4, s18, v2
	s_wait_alu 0xf1ff
	v_add_co_ci_u32_e64 v3, null, s19, v3, s4
	s_and_b32 s4, s1, vcc_lo
	s_wait_alu 0xfffe
	s_and_saveexec_b32 s5, s4
	s_cbranch_execz .LBB119_60
; %bb.59:                               ;   in Loop: Header=BB119_7 Depth=2
	v_add_co_u32 v52, s4, v2, v14
	s_wait_alu 0xf1ff
	v_add_co_ci_u32_e64 v53, null, v3, v15, s4
	v_mul_f64_e32 v[54:55], s[30:31], v[50:51]
	v_mul_f64_e32 v[50:51], s[28:29], v[50:51]
	global_load_b128 v[31:34], v[52:53], off
	v_fma_f64 v[54:55], s[28:29], v[48:49], -v[54:55]
	v_fma_f64 v[48:49], s[30:31], v[48:49], v[50:51]
	s_wait_loadcnt 0x0
	s_delay_alu instid0(VALU_DEP_2) | instskip(NEXT) | instid1(VALU_DEP_2)
	v_add_f64_e32 v[31:32], v[31:32], v[54:55]
	v_add_f64_e32 v[33:34], v[48:49], v[33:34]
	global_store_b128 v[52:53], v[31:34], off
.LBB119_60:                             ;   in Loop: Header=BB119_7 Depth=2
	s_wait_alu 0xfffe
	s_or_b32 exec_lo, exec_lo, s5
	s_and_b32 s5, s2, vcc_lo
	s_wait_alu 0xfffe
	s_and_saveexec_b32 s4, s5
	s_cbranch_execz .LBB119_62
; %bb.61:                               ;   in Loop: Header=BB119_7 Depth=2
	v_add_co_u32 v2, vcc_lo, v2, v22
	s_wait_alu 0xfffd
	v_add_co_ci_u32_e64 v3, null, v3, v23, vcc_lo
	v_mul_f64_e32 v[48:49], s[30:31], v[38:39]
	v_mul_f64_e32 v[38:39], s[28:29], v[38:39]
	global_load_b128 v[31:34], v[2:3], off
	v_fma_f64 v[48:49], s[28:29], v[36:37], -v[48:49]
	v_fma_f64 v[35:36], s[30:31], v[36:37], v[38:39]
	s_wait_loadcnt 0x0
	s_delay_alu instid0(VALU_DEP_2) | instskip(NEXT) | instid1(VALU_DEP_2)
	v_add_f64_e32 v[31:32], v[31:32], v[48:49]
	v_add_f64_e32 v[33:34], v[35:36], v[33:34]
	global_store_b128 v[2:3], v[31:34], off
.LBB119_62:                             ;   in Loop: Header=BB119_7 Depth=2
	s_wait_alu 0xfffe
	s_or_b32 exec_lo, exec_lo, s4
	v_add_nc_u32_e32 v31, 16, v66
	s_delay_alu instid0(VALU_DEP_1) | instskip(SKIP_3) | instid1(VALU_DEP_4)
	v_ashrrev_i32_e32 v32, 31, v31
	v_mul_lo_u32 v33, s25, v31
	v_mad_co_u64_u32 v[2:3], null, s24, v31, 0
	v_cmp_gt_i32_e32 vcc_lo, s38, v31
	v_mul_lo_u32 v32, s24, v32
	s_delay_alu instid0(VALU_DEP_1) | instskip(NEXT) | instid1(VALU_DEP_1)
	v_add3_u32 v3, v3, v32, v33
	v_lshlrev_b64_e32 v[2:3], 4, v[2:3]
	s_delay_alu instid0(VALU_DEP_1) | instskip(SKIP_1) | instid1(VALU_DEP_2)
	v_add_co_u32 v2, s4, s18, v2
	s_wait_alu 0xf1ff
	v_add_co_ci_u32_e64 v3, null, s19, v3, s4
	s_and_b32 s4, s1, vcc_lo
	s_wait_alu 0xfffe
	s_and_saveexec_b32 s5, s4
	s_cbranch_execz .LBB119_64
; %bb.63:                               ;   in Loop: Header=BB119_7 Depth=2
	v_add_co_u32 v35, s4, v2, v14
	s_wait_alu 0xf1ff
	v_add_co_ci_u32_e64 v36, null, v3, v15, s4
	v_mul_f64_e32 v[37:38], s[30:31], v[42:43]
	v_mul_f64_e32 v[42:43], s[28:29], v[42:43]
	global_load_b128 v[31:34], v[35:36], off
	v_fma_f64 v[37:38], s[28:29], v[40:41], -v[37:38]
	v_fma_f64 v[39:40], s[30:31], v[40:41], v[42:43]
	s_wait_loadcnt 0x0
	s_delay_alu instid0(VALU_DEP_2) | instskip(NEXT) | instid1(VALU_DEP_2)
	v_add_f64_e32 v[31:32], v[31:32], v[37:38]
	v_add_f64_e32 v[33:34], v[39:40], v[33:34]
	global_store_b128 v[35:36], v[31:34], off
.LBB119_64:                             ;   in Loop: Header=BB119_7 Depth=2
	s_wait_alu 0xfffe
	s_or_b32 exec_lo, exec_lo, s5
	s_and_b32 s5, s2, vcc_lo
	s_wait_alu 0xfffe
	s_and_saveexec_b32 s4, s5
	s_cbranch_execz .LBB119_6
; %bb.65:                               ;   in Loop: Header=BB119_7 Depth=2
	v_add_co_u32 v2, vcc_lo, v2, v22
	s_wait_alu 0xfffd
	v_add_co_ci_u32_e64 v3, null, v3, v23, vcc_lo
	v_mul_f64_e32 v[35:36], s[30:31], v[44:45]
	v_mul_f64_e32 v[37:38], s[28:29], v[44:45]
	global_load_b128 v[31:34], v[2:3], off
	v_fma_f64 v[35:36], s[28:29], v[46:47], -v[35:36]
	v_fma_f64 v[37:38], s[30:31], v[46:47], v[37:38]
	s_wait_loadcnt 0x0
	s_delay_alu instid0(VALU_DEP_2) | instskip(NEXT) | instid1(VALU_DEP_2)
	v_add_f64_e32 v[31:32], v[31:32], v[35:36]
	v_add_f64_e32 v[33:34], v[37:38], v[33:34]
	global_store_b128 v[2:3], v[31:34], off
	s_branch .LBB119_6
.LBB119_66:
	s_endpgm
	.section	.rodata,"a",@progbits
	.p2align	6, 0x0
	.amdhsa_kernel _ZL30rocblas_trmm_outofplace_kernelI19rocblas_complex_numIdELi32ELi2ELb1ELb1ELb1ELb1ES1_KS1_S1_Ev17rocblas_diagonal_iiT6_lPT7_lllS6_lllPT8_llli
		.amdhsa_group_segment_fixed_size 32768
		.amdhsa_private_segment_fixed_size 0
		.amdhsa_kernarg_size 400
		.amdhsa_user_sgpr_count 2
		.amdhsa_user_sgpr_dispatch_ptr 0
		.amdhsa_user_sgpr_queue_ptr 0
		.amdhsa_user_sgpr_kernarg_segment_ptr 1
		.amdhsa_user_sgpr_dispatch_id 0
		.amdhsa_user_sgpr_private_segment_size 0
		.amdhsa_wavefront_size32 1
		.amdhsa_uses_dynamic_stack 0
		.amdhsa_enable_private_segment 0
		.amdhsa_system_sgpr_workgroup_id_x 1
		.amdhsa_system_sgpr_workgroup_id_y 1
		.amdhsa_system_sgpr_workgroup_id_z 1
		.amdhsa_system_sgpr_workgroup_info 0
		.amdhsa_system_vgpr_workitem_id 1
		.amdhsa_next_free_vgpr 88
		.amdhsa_next_free_sgpr 58
		.amdhsa_reserve_vcc 1
		.amdhsa_float_round_mode_32 0
		.amdhsa_float_round_mode_16_64 0
		.amdhsa_float_denorm_mode_32 3
		.amdhsa_float_denorm_mode_16_64 3
		.amdhsa_fp16_overflow 0
		.amdhsa_workgroup_processor_mode 1
		.amdhsa_memory_ordered 1
		.amdhsa_forward_progress 1
		.amdhsa_inst_pref_size 76
		.amdhsa_round_robin_scheduling 0
		.amdhsa_exception_fp_ieee_invalid_op 0
		.amdhsa_exception_fp_denorm_src 0
		.amdhsa_exception_fp_ieee_div_zero 0
		.amdhsa_exception_fp_ieee_overflow 0
		.amdhsa_exception_fp_ieee_underflow 0
		.amdhsa_exception_fp_ieee_inexact 0
		.amdhsa_exception_int_div_zero 0
	.end_amdhsa_kernel
	.section	.text._ZL30rocblas_trmm_outofplace_kernelI19rocblas_complex_numIdELi32ELi2ELb1ELb1ELb1ELb1ES1_KS1_S1_Ev17rocblas_diagonal_iiT6_lPT7_lllS6_lllPT8_llli,"axG",@progbits,_ZL30rocblas_trmm_outofplace_kernelI19rocblas_complex_numIdELi32ELi2ELb1ELb1ELb1ELb1ES1_KS1_S1_Ev17rocblas_diagonal_iiT6_lPT7_lllS6_lllPT8_llli,comdat
.Lfunc_end119:
	.size	_ZL30rocblas_trmm_outofplace_kernelI19rocblas_complex_numIdELi32ELi2ELb1ELb1ELb1ELb1ES1_KS1_S1_Ev17rocblas_diagonal_iiT6_lPT7_lllS6_lllPT8_llli, .Lfunc_end119-_ZL30rocblas_trmm_outofplace_kernelI19rocblas_complex_numIdELi32ELi2ELb1ELb1ELb1ELb1ES1_KS1_S1_Ev17rocblas_diagonal_iiT6_lPT7_lllS6_lllPT8_llli
                                        ; -- End function
	.set _ZL30rocblas_trmm_outofplace_kernelI19rocblas_complex_numIdELi32ELi2ELb1ELb1ELb1ELb1ES1_KS1_S1_Ev17rocblas_diagonal_iiT6_lPT7_lllS6_lllPT8_llli.num_vgpr, 88
	.set _ZL30rocblas_trmm_outofplace_kernelI19rocblas_complex_numIdELi32ELi2ELb1ELb1ELb1ELb1ES1_KS1_S1_Ev17rocblas_diagonal_iiT6_lPT7_lllS6_lllPT8_llli.num_agpr, 0
	.set _ZL30rocblas_trmm_outofplace_kernelI19rocblas_complex_numIdELi32ELi2ELb1ELb1ELb1ELb1ES1_KS1_S1_Ev17rocblas_diagonal_iiT6_lPT7_lllS6_lllPT8_llli.numbered_sgpr, 58
	.set _ZL30rocblas_trmm_outofplace_kernelI19rocblas_complex_numIdELi32ELi2ELb1ELb1ELb1ELb1ES1_KS1_S1_Ev17rocblas_diagonal_iiT6_lPT7_lllS6_lllPT8_llli.num_named_barrier, 0
	.set _ZL30rocblas_trmm_outofplace_kernelI19rocblas_complex_numIdELi32ELi2ELb1ELb1ELb1ELb1ES1_KS1_S1_Ev17rocblas_diagonal_iiT6_lPT7_lllS6_lllPT8_llli.private_seg_size, 0
	.set _ZL30rocblas_trmm_outofplace_kernelI19rocblas_complex_numIdELi32ELi2ELb1ELb1ELb1ELb1ES1_KS1_S1_Ev17rocblas_diagonal_iiT6_lPT7_lllS6_lllPT8_llli.uses_vcc, 1
	.set _ZL30rocblas_trmm_outofplace_kernelI19rocblas_complex_numIdELi32ELi2ELb1ELb1ELb1ELb1ES1_KS1_S1_Ev17rocblas_diagonal_iiT6_lPT7_lllS6_lllPT8_llli.uses_flat_scratch, 0
	.set _ZL30rocblas_trmm_outofplace_kernelI19rocblas_complex_numIdELi32ELi2ELb1ELb1ELb1ELb1ES1_KS1_S1_Ev17rocblas_diagonal_iiT6_lPT7_lllS6_lllPT8_llli.has_dyn_sized_stack, 0
	.set _ZL30rocblas_trmm_outofplace_kernelI19rocblas_complex_numIdELi32ELi2ELb1ELb1ELb1ELb1ES1_KS1_S1_Ev17rocblas_diagonal_iiT6_lPT7_lllS6_lllPT8_llli.has_recursion, 0
	.set _ZL30rocblas_trmm_outofplace_kernelI19rocblas_complex_numIdELi32ELi2ELb1ELb1ELb1ELb1ES1_KS1_S1_Ev17rocblas_diagonal_iiT6_lPT7_lllS6_lllPT8_llli.has_indirect_call, 0
	.section	.AMDGPU.csdata,"",@progbits
; Kernel info:
; codeLenInByte = 9692
; TotalNumSgprs: 60
; NumVgprs: 88
; ScratchSize: 0
; MemoryBound: 0
; FloatMode: 240
; IeeeMode: 1
; LDSByteSize: 32768 bytes/workgroup (compile time only)
; SGPRBlocks: 0
; VGPRBlocks: 10
; NumSGPRsForWavesPerEU: 60
; NumVGPRsForWavesPerEU: 88
; Occupancy: 16
; WaveLimiterHint : 0
; COMPUTE_PGM_RSRC2:SCRATCH_EN: 0
; COMPUTE_PGM_RSRC2:USER_SGPR: 2
; COMPUTE_PGM_RSRC2:TRAP_HANDLER: 0
; COMPUTE_PGM_RSRC2:TGID_X_EN: 1
; COMPUTE_PGM_RSRC2:TGID_Y_EN: 1
; COMPUTE_PGM_RSRC2:TGID_Z_EN: 1
; COMPUTE_PGM_RSRC2:TIDIG_COMP_CNT: 1
	.section	.text._ZL30rocblas_trmm_outofplace_kernelI19rocblas_complex_numIdELi32ELi2ELb0ELb0ELb0ELb0EPKS1_S2_S1_Ev17rocblas_diagonal_iiT6_lPT7_lllS7_lllPT8_llli,"axG",@progbits,_ZL30rocblas_trmm_outofplace_kernelI19rocblas_complex_numIdELi32ELi2ELb0ELb0ELb0ELb0EPKS1_S2_S1_Ev17rocblas_diagonal_iiT6_lPT7_lllS7_lllPT8_llli,comdat
	.globl	_ZL30rocblas_trmm_outofplace_kernelI19rocblas_complex_numIdELi32ELi2ELb0ELb0ELb0ELb0EPKS1_S2_S1_Ev17rocblas_diagonal_iiT6_lPT7_lllS7_lllPT8_llli ; -- Begin function _ZL30rocblas_trmm_outofplace_kernelI19rocblas_complex_numIdELi32ELi2ELb0ELb0ELb0ELb0EPKS1_S2_S1_Ev17rocblas_diagonal_iiT6_lPT7_lllS7_lllPT8_llli
	.p2align	8
	.type	_ZL30rocblas_trmm_outofplace_kernelI19rocblas_complex_numIdELi32ELi2ELb0ELb0ELb0ELb0EPKS1_S2_S1_Ev17rocblas_diagonal_iiT6_lPT7_lllS7_lllPT8_llli,@function
_ZL30rocblas_trmm_outofplace_kernelI19rocblas_complex_numIdELi32ELi2ELb0ELb0ELb0ELb0EPKS1_S2_S1_Ev17rocblas_diagonal_iiT6_lPT7_lllS7_lllPT8_llli: ; @_ZL30rocblas_trmm_outofplace_kernelI19rocblas_complex_numIdELi32ELi2ELb0ELb0ELb0ELb0EPKS1_S2_S1_Ev17rocblas_diagonal_iiT6_lPT7_lllS7_lllPT8_llli
; %bb.0:
	s_load_b32 s11, s[0:1], 0x80
	s_lshr_b32 s34, ttmp7, 16
	s_wait_kmcnt 0x0
	s_cmp_ge_u32 s34, s11
	s_cbranch_scc1 .LBB120_68
; %bb.1:
	s_clause 0x3
	s_load_b96 s[8:10], s[0:1], 0x0
	s_load_b256 s[36:43], s[0:1], 0x50
	s_load_b512 s[12:27], s[0:1], 0x10
	s_load_b128 s[28:31], s[0:1], 0x70
	v_and_b32_e32 v4, 0x3ff, v0
	s_add_nc_u64 s[44:45], s[0:1], 0x88
	v_bfe_u32 v62, v0, 10, 10
	s_and_b32 s33, ttmp7, 0xffff
	s_mov_b32 s35, 0
	v_lshl_add_u32 v0, ttmp9, 5, v4
	v_lshlrev_b32_e32 v2, 4, v4
	v_lshlrev_b32_e32 v63, 9, v62
	s_delay_alu instid0(VALU_DEP_3) | instskip(NEXT) | instid1(VALU_DEP_3)
	v_ashrrev_i32_e32 v1, 31, v0
	v_or_b32_e32 v64, 0x4000, v2
	s_delay_alu instid0(VALU_DEP_3) | instskip(SKIP_1) | instid1(VALU_DEP_4)
	v_add_nc_u32_e32 v65, v63, v2
	v_add_nc_u32_e32 v12, 16, v0
	v_lshlrev_b64_e32 v[14:15], 4, v[0:1]
	s_delay_alu instid0(VALU_DEP_3)
	v_add_nc_u32_e32 v67, 0x2100, v65
	s_wait_kmcnt 0x0
	s_add_co_i32 s2, s10, -1
	v_sub_co_u32 v2, vcc_lo, s9, v0
	s_ashr_i32 s0, s2, 31
	v_ashrrev_i32_e32 v13, 31, v12
	s_wait_alu 0xfffe
	s_lshr_b32 s3, s0, 27
	s_lshl_b64 s[0:1], s[42:43], 4
	s_add_co_i32 s2, s2, s3
	s_wait_alu 0xfffe
	s_add_nc_u64 s[40:41], s[40:41], s[0:1]
	s_ashr_i32 s54, s2, 5
	v_cmp_gt_i32_e64 s3, s9, v12
	s_cmp_le_i32 s33, s54
	s_mov_b32 s42, s10
	s_cselect_b32 s55, -1, 0
	s_cmp_eq_u32 s8, 0x84
	s_cselect_b32 s56, -1, 0
	s_ashr_i32 s2, s9, 31
	s_lshl_b32 s4, s33, 5
	v_sub_co_ci_u32_e64 v3, null, s2, v1, vcc_lo
	v_add_nc_u32_e32 v71, s4, v4
	v_add_nc_u32_e32 v72, s4, v62
	s_lshl_b64 s[4:5], s[26:27], 4
	v_cmp_gt_i32_e64 s2, s9, v0
	v_mov_b32_e32 v0, 0
	v_add_nc_u32_e32 v66, v64, v63
	s_wait_alu 0xfffe
	s_add_nc_u64 s[4:5], s[24:25], s[4:5]
	v_cmp_gt_i64_e64 s0, 1, v[2:3]
	s_wait_alu 0xfffe
	v_add_co_u32 v16, vcc_lo, s4, v14
	v_cmp_gt_i64_e64 s1, 17, v[2:3]
	s_lshl_b64 s[6:7], s[18:19], 4
	v_add_nc_u32_e32 v68, 0x100, v66
	v_add_nc_u32_e32 v69, 0x2000, v66
	;; [unrolled: 1-line block ×3, first 2 shown]
	s_wait_alu 0xfffd
	v_add_co_ci_u32_e64 v17, null, s5, v15, vcc_lo
	v_mov_b32_e32 v1, 0x3ff00000
	s_ashr_i32 s43, s10, 31
	s_add_nc_u64 s[4:5], s[16:17], s[6:7]
	s_lshl_b64 s[46:47], s[36:37], 9
	s_add_nc_u64 s[48:49], s[42:43], -16
	s_lshl_b64 s[26:27], s[36:37], 4
	s_lshl_b64 s[16:17], s[38:39], 4
	s_wait_alu 0xfffe
	s_add_nc_u64 s[18:19], s[4:5], 0x100
	s_lshl_b64 s[22:23], s[22:23], 4
	s_lshl_b64 s[24:25], s[20:21], 4
	s_branch .LBB120_4
.LBB120_2:                              ;   in Loop: Header=BB120_4 Depth=1
	s_add_co_i32 s34, s34, 0x10000
	s_wait_alu 0xfffe
	s_cmp_ge_u32 s34, s11
	s_cselect_b32 s4, -1, 0
.LBB120_3:                              ;   in Loop: Header=BB120_4 Depth=1
	s_wait_alu 0xfffe
	s_and_b32 vcc_lo, exec_lo, s4
	s_wait_alu 0xfffe
	s_cbranch_vccnz .LBB120_68
.LBB120_4:                              ; =>This Loop Header: Depth=1
                                        ;     Child Loop BB120_8 Depth 2
                                        ;       Child Loop BB120_11 Depth 3
	s_mul_u64 s[4:5], s[14:15], s[34:35]
	s_wait_alu 0xfffe
	s_lshl_b64 s[4:5], s[4:5], 4
	s_wait_alu 0xfffe
	s_add_nc_u64 s[4:5], s[12:13], s[4:5]
	global_load_b128 v[4:7], v0, s[4:5]
	s_wait_loadcnt 0x0
	v_cmp_eq_f64_e32 vcc_lo, 0, v[4:5]
	v_cmp_eq_f64_e64 s4, 0, v[6:7]
	s_wait_alu 0xfffe
	s_and_b32 s4, vcc_lo, s4
	s_wait_alu 0xfffe
	s_and_b32 vcc_lo, exec_lo, s4
	s_mov_b32 s4, -1
	s_wait_alu 0xfffe
	s_cbranch_vccnz .LBB120_3
; %bb.5:                                ;   in Loop: Header=BB120_4 Depth=1
	s_and_not1_b32 vcc_lo, exec_lo, s55
	s_wait_alu 0xfffe
	s_cbranch_vccnz .LBB120_2
; %bb.6:                                ;   in Loop: Header=BB120_4 Depth=1
	v_mad_co_u64_u32 v[18:19], null, s16, s34, v[16:17]
	s_load_b32 s57, s[44:45], 0x4
	s_mul_u64 s[4:5], s[30:31], s[34:35]
	v_mov_b32_e32 v22, v71
	s_mul_u64 s[6:7], s[22:23], s[34:35]
	s_wait_alu 0xfffe
	s_lshl_b64 s[4:5], s[4:5], 4
	s_add_nc_u64 s[50:51], s[18:19], s[6:7]
	v_mov_b32_e32 v2, v19
	s_wait_alu 0xfffe
	s_add_nc_u64 s[38:39], s[40:41], s[4:5]
	s_mov_b32 s59, s33
	s_delay_alu instid0(VALU_DEP_1) | instskip(NEXT) | instid1(VALU_DEP_1)
	v_mad_co_u64_u32 v[2:3], null, s17, s34, v[2:3]
	v_dual_mov_b32 v20, v72 :: v_dual_mov_b32 v19, v2
	s_wait_kmcnt 0x0
	s_lshl_b32 s58, s57, 5
	s_branch .LBB120_8
.LBB120_7:                              ;   in Loop: Header=BB120_8 Depth=2
	s_wait_alu 0xfffe
	s_or_b32 exec_lo, exec_lo, s4
	v_add_nc_u32_e32 v22, s58, v22
	v_add_nc_u32_e32 v20, s58, v20
	s_add_co_i32 s59, s57, s59
	s_wait_alu 0xfffe
	s_cmp_gt_i32 s59, s54
	s_cbranch_scc1 .LBB120_2
.LBB120_8:                              ;   Parent Loop BB120_4 Depth=1
                                        ; =>  This Loop Header: Depth=2
                                        ;       Child Loop BB120_11 Depth 3
	s_wait_alu 0xfffe
	s_lshl_b32 s4, s59, 5
	v_ashrrev_i32_e32 v23, 31, v22
	s_wait_alu 0xfffe
	v_add_nc_u32_e32 v24, s4, v62
	v_ashrrev_i32_e32 v21, 31, v20
	s_sub_co_i32 s60, s10, s4
	s_delay_alu instid0(SALU_CYCLE_1) | instskip(NEXT) | instid1(VALU_DEP_2)
	s_cmp_lt_i32 s60, 1
	v_ashrrev_i32_e32 v25, 31, v24
	s_cbranch_scc1 .LBB120_59
; %bb.9:                                ;   in Loop: Header=BB120_8 Depth=2
	v_lshlrev_b64_e32 v[2:3], 4, v[20:21]
	v_mad_co_u64_u32 v[26:27], null, s26, v20, 0x100
	v_mul_lo_u32 v8, s26, v21
	v_mul_lo_u32 v9, s27, v20
	v_mad_co_u64_u32 v[34:35], null, s24, v20, s[50:51]
	v_add_co_u32 v2, vcc_lo, 0x100, v2
	s_wait_alu 0xfffd
	v_add_co_ci_u32_e64 v3, null, 0, v3, vcc_lo
	v_sub_co_u32 v28, vcc_lo, v20, v22
	s_wait_alu 0xfffd
	v_sub_co_ci_u32_e64 v29, null, v21, v23, vcc_lo
	v_add3_u32 v27, v9, v27, v8
	v_mul_lo_u32 v8, s36, v3
	v_mul_lo_u32 v9, s37, v2
	v_mad_co_u64_u32 v[30:31], null, s36, v2, 0x100
	v_mul_lo_u32 v3, s20, v3
	v_mul_lo_u32 v10, s21, v2
	v_mad_co_u64_u32 v[32:33], null, s20, v2, s[50:51]
	v_mul_lo_u32 v2, s24, v21
	v_mul_lo_u32 v11, s25, v20
	v_add_co_u32 v36, vcc_lo, v24, 16
	s_wait_alu 0xfffd
	v_add_co_ci_u32_e64 v37, null, 0, v25, vcc_lo
	v_add_co_u32 v40, s5, v28, 16
	s_wait_alu 0xf1ff
	v_add_co_ci_u32_e64 v41, null, 0, v29, s5
	v_add_co_u32 v42, s5, v28, -16
	v_mov_b32_e32 v58, 0
	v_mov_b32_e32 v56, 0
	;; [unrolled: 1-line block ×4, first 2 shown]
	v_lshlrev_b64_e32 v[38:39], 4, v[22:23]
	v_cmp_le_i64_e64 s4, s[42:43], v[36:37]
	v_dual_mov_b32 v59, 0 :: v_dual_mov_b32 v60, 0
	v_dual_mov_b32 v57, 0 :: v_dual_mov_b32 v54, 0
	;; [unrolled: 1-line block ×4, first 2 shown]
	v_add3_u32 v31, v9, v31, v8
	v_add3_u32 v33, v10, v33, v3
	;; [unrolled: 1-line block ×3, first 2 shown]
	s_wait_alu 0xf1ff
	v_add_co_ci_u32_e64 v43, null, -1, v29, s5
	v_mov_b32_e32 v61, 0
	v_mov_b32_e32 v55, 0
	;; [unrolled: 1-line block ×4, first 2 shown]
	v_dual_mov_b32 v45, v19 :: v_dual_mov_b32 v44, v18
	s_mov_b64 s[52:53], 0
	v_cmp_le_i32_e32 vcc_lo, s10, v24
	s_branch .LBB120_11
.LBB120_10:                             ;   in Loop: Header=BB120_11 Depth=3
	s_wait_alu 0xfffe
	s_or_b32 exec_lo, exec_lo, s5
	s_wait_dscnt 0x0
	s_barrier_signal -1
	s_barrier_wait -1
	global_inv scope:SCOPE_SE
	ds_load_b128 v[73:76], v63
	ds_load_b128 v[77:80], v63 offset:16
	ds_load_b128 v[81:84], v63 offset:32
	;; [unrolled: 1-line block ×3, first 2 shown]
	ds_load_b128 v[85:88], v64
	v_add_co_u32 v44, s5, v44, s46
	s_wait_alu 0xf1ff
	v_add_co_ci_u32_e64 v45, null, s47, v45, s5
	v_add_co_u32 v32, s5, 0x200, v32
	s_wait_alu 0xf1ff
	v_add_co_ci_u32_e64 v33, null, 0, v33, s5
	;; [unrolled: 3-line block ×3, first 2 shown]
	s_add_nc_u64 s[52:53], s[52:53], 32
	s_wait_alu 0xfffe
	s_cmp_ge_i32 s52, s60
	s_wait_dscnt 0x0
	v_mul_f64_e32 v[2:3], v[75:76], v[87:88]
	v_mul_f64_e32 v[89:90], v[73:74], v[87:88]
	s_delay_alu instid0(VALU_DEP_2) | instskip(NEXT) | instid1(VALU_DEP_2)
	v_fma_f64 v[2:3], v[73:74], v[85:86], -v[2:3]
	v_fma_f64 v[89:90], v[75:76], v[85:86], v[89:90]
	s_delay_alu instid0(VALU_DEP_2) | instskip(NEXT) | instid1(VALU_DEP_2)
	v_add_f64_e32 v[2:3], v[50:51], v[2:3]
	v_add_f64_e32 v[89:90], v[89:90], v[52:53]
	ds_load_b128 v[50:53], v64 offset:256
	s_wait_dscnt 0x0
	v_mul_f64_e32 v[91:92], v[75:76], v[52:53]
	s_delay_alu instid0(VALU_DEP_1) | instskip(SKIP_1) | instid1(VALU_DEP_1)
	v_fma_f64 v[91:92], v[73:74], v[50:51], -v[91:92]
	v_mul_f64_e32 v[73:74], v[73:74], v[52:53]
	v_fma_f64 v[73:74], v[75:76], v[50:51], v[73:74]
	s_delay_alu instid0(VALU_DEP_3) | instskip(NEXT) | instid1(VALU_DEP_2)
	v_add_f64_e32 v[75:76], v[46:47], v[91:92]
	v_add_f64_e32 v[73:74], v[73:74], v[48:49]
	ds_load_b128 v[46:49], v63 offset:8192
	s_wait_dscnt 0x0
	v_mul_f64_e32 v[91:92], v[48:49], v[87:88]
	v_mul_f64_e32 v[87:88], v[46:47], v[87:88]
	s_delay_alu instid0(VALU_DEP_2) | instskip(NEXT) | instid1(VALU_DEP_2)
	v_fma_f64 v[91:92], v[46:47], v[85:86], -v[91:92]
	v_fma_f64 v[85:86], v[48:49], v[85:86], v[87:88]
	s_delay_alu instid0(VALU_DEP_2) | instskip(SKIP_1) | instid1(VALU_DEP_3)
	v_add_f64_e32 v[87:88], v[54:55], v[91:92]
	v_mul_f64_e32 v[54:55], v[48:49], v[52:53]
	v_add_f64_e32 v[85:86], v[85:86], v[56:57]
	s_delay_alu instid0(VALU_DEP_2) | instskip(SKIP_1) | instid1(VALU_DEP_2)
	v_fma_f64 v[54:55], v[46:47], v[50:51], -v[54:55]
	v_mul_f64_e32 v[46:47], v[46:47], v[52:53]
	v_add_f64_e32 v[60:61], v[60:61], v[54:55]
	s_delay_alu instid0(VALU_DEP_2) | instskip(NEXT) | instid1(VALU_DEP_1)
	v_fma_f64 v[46:47], v[48:49], v[50:51], v[46:47]
	v_add_f64_e32 v[58:59], v[46:47], v[58:59]
	ds_load_b128 v[46:49], v64 offset:512
	s_wait_dscnt 0x0
	v_mul_f64_e32 v[50:51], v[79:80], v[48:49]
	v_mul_f64_e32 v[52:53], v[77:78], v[48:49]
	s_delay_alu instid0(VALU_DEP_2) | instskip(NEXT) | instid1(VALU_DEP_2)
	v_fma_f64 v[50:51], v[77:78], v[46:47], -v[50:51]
	v_fma_f64 v[52:53], v[79:80], v[46:47], v[52:53]
	s_delay_alu instid0(VALU_DEP_2) | instskip(NEXT) | instid1(VALU_DEP_2)
	v_add_f64_e32 v[2:3], v[2:3], v[50:51]
	v_add_f64_e32 v[89:90], v[52:53], v[89:90]
	ds_load_b128 v[50:53], v64 offset:768
	s_wait_dscnt 0x0
	v_mul_f64_e32 v[54:55], v[79:80], v[52:53]
	v_mul_f64_e32 v[56:57], v[77:78], v[52:53]
	s_delay_alu instid0(VALU_DEP_2) | instskip(NEXT) | instid1(VALU_DEP_2)
	v_fma_f64 v[54:55], v[77:78], v[50:51], -v[54:55]
	v_fma_f64 v[56:57], v[79:80], v[50:51], v[56:57]
	s_delay_alu instid0(VALU_DEP_2) | instskip(NEXT) | instid1(VALU_DEP_2)
	v_add_f64_e32 v[75:76], v[75:76], v[54:55]
	v_add_f64_e32 v[73:74], v[56:57], v[73:74]
	ds_load_b128 v[54:57], v63 offset:8208
	s_wait_dscnt 0x0
	v_mul_f64_e32 v[77:78], v[56:57], v[48:49]
	v_mul_f64_e32 v[48:49], v[54:55], v[48:49]
	s_delay_alu instid0(VALU_DEP_2) | instskip(NEXT) | instid1(VALU_DEP_2)
	v_fma_f64 v[77:78], v[54:55], v[46:47], -v[77:78]
	v_fma_f64 v[46:47], v[56:57], v[46:47], v[48:49]
	v_mul_f64_e32 v[48:49], v[54:55], v[52:53]
	s_delay_alu instid0(VALU_DEP_3) | instskip(NEXT) | instid1(VALU_DEP_3)
	v_add_f64_e32 v[77:78], v[87:88], v[77:78]
	v_add_f64_e32 v[79:80], v[46:47], v[85:86]
	v_mul_f64_e32 v[46:47], v[56:57], v[52:53]
	s_delay_alu instid0(VALU_DEP_4) | instskip(NEXT) | instid1(VALU_DEP_2)
	v_fma_f64 v[48:49], v[56:57], v[50:51], v[48:49]
	v_fma_f64 v[46:47], v[54:55], v[50:51], -v[46:47]
	s_delay_alu instid0(VALU_DEP_2) | instskip(NEXT) | instid1(VALU_DEP_2)
	v_add_f64_e32 v[58:59], v[48:49], v[58:59]
	v_add_f64_e32 v[60:61], v[60:61], v[46:47]
	ds_load_b128 v[46:49], v64 offset:1024
	s_wait_dscnt 0x0
	v_mul_f64_e32 v[50:51], v[83:84], v[48:49]
	v_mul_f64_e32 v[52:53], v[81:82], v[48:49]
	s_delay_alu instid0(VALU_DEP_2) | instskip(NEXT) | instid1(VALU_DEP_2)
	v_fma_f64 v[50:51], v[81:82], v[46:47], -v[50:51]
	v_fma_f64 v[52:53], v[83:84], v[46:47], v[52:53]
	s_delay_alu instid0(VALU_DEP_2) | instskip(NEXT) | instid1(VALU_DEP_2)
	v_add_f64_e32 v[2:3], v[2:3], v[50:51]
	v_add_f64_e32 v[85:86], v[52:53], v[89:90]
	ds_load_b128 v[50:53], v64 offset:1280
	s_wait_dscnt 0x0
	v_mul_f64_e32 v[54:55], v[83:84], v[52:53]
	v_mul_f64_e32 v[56:57], v[81:82], v[52:53]
	s_delay_alu instid0(VALU_DEP_2) | instskip(NEXT) | instid1(VALU_DEP_2)
	v_fma_f64 v[54:55], v[81:82], v[50:51], -v[54:55]
	v_fma_f64 v[56:57], v[83:84], v[50:51], v[56:57]
	;; [unrolled: 10-line block ×3, first 2 shown]
	v_mul_f64_e32 v[48:49], v[54:55], v[52:53]
	s_delay_alu instid0(VALU_DEP_3) | instskip(NEXT) | instid1(VALU_DEP_3)
	v_add_f64_e32 v[77:78], v[77:78], v[81:82]
	v_add_f64_e32 v[79:80], v[46:47], v[79:80]
	v_mul_f64_e32 v[46:47], v[56:57], v[52:53]
	s_delay_alu instid0(VALU_DEP_4) | instskip(NEXT) | instid1(VALU_DEP_2)
	v_fma_f64 v[48:49], v[56:57], v[50:51], v[48:49]
	v_fma_f64 v[46:47], v[54:55], v[50:51], -v[46:47]
	s_delay_alu instid0(VALU_DEP_2) | instskip(NEXT) | instid1(VALU_DEP_2)
	v_add_f64_e32 v[56:57], v[48:49], v[58:59]
	v_add_f64_e32 v[54:55], v[60:61], v[46:47]
	ds_load_b128 v[46:49], v64 offset:1536
	s_wait_dscnt 0x0
	v_mul_f64_e32 v[50:51], v[10:11], v[48:49]
	v_mul_f64_e32 v[52:53], v[8:9], v[48:49]
	s_delay_alu instid0(VALU_DEP_2) | instskip(NEXT) | instid1(VALU_DEP_2)
	v_fma_f64 v[50:51], v[8:9], v[46:47], -v[50:51]
	v_fma_f64 v[52:53], v[10:11], v[46:47], v[52:53]
	s_delay_alu instid0(VALU_DEP_2) | instskip(NEXT) | instid1(VALU_DEP_2)
	v_add_f64_e32 v[2:3], v[2:3], v[50:51]
	v_add_f64_e32 v[58:59], v[52:53], v[85:86]
	ds_load_b128 v[50:53], v64 offset:1792
	s_wait_dscnt 0x0
	v_mul_f64_e32 v[60:61], v[10:11], v[52:53]
	s_delay_alu instid0(VALU_DEP_1) | instskip(SKIP_1) | instid1(VALU_DEP_2)
	v_fma_f64 v[60:61], v[8:9], v[50:51], -v[60:61]
	v_mul_f64_e32 v[8:9], v[8:9], v[52:53]
	v_add_f64_e32 v[60:61], v[75:76], v[60:61]
	s_delay_alu instid0(VALU_DEP_2) | instskip(NEXT) | instid1(VALU_DEP_1)
	v_fma_f64 v[8:9], v[10:11], v[50:51], v[8:9]
	v_add_f64_e32 v[73:74], v[8:9], v[73:74]
	ds_load_b128 v[8:11], v63 offset:8240
	s_wait_dscnt 0x0
	v_mul_f64_e32 v[75:76], v[10:11], v[48:49]
	v_mul_f64_e32 v[48:49], v[8:9], v[48:49]
	s_delay_alu instid0(VALU_DEP_2) | instskip(NEXT) | instid1(VALU_DEP_2)
	v_fma_f64 v[75:76], v[8:9], v[46:47], -v[75:76]
	v_fma_f64 v[46:47], v[10:11], v[46:47], v[48:49]
	s_delay_alu instid0(VALU_DEP_2) | instskip(NEXT) | instid1(VALU_DEP_2)
	v_add_f64_e32 v[75:76], v[77:78], v[75:76]
	v_add_f64_e32 v[77:78], v[46:47], v[79:80]
	v_mul_f64_e32 v[46:47], v[10:11], v[52:53]
	s_delay_alu instid0(VALU_DEP_1) | instskip(SKIP_1) | instid1(VALU_DEP_2)
	v_fma_f64 v[46:47], v[8:9], v[50:51], -v[46:47]
	v_mul_f64_e32 v[8:9], v[8:9], v[52:53]
	v_add_f64_e32 v[54:55], v[54:55], v[46:47]
	s_delay_alu instid0(VALU_DEP_2) | instskip(NEXT) | instid1(VALU_DEP_1)
	v_fma_f64 v[8:9], v[10:11], v[50:51], v[8:9]
	v_add_f64_e32 v[56:57], v[8:9], v[56:57]
	ds_load_b128 v[8:11], v63 offset:64
	ds_load_b128 v[46:49], v64 offset:2048
	s_wait_dscnt 0x0
	v_mul_f64_e32 v[50:51], v[10:11], v[48:49]
	v_mul_f64_e32 v[52:53], v[8:9], v[48:49]
	s_delay_alu instid0(VALU_DEP_2) | instskip(NEXT) | instid1(VALU_DEP_2)
	v_fma_f64 v[50:51], v[8:9], v[46:47], -v[50:51]
	v_fma_f64 v[52:53], v[10:11], v[46:47], v[52:53]
	s_delay_alu instid0(VALU_DEP_2) | instskip(NEXT) | instid1(VALU_DEP_2)
	v_add_f64_e32 v[2:3], v[2:3], v[50:51]
	v_add_f64_e32 v[58:59], v[52:53], v[58:59]
	ds_load_b128 v[50:53], v64 offset:2304
	s_wait_dscnt 0x0
	v_mul_f64_e32 v[79:80], v[10:11], v[52:53]
	s_delay_alu instid0(VALU_DEP_1) | instskip(SKIP_1) | instid1(VALU_DEP_2)
	v_fma_f64 v[79:80], v[8:9], v[50:51], -v[79:80]
	v_mul_f64_e32 v[8:9], v[8:9], v[52:53]
	v_add_f64_e32 v[60:61], v[60:61], v[79:80]
	s_delay_alu instid0(VALU_DEP_2) | instskip(NEXT) | instid1(VALU_DEP_1)
	v_fma_f64 v[8:9], v[10:11], v[50:51], v[8:9]
	v_add_f64_e32 v[73:74], v[8:9], v[73:74]
	ds_load_b128 v[8:11], v63 offset:8256
	s_wait_dscnt 0x0
	v_mul_f64_e32 v[79:80], v[10:11], v[48:49]
	v_mul_f64_e32 v[48:49], v[8:9], v[48:49]
	s_delay_alu instid0(VALU_DEP_2) | instskip(NEXT) | instid1(VALU_DEP_2)
	v_fma_f64 v[79:80], v[8:9], v[46:47], -v[79:80]
	v_fma_f64 v[46:47], v[10:11], v[46:47], v[48:49]
	s_delay_alu instid0(VALU_DEP_2) | instskip(NEXT) | instid1(VALU_DEP_2)
	v_add_f64_e32 v[75:76], v[75:76], v[79:80]
	v_add_f64_e32 v[77:78], v[46:47], v[77:78]
	v_mul_f64_e32 v[46:47], v[10:11], v[52:53]
	s_delay_alu instid0(VALU_DEP_1) | instskip(SKIP_1) | instid1(VALU_DEP_2)
	v_fma_f64 v[46:47], v[8:9], v[50:51], -v[46:47]
	v_mul_f64_e32 v[8:9], v[8:9], v[52:53]
	v_add_f64_e32 v[54:55], v[54:55], v[46:47]
	s_delay_alu instid0(VALU_DEP_2) | instskip(NEXT) | instid1(VALU_DEP_1)
	v_fma_f64 v[8:9], v[10:11], v[50:51], v[8:9]
	v_add_f64_e32 v[56:57], v[8:9], v[56:57]
	ds_load_b128 v[8:11], v63 offset:80
	;; [unrolled: 39-line block ×27, first 2 shown]
	ds_load_b128 v[46:49], v64 offset:15360
	s_wait_dscnt 0x0
	v_mul_f64_e32 v[50:51], v[10:11], v[48:49]
	v_mul_f64_e32 v[52:53], v[8:9], v[48:49]
	s_delay_alu instid0(VALU_DEP_2) | instskip(NEXT) | instid1(VALU_DEP_2)
	v_fma_f64 v[50:51], v[8:9], v[46:47], -v[50:51]
	v_fma_f64 v[52:53], v[10:11], v[46:47], v[52:53]
	s_delay_alu instid0(VALU_DEP_2) | instskip(NEXT) | instid1(VALU_DEP_2)
	v_add_f64_e32 v[79:80], v[2:3], v[50:51]
	v_add_f64_e32 v[58:59], v[52:53], v[58:59]
	ds_load_b128 v[50:53], v64 offset:15616
	s_wait_dscnt 0x0
	v_mul_f64_e32 v[2:3], v[10:11], v[52:53]
	s_delay_alu instid0(VALU_DEP_1) | instskip(SKIP_1) | instid1(VALU_DEP_2)
	v_fma_f64 v[2:3], v[8:9], v[50:51], -v[2:3]
	v_mul_f64_e32 v[8:9], v[8:9], v[52:53]
	v_add_f64_e32 v[81:82], v[60:61], v[2:3]
	s_delay_alu instid0(VALU_DEP_2) | instskip(NEXT) | instid1(VALU_DEP_1)
	v_fma_f64 v[8:9], v[10:11], v[50:51], v[8:9]
	v_add_f64_e32 v[73:74], v[8:9], v[73:74]
	ds_load_b128 v[8:11], v63 offset:8672
	s_wait_dscnt 0x0
	v_mul_f64_e32 v[2:3], v[10:11], v[48:49]
	v_mul_f64_e32 v[48:49], v[8:9], v[48:49]
	s_delay_alu instid0(VALU_DEP_2) | instskip(NEXT) | instid1(VALU_DEP_2)
	v_fma_f64 v[2:3], v[8:9], v[46:47], -v[2:3]
	v_fma_f64 v[46:47], v[10:11], v[46:47], v[48:49]
	s_delay_alu instid0(VALU_DEP_2) | instskip(SKIP_1) | instid1(VALU_DEP_3)
	v_add_f64_e32 v[83:84], v[75:76], v[2:3]
	v_mul_f64_e32 v[2:3], v[10:11], v[52:53]
	v_add_f64_e32 v[77:78], v[46:47], v[77:78]
	s_delay_alu instid0(VALU_DEP_2) | instskip(SKIP_1) | instid1(VALU_DEP_2)
	v_fma_f64 v[2:3], v[8:9], v[50:51], -v[2:3]
	v_mul_f64_e32 v[8:9], v[8:9], v[52:53]
	v_add_f64_e32 v[2:3], v[54:55], v[2:3]
	s_delay_alu instid0(VALU_DEP_2) | instskip(NEXT) | instid1(VALU_DEP_1)
	v_fma_f64 v[8:9], v[10:11], v[50:51], v[8:9]
	v_add_f64_e32 v[8:9], v[8:9], v[56:57]
	ds_load_b128 v[46:49], v63 offset:496
	ds_load_b128 v[54:57], v64 offset:15872
	s_wait_dscnt 0x0
	v_mul_f64_e32 v[50:51], v[46:47], v[56:57]
	v_mul_f64_e32 v[10:11], v[48:49], v[56:57]
	s_delay_alu instid0(VALU_DEP_2) | instskip(NEXT) | instid1(VALU_DEP_2)
	v_fma_f64 v[52:53], v[48:49], v[54:55], v[50:51]
	v_fma_f64 v[10:11], v[46:47], v[54:55], -v[10:11]
	s_delay_alu instid0(VALU_DEP_2) | instskip(SKIP_4) | instid1(VALU_DEP_1)
	v_add_f64_e32 v[52:53], v[52:53], v[58:59]
	ds_load_b128 v[58:61], v64 offset:16128
	v_add_f64_e32 v[50:51], v[79:80], v[10:11]
	s_wait_dscnt 0x0
	v_mul_f64_e32 v[10:11], v[48:49], v[60:61]
	v_fma_f64 v[10:11], v[46:47], v[58:59], -v[10:11]
	v_mul_f64_e32 v[46:47], v[46:47], v[60:61]
	s_delay_alu instid0(VALU_DEP_1) | instskip(NEXT) | instid1(VALU_DEP_3)
	v_fma_f64 v[48:49], v[48:49], v[58:59], v[46:47]
	v_add_f64_e32 v[46:47], v[81:82], v[10:11]
	s_delay_alu instid0(VALU_DEP_2)
	v_add_f64_e32 v[48:49], v[48:49], v[73:74]
	ds_load_b128 v[73:76], v63 offset:8688
	s_wait_loadcnt_dscnt 0x0
	s_barrier_signal -1
	s_barrier_wait -1
	global_inv scope:SCOPE_SE
	v_mul_f64_e32 v[10:11], v[75:76], v[56:57]
	v_mul_f64_e32 v[56:57], v[73:74], v[56:57]
	s_delay_alu instid0(VALU_DEP_2) | instskip(NEXT) | instid1(VALU_DEP_2)
	v_fma_f64 v[10:11], v[73:74], v[54:55], -v[10:11]
	v_fma_f64 v[56:57], v[75:76], v[54:55], v[56:57]
	s_delay_alu instid0(VALU_DEP_2) | instskip(SKIP_2) | instid1(VALU_DEP_4)
	v_add_f64_e32 v[54:55], v[83:84], v[10:11]
	v_mul_f64_e32 v[10:11], v[75:76], v[60:61]
	v_mul_f64_e32 v[60:61], v[73:74], v[60:61]
	v_add_f64_e32 v[56:57], v[56:57], v[77:78]
	s_delay_alu instid0(VALU_DEP_3) | instskip(NEXT) | instid1(VALU_DEP_3)
	v_fma_f64 v[10:11], v[73:74], v[58:59], -v[10:11]
	v_fma_f64 v[58:59], v[75:76], v[58:59], v[60:61]
	s_delay_alu instid0(VALU_DEP_2) | instskip(NEXT) | instid1(VALU_DEP_2)
	v_add_f64_e32 v[60:61], v[2:3], v[10:11]
	v_add_f64_e32 v[58:59], v[58:59], v[8:9]
	s_cbranch_scc1 .LBB120_60
.LBB120_11:                             ;   Parent Loop BB120_4 Depth=1
                                        ;     Parent Loop BB120_8 Depth=2
                                        ; =>    This Inner Loop Header: Depth=3
	s_wait_alu 0xfffe
	v_add_co_u32 v8, s5, v22, s52
	s_wait_alu 0xf1ff
	v_add_co_ci_u32_e64 v9, null, s53, v23, s5
	v_cmp_eq_u64_e64 s7, s[52:53], v[28:29]
	v_add_co_u32 v10, s8, v34, v38
	s_delay_alu instid0(VALU_DEP_3)
	v_cmp_lt_i64_e64 s5, v[8:9], v[24:25]
	v_cmp_le_i64_e64 s6, s[42:43], v[8:9]
	s_wait_alu 0xf1ff
	v_add_co_ci_u32_e64 v11, null, v35, v39, s8
	s_and_b32 s62, s56, s7
	s_or_b32 s8, vcc_lo, s5
	s_wait_alu 0xfffe
	s_or_b32 s7, s6, s8
	s_wait_alu 0xfffe
	s_nor_b32 s7, s7, s62
	s_wait_alu 0xfffe
	s_and_saveexec_b32 s8, s7
	s_wait_alu 0xfffe
	s_xor_b32 s7, exec_lo, s8
	s_cbranch_execz .LBB120_13
; %bb.12:                               ;   in Loop: Header=BB120_11 Depth=3
	global_load_b128 v[73:76], v[10:11], off offset:-256
	s_wait_loadcnt 0x0
	ds_store_2addr_b64 v65, v[73:74], v[75:76] offset1:1
.LBB120_13:                             ;   in Loop: Header=BB120_11 Depth=3
	s_wait_alu 0xfffe
	s_or_saveexec_b32 s7, s7
	s_xor_b32 s61, s62, -1
	s_wait_alu 0xfffe
	s_xor_b32 exec_lo, exec_lo, s7
	s_cbranch_execz .LBB120_19
; %bb.14:                               ;   in Loop: Header=BB120_11 Depth=3
	s_and_saveexec_b32 s8, s61
	s_wait_alu 0xfffe
	s_xor_b32 s8, exec_lo, s8
; %bb.15:                               ;   in Loop: Header=BB120_11 Depth=3
	v_dual_mov_b32 v73, v0 :: v_dual_mov_b32 v74, v0
	v_dual_mov_b32 v75, v0 :: v_dual_mov_b32 v76, v0
	ds_store_b128 v65, v[73:76]
; %bb.16:                               ;   in Loop: Header=BB120_11 Depth=3
	s_wait_alu 0xfffe
	s_and_not1_saveexec_b32 s8, s8
; %bb.17:                               ;   in Loop: Header=BB120_11 Depth=3
	v_dual_mov_b32 v2, v0 :: v_dual_mov_b32 v3, v0
	ds_store_b128 v65, v[0:3]
; %bb.18:                               ;   in Loop: Header=BB120_11 Depth=3
	s_wait_alu 0xfffe
	s_or_b32 exec_lo, exec_lo, s8
.LBB120_19:                             ;   in Loop: Header=BB120_11 Depth=3
	s_delay_alu instid0(SALU_CYCLE_1) | instskip(SKIP_4) | instid1(VALU_DEP_2)
	s_or_b32 exec_lo, exec_lo, s7
	v_add_co_u32 v2, s7, v8, 16
	s_wait_alu 0xf1ff
	v_add_co_ci_u32_e64 v3, null, 0, v9, s7
	v_cmp_eq_u64_e64 s9, s[52:53], v[42:43]
	v_cmp_lt_i64_e64 s8, v[2:3], v[24:25]
	v_cmp_le_i64_e64 s7, s[42:43], v[2:3]
	s_and_b32 s9, s56, s9
	s_or_b32 s8, vcc_lo, s8
	s_wait_alu 0xfffe
	s_or_b32 s8, s7, s8
	s_wait_alu 0xfffe
	s_nor_b32 s8, s8, s9
	s_wait_alu 0xfffe
	s_and_saveexec_b32 s63, s8
	s_delay_alu instid0(SALU_CYCLE_1)
	s_xor_b32 s8, exec_lo, s63
	s_cbranch_execz .LBB120_21
; %bb.20:                               ;   in Loop: Header=BB120_11 Depth=3
	global_load_b128 v[73:76], v[10:11], off
	v_add_nc_u32_e32 v2, 0x100, v65
	s_wait_loadcnt 0x0
	ds_store_2addr_b64 v2, v[73:74], v[75:76] offset1:1
.LBB120_21:                             ;   in Loop: Header=BB120_11 Depth=3
	s_wait_alu 0xfffe
	s_and_not1_saveexec_b32 s8, s8
	s_cbranch_execz .LBB120_27
; %bb.22:                               ;   in Loop: Header=BB120_11 Depth=3
	s_xor_b32 s9, s9, -1
	s_wait_alu 0xfffe
	s_and_saveexec_b32 s63, s9
	s_delay_alu instid0(SALU_CYCLE_1)
	s_xor_b32 s9, exec_lo, s63
; %bb.23:                               ;   in Loop: Header=BB120_11 Depth=3
	v_dual_mov_b32 v73, v0 :: v_dual_mov_b32 v74, v0
	v_dual_mov_b32 v75, v0 :: v_dual_mov_b32 v76, v0
	ds_store_b128 v65, v[73:76] offset:256
; %bb.24:                               ;   in Loop: Header=BB120_11 Depth=3
	s_wait_alu 0xfffe
	s_and_not1_saveexec_b32 s9, s9
; %bb.25:                               ;   in Loop: Header=BB120_11 Depth=3
	v_dual_mov_b32 v2, v0 :: v_dual_mov_b32 v3, v0
	ds_store_b128 v65, v[0:3] offset:256
; %bb.26:                               ;   in Loop: Header=BB120_11 Depth=3
	s_wait_alu 0xfffe
	s_or_b32 exec_lo, exec_lo, s9
.LBB120_27:                             ;   in Loop: Header=BB120_11 Depth=3
	s_wait_alu 0xfffe
	s_or_b32 exec_lo, exec_lo, s8
	v_cmp_eq_u64_e64 s8, s[52:53], v[40:41]
	v_cmp_lt_i64_e64 s9, v[8:9], v[36:37]
	s_and_b32 s63, s56, s8
	v_add_co_u32 v8, s8, v32, v38
	s_or_b32 s9, s4, s9
	v_add_co_ci_u32_e64 v9, null, v33, v39, s8
	s_wait_alu 0xfffe
	s_or_b32 s8, s9, s63
	s_wait_alu 0xfffe
	s_nor_b32 s6, s6, s8
	s_wait_alu 0xfffe
	s_and_saveexec_b32 s8, s6
	s_wait_alu 0xfffe
	s_xor_b32 s6, exec_lo, s8
	s_cbranch_execz .LBB120_29
; %bb.28:                               ;   in Loop: Header=BB120_11 Depth=3
	global_load_b128 v[73:76], v[8:9], off offset:-256
	v_add_nc_u32_e32 v2, 0x2000, v65
	s_wait_loadcnt 0x0
	ds_store_2addr_b64 v2, v[73:74], v[75:76] offset1:1
.LBB120_29:                             ;   in Loop: Header=BB120_11 Depth=3
	s_wait_alu 0xfffe
	s_and_not1_saveexec_b32 s6, s6
	s_cbranch_execz .LBB120_35
; %bb.30:                               ;   in Loop: Header=BB120_11 Depth=3
	s_xor_b32 s8, s63, -1
	s_wait_alu 0xfffe
	s_and_saveexec_b32 s9, s8
	s_wait_alu 0xfffe
	s_xor_b32 s8, exec_lo, s9
; %bb.31:                               ;   in Loop: Header=BB120_11 Depth=3
	v_dual_mov_b32 v73, v0 :: v_dual_mov_b32 v74, v0
	v_dual_mov_b32 v75, v0 :: v_dual_mov_b32 v76, v0
	ds_store_b128 v65, v[73:76] offset:8192
; %bb.32:                               ;   in Loop: Header=BB120_11 Depth=3
	s_wait_alu 0xfffe
	s_and_not1_saveexec_b32 s8, s8
; %bb.33:                               ;   in Loop: Header=BB120_11 Depth=3
	v_dual_mov_b32 v2, v0 :: v_dual_mov_b32 v3, v0
	ds_store_b128 v65, v[0:3] offset:8192
; %bb.34:                               ;   in Loop: Header=BB120_11 Depth=3
	s_wait_alu 0xfffe
	s_or_b32 exec_lo, exec_lo, s8
.LBB120_35:                             ;   in Loop: Header=BB120_11 Depth=3
	s_wait_alu 0xfffe
	s_or_b32 exec_lo, exec_lo, s6
	s_or_b32 s5, s4, s5
	s_wait_alu 0xfffe
	s_or_b32 s5, s7, s5
	s_wait_alu 0xfffe
	s_nor_b32 s5, s5, s62
	s_wait_alu 0xfffe
	s_and_saveexec_b32 s6, s5
	s_wait_alu 0xfffe
	s_xor_b32 s5, exec_lo, s6
	s_cbranch_execz .LBB120_37
; %bb.36:                               ;   in Loop: Header=BB120_11 Depth=3
	global_load_b128 v[8:11], v[8:9], off
	s_wait_loadcnt 0x0
	ds_store_2addr_b64 v67, v[8:9], v[10:11] offset1:1
.LBB120_37:                             ;   in Loop: Header=BB120_11 Depth=3
	s_wait_alu 0xfffe
	s_and_not1_saveexec_b32 s5, s5
	s_cbranch_execz .LBB120_43
; %bb.38:                               ;   in Loop: Header=BB120_11 Depth=3
	s_and_saveexec_b32 s6, s61
	s_wait_alu 0xfffe
	s_xor_b32 s6, exec_lo, s6
; %bb.39:                               ;   in Loop: Header=BB120_11 Depth=3
	v_dual_mov_b32 v8, v0 :: v_dual_mov_b32 v9, v0
	v_dual_mov_b32 v10, v0 :: v_dual_mov_b32 v11, v0
	ds_store_b128 v65, v[8:11] offset:8448
; %bb.40:                               ;   in Loop: Header=BB120_11 Depth=3
	s_wait_alu 0xfffe
	s_and_not1_saveexec_b32 s6, s6
; %bb.41:                               ;   in Loop: Header=BB120_11 Depth=3
	v_dual_mov_b32 v2, v0 :: v_dual_mov_b32 v3, v0
	ds_store_b128 v65, v[0:3] offset:8448
; %bb.42:                               ;   in Loop: Header=BB120_11 Depth=3
	s_wait_alu 0xfffe
	s_or_b32 exec_lo, exec_lo, s6
.LBB120_43:                             ;   in Loop: Header=BB120_11 Depth=3
	s_wait_alu 0xfffe
	s_or_b32 exec_lo, exec_lo, s5
	v_add_co_u32 v2, s5, v20, s52
	s_wait_alu 0xf1ff
	v_add_co_ci_u32_e64 v3, null, s53, v21, s5
	v_add_co_u32 v8, s6, v44, v26
	s_wait_alu 0xf1ff
	v_add_co_ci_u32_e64 v9, null, v45, v27, s6
	s_delay_alu instid0(VALU_DEP_3)
	v_cmp_le_i64_e64 s5, s[42:43], v[2:3]
	s_nor_b32 s6, s5, s0
	s_wait_alu 0xfffe
	s_and_saveexec_b32 s7, s6
	s_wait_alu 0xfffe
	s_xor_b32 s6, exec_lo, s7
	s_cbranch_execz .LBB120_45
; %bb.44:                               ;   in Loop: Header=BB120_11 Depth=3
	global_load_b128 v[73:76], v[8:9], off offset:-256
	s_wait_loadcnt 0x0
	ds_store_2addr_b64 v66, v[73:74], v[75:76] offset1:1
.LBB120_45:                             ;   in Loop: Header=BB120_11 Depth=3
	s_wait_alu 0xfffe
	s_and_not1_saveexec_b32 s6, s6
; %bb.46:                               ;   in Loop: Header=BB120_11 Depth=3
	v_dual_mov_b32 v73, v0 :: v_dual_mov_b32 v74, v0
	v_dual_mov_b32 v75, v0 :: v_dual_mov_b32 v76, v0
	ds_store_b128 v66, v[73:76]
; %bb.47:                               ;   in Loop: Header=BB120_11 Depth=3
	s_wait_alu 0xfffe
	s_or_b32 exec_lo, exec_lo, s6
	s_nor_b32 s5, s5, s1
	s_wait_alu 0xfffe
	s_and_saveexec_b32 s6, s5
	s_wait_alu 0xfffe
	s_xor_b32 s5, exec_lo, s6
	s_cbranch_execz .LBB120_49
; %bb.48:                               ;   in Loop: Header=BB120_11 Depth=3
	global_load_b128 v[8:11], v[8:9], off
	s_wait_loadcnt 0x0
	ds_store_2addr_b64 v68, v[8:9], v[10:11] offset1:1
.LBB120_49:                             ;   in Loop: Header=BB120_11 Depth=3
	s_wait_alu 0xfffe
	s_and_not1_saveexec_b32 s5, s5
; %bb.50:                               ;   in Loop: Header=BB120_11 Depth=3
	v_dual_mov_b32 v8, v0 :: v_dual_mov_b32 v9, v0
	v_dual_mov_b32 v10, v0 :: v_dual_mov_b32 v11, v0
	ds_store_b128 v66, v[8:11] offset:256
; %bb.51:                               ;   in Loop: Header=BB120_11 Depth=3
	s_wait_alu 0xfffe
	s_or_b32 exec_lo, exec_lo, s5
	v_cmp_le_i64_e64 s5, s[48:49], v[2:3]
	v_add_co_u32 v2, s6, v44, v30
	s_wait_alu 0xf1ff
	v_add_co_ci_u32_e64 v3, null, v45, v31, s6
	s_nor_b32 s6, s5, s0
	s_wait_alu 0xfffe
	s_and_saveexec_b32 s7, s6
	s_wait_alu 0xfffe
	s_xor_b32 s6, exec_lo, s7
	s_cbranch_execz .LBB120_53
; %bb.52:                               ;   in Loop: Header=BB120_11 Depth=3
	global_load_b128 v[8:11], v[2:3], off offset:-256
	s_wait_loadcnt 0x0
	ds_store_2addr_b64 v69, v[8:9], v[10:11] offset1:1
.LBB120_53:                             ;   in Loop: Header=BB120_11 Depth=3
	s_wait_alu 0xfffe
	s_and_not1_saveexec_b32 s6, s6
; %bb.54:                               ;   in Loop: Header=BB120_11 Depth=3
	v_dual_mov_b32 v8, v0 :: v_dual_mov_b32 v9, v0
	v_dual_mov_b32 v10, v0 :: v_dual_mov_b32 v11, v0
	ds_store_b128 v66, v[8:11] offset:8192
; %bb.55:                               ;   in Loop: Header=BB120_11 Depth=3
	s_wait_alu 0xfffe
	s_or_b32 exec_lo, exec_lo, s6
	s_nor_b32 s5, s5, s1
	s_wait_alu 0xfffe
	s_and_saveexec_b32 s6, s5
	s_wait_alu 0xfffe
	s_xor_b32 s5, exec_lo, s6
	s_cbranch_execz .LBB120_57
; %bb.56:                               ;   in Loop: Header=BB120_11 Depth=3
	global_load_b128 v[8:11], v[2:3], off
	s_wait_loadcnt 0x0
	ds_store_2addr_b64 v70, v[8:9], v[10:11] offset1:1
.LBB120_57:                             ;   in Loop: Header=BB120_11 Depth=3
	s_wait_alu 0xfffe
	s_and_not1_saveexec_b32 s5, s5
	s_cbranch_execz .LBB120_10
; %bb.58:                               ;   in Loop: Header=BB120_11 Depth=3
	v_dual_mov_b32 v8, v0 :: v_dual_mov_b32 v9, v0
	v_dual_mov_b32 v10, v0 :: v_dual_mov_b32 v11, v0
	ds_store_b128 v66, v[8:11] offset:8448
	s_branch .LBB120_10
.LBB120_59:                             ;   in Loop: Header=BB120_8 Depth=2
	v_mov_b32_e32 v50, 0
	v_mov_b32_e32 v46, 0
	;; [unrolled: 1-line block ×3, first 2 shown]
	v_dual_mov_b32 v60, 0 :: v_dual_mov_b32 v51, 0
	v_dual_mov_b32 v52, 0 :: v_dual_mov_b32 v47, 0
	;; [unrolled: 1-line block ×5, first 2 shown]
	v_mov_b32_e32 v49, 0
	v_mov_b32_e32 v57, 0
	;; [unrolled: 1-line block ×3, first 2 shown]
.LBB120_60:                             ;   in Loop: Header=BB120_8 Depth=2
	v_mul_lo_u32 v8, s29, v24
	v_mul_lo_u32 v9, s28, v25
	v_mad_co_u64_u32 v[2:3], null, s28, v24, 0
	v_cmp_gt_i32_e32 vcc_lo, s10, v24
	s_delay_alu instid0(VALU_DEP_2) | instskip(NEXT) | instid1(VALU_DEP_1)
	v_add3_u32 v3, v3, v9, v8
	v_lshlrev_b64_e32 v[2:3], 4, v[2:3]
	s_delay_alu instid0(VALU_DEP_1) | instskip(SKIP_1) | instid1(VALU_DEP_2)
	v_add_co_u32 v2, s4, s38, v2
	s_wait_alu 0xf1ff
	v_add_co_ci_u32_e64 v3, null, s39, v3, s4
	s_and_b32 s4, s2, vcc_lo
	s_wait_alu 0xfffe
	s_and_saveexec_b32 s5, s4
	s_cbranch_execz .LBB120_62
; %bb.61:                               ;   in Loop: Header=BB120_8 Depth=2
	v_add_co_u32 v25, s4, v2, v14
	s_wait_alu 0xf1ff
	v_add_co_ci_u32_e64 v26, null, v3, v15, s4
	v_mul_f64_e32 v[27:28], v[6:7], v[52:53]
	v_mul_f64_e32 v[29:30], v[4:5], v[52:53]
	global_load_b128 v[8:11], v[25:26], off
	v_fma_f64 v[27:28], v[4:5], v[50:51], -v[27:28]
	v_fma_f64 v[29:30], v[6:7], v[50:51], v[29:30]
	s_wait_loadcnt 0x0
	s_delay_alu instid0(VALU_DEP_2) | instskip(NEXT) | instid1(VALU_DEP_2)
	v_add_f64_e32 v[8:9], v[8:9], v[27:28]
	v_add_f64_e32 v[10:11], v[29:30], v[10:11]
	global_store_b128 v[25:26], v[8:11], off
.LBB120_62:                             ;   in Loop: Header=BB120_8 Depth=2
	s_wait_alu 0xfffe
	s_or_b32 exec_lo, exec_lo, s5
	s_and_b32 s5, s3, vcc_lo
	s_wait_alu 0xfffe
	s_and_saveexec_b32 s4, s5
	s_cbranch_execz .LBB120_64
; %bb.63:                               ;   in Loop: Header=BB120_8 Depth=2
	v_lshlrev_b64_e32 v[8:9], 4, v[12:13]
	v_mul_f64_e32 v[25:26], v[6:7], v[48:49]
	v_mul_f64_e32 v[27:28], v[4:5], v[48:49]
	s_delay_alu instid0(VALU_DEP_3) | instskip(SKIP_1) | instid1(VALU_DEP_4)
	v_add_co_u32 v2, vcc_lo, v2, v8
	s_wait_alu 0xfffd
	v_add_co_ci_u32_e64 v3, null, v3, v9, vcc_lo
	global_load_b128 v[8:11], v[2:3], off
	v_fma_f64 v[25:26], v[4:5], v[46:47], -v[25:26]
	v_fma_f64 v[27:28], v[6:7], v[46:47], v[27:28]
	s_wait_loadcnt 0x0
	s_delay_alu instid0(VALU_DEP_2) | instskip(NEXT) | instid1(VALU_DEP_2)
	v_add_f64_e32 v[8:9], v[8:9], v[25:26]
	v_add_f64_e32 v[10:11], v[27:28], v[10:11]
	global_store_b128 v[2:3], v[8:11], off
.LBB120_64:                             ;   in Loop: Header=BB120_8 Depth=2
	s_wait_alu 0xfffe
	s_or_b32 exec_lo, exec_lo, s4
	v_add_nc_u32_e32 v8, 16, v24
	s_delay_alu instid0(VALU_DEP_1) | instskip(SKIP_3) | instid1(VALU_DEP_4)
	v_ashrrev_i32_e32 v9, 31, v8
	v_mul_lo_u32 v10, s29, v8
	v_mad_co_u64_u32 v[2:3], null, s28, v8, 0
	v_cmp_gt_i32_e32 vcc_lo, s10, v8
	v_mul_lo_u32 v9, s28, v9
	s_delay_alu instid0(VALU_DEP_1) | instskip(NEXT) | instid1(VALU_DEP_1)
	v_add3_u32 v3, v3, v9, v10
	v_lshlrev_b64_e32 v[2:3], 4, v[2:3]
	s_delay_alu instid0(VALU_DEP_1) | instskip(SKIP_1) | instid1(VALU_DEP_2)
	v_add_co_u32 v2, s4, s38, v2
	s_wait_alu 0xf1ff
	v_add_co_ci_u32_e64 v3, null, s39, v3, s4
	s_and_b32 s4, s2, vcc_lo
	s_wait_alu 0xfffe
	s_and_saveexec_b32 s5, s4
	s_cbranch_execz .LBB120_66
; %bb.65:                               ;   in Loop: Header=BB120_8 Depth=2
	v_add_co_u32 v23, s4, v2, v14
	s_wait_alu 0xf1ff
	v_add_co_ci_u32_e64 v24, null, v3, v15, s4
	v_mul_f64_e32 v[25:26], v[6:7], v[56:57]
	v_mul_f64_e32 v[27:28], v[4:5], v[56:57]
	global_load_b128 v[8:11], v[23:24], off
	v_fma_f64 v[25:26], v[4:5], v[54:55], -v[25:26]
	v_fma_f64 v[27:28], v[6:7], v[54:55], v[27:28]
	s_wait_loadcnt 0x0
	s_delay_alu instid0(VALU_DEP_2) | instskip(NEXT) | instid1(VALU_DEP_2)
	v_add_f64_e32 v[8:9], v[8:9], v[25:26]
	v_add_f64_e32 v[10:11], v[27:28], v[10:11]
	global_store_b128 v[23:24], v[8:11], off
.LBB120_66:                             ;   in Loop: Header=BB120_8 Depth=2
	s_wait_alu 0xfffe
	s_or_b32 exec_lo, exec_lo, s5
	s_and_b32 s5, s3, vcc_lo
	s_wait_alu 0xfffe
	s_and_saveexec_b32 s4, s5
	s_cbranch_execz .LBB120_7
; %bb.67:                               ;   in Loop: Header=BB120_8 Depth=2
	v_lshlrev_b64_e32 v[8:9], 4, v[12:13]
	v_mul_f64_e32 v[23:24], v[6:7], v[58:59]
	v_mul_f64_e32 v[25:26], v[4:5], v[58:59]
	s_delay_alu instid0(VALU_DEP_3) | instskip(SKIP_1) | instid1(VALU_DEP_4)
	v_add_co_u32 v2, vcc_lo, v2, v8
	s_wait_alu 0xfffd
	v_add_co_ci_u32_e64 v3, null, v3, v9, vcc_lo
	global_load_b128 v[8:11], v[2:3], off
	v_fma_f64 v[23:24], v[4:5], v[60:61], -v[23:24]
	v_fma_f64 v[25:26], v[6:7], v[60:61], v[25:26]
	s_wait_loadcnt 0x0
	s_delay_alu instid0(VALU_DEP_2) | instskip(NEXT) | instid1(VALU_DEP_2)
	v_add_f64_e32 v[8:9], v[8:9], v[23:24]
	v_add_f64_e32 v[10:11], v[25:26], v[10:11]
	global_store_b128 v[2:3], v[8:11], off
	s_branch .LBB120_7
.LBB120_68:
	s_endpgm
	.section	.rodata,"a",@progbits
	.p2align	6, 0x0
	.amdhsa_kernel _ZL30rocblas_trmm_outofplace_kernelI19rocblas_complex_numIdELi32ELi2ELb0ELb0ELb0ELb0EPKS1_S2_S1_Ev17rocblas_diagonal_iiT6_lPT7_lllS7_lllPT8_llli
		.amdhsa_group_segment_fixed_size 32768
		.amdhsa_private_segment_fixed_size 0
		.amdhsa_kernarg_size 392
		.amdhsa_user_sgpr_count 2
		.amdhsa_user_sgpr_dispatch_ptr 0
		.amdhsa_user_sgpr_queue_ptr 0
		.amdhsa_user_sgpr_kernarg_segment_ptr 1
		.amdhsa_user_sgpr_dispatch_id 0
		.amdhsa_user_sgpr_private_segment_size 0
		.amdhsa_wavefront_size32 1
		.amdhsa_uses_dynamic_stack 0
		.amdhsa_enable_private_segment 0
		.amdhsa_system_sgpr_workgroup_id_x 1
		.amdhsa_system_sgpr_workgroup_id_y 1
		.amdhsa_system_sgpr_workgroup_id_z 1
		.amdhsa_system_sgpr_workgroup_info 0
		.amdhsa_system_vgpr_workitem_id 1
		.amdhsa_next_free_vgpr 93
		.amdhsa_next_free_sgpr 64
		.amdhsa_reserve_vcc 1
		.amdhsa_float_round_mode_32 0
		.amdhsa_float_round_mode_16_64 0
		.amdhsa_float_denorm_mode_32 3
		.amdhsa_float_denorm_mode_16_64 3
		.amdhsa_fp16_overflow 0
		.amdhsa_workgroup_processor_mode 1
		.amdhsa_memory_ordered 1
		.amdhsa_forward_progress 1
		.amdhsa_inst_pref_size 76
		.amdhsa_round_robin_scheduling 0
		.amdhsa_exception_fp_ieee_invalid_op 0
		.amdhsa_exception_fp_denorm_src 0
		.amdhsa_exception_fp_ieee_div_zero 0
		.amdhsa_exception_fp_ieee_overflow 0
		.amdhsa_exception_fp_ieee_underflow 0
		.amdhsa_exception_fp_ieee_inexact 0
		.amdhsa_exception_int_div_zero 0
	.end_amdhsa_kernel
	.section	.text._ZL30rocblas_trmm_outofplace_kernelI19rocblas_complex_numIdELi32ELi2ELb0ELb0ELb0ELb0EPKS1_S2_S1_Ev17rocblas_diagonal_iiT6_lPT7_lllS7_lllPT8_llli,"axG",@progbits,_ZL30rocblas_trmm_outofplace_kernelI19rocblas_complex_numIdELi32ELi2ELb0ELb0ELb0ELb0EPKS1_S2_S1_Ev17rocblas_diagonal_iiT6_lPT7_lllS7_lllPT8_llli,comdat
.Lfunc_end120:
	.size	_ZL30rocblas_trmm_outofplace_kernelI19rocblas_complex_numIdELi32ELi2ELb0ELb0ELb0ELb0EPKS1_S2_S1_Ev17rocblas_diagonal_iiT6_lPT7_lllS7_lllPT8_llli, .Lfunc_end120-_ZL30rocblas_trmm_outofplace_kernelI19rocblas_complex_numIdELi32ELi2ELb0ELb0ELb0ELb0EPKS1_S2_S1_Ev17rocblas_diagonal_iiT6_lPT7_lllS7_lllPT8_llli
                                        ; -- End function
	.set _ZL30rocblas_trmm_outofplace_kernelI19rocblas_complex_numIdELi32ELi2ELb0ELb0ELb0ELb0EPKS1_S2_S1_Ev17rocblas_diagonal_iiT6_lPT7_lllS7_lllPT8_llli.num_vgpr, 93
	.set _ZL30rocblas_trmm_outofplace_kernelI19rocblas_complex_numIdELi32ELi2ELb0ELb0ELb0ELb0EPKS1_S2_S1_Ev17rocblas_diagonal_iiT6_lPT7_lllS7_lllPT8_llli.num_agpr, 0
	.set _ZL30rocblas_trmm_outofplace_kernelI19rocblas_complex_numIdELi32ELi2ELb0ELb0ELb0ELb0EPKS1_S2_S1_Ev17rocblas_diagonal_iiT6_lPT7_lllS7_lllPT8_llli.numbered_sgpr, 64
	.set _ZL30rocblas_trmm_outofplace_kernelI19rocblas_complex_numIdELi32ELi2ELb0ELb0ELb0ELb0EPKS1_S2_S1_Ev17rocblas_diagonal_iiT6_lPT7_lllS7_lllPT8_llli.num_named_barrier, 0
	.set _ZL30rocblas_trmm_outofplace_kernelI19rocblas_complex_numIdELi32ELi2ELb0ELb0ELb0ELb0EPKS1_S2_S1_Ev17rocblas_diagonal_iiT6_lPT7_lllS7_lllPT8_llli.private_seg_size, 0
	.set _ZL30rocblas_trmm_outofplace_kernelI19rocblas_complex_numIdELi32ELi2ELb0ELb0ELb0ELb0EPKS1_S2_S1_Ev17rocblas_diagonal_iiT6_lPT7_lllS7_lllPT8_llli.uses_vcc, 1
	.set _ZL30rocblas_trmm_outofplace_kernelI19rocblas_complex_numIdELi32ELi2ELb0ELb0ELb0ELb0EPKS1_S2_S1_Ev17rocblas_diagonal_iiT6_lPT7_lllS7_lllPT8_llli.uses_flat_scratch, 0
	.set _ZL30rocblas_trmm_outofplace_kernelI19rocblas_complex_numIdELi32ELi2ELb0ELb0ELb0ELb0EPKS1_S2_S1_Ev17rocblas_diagonal_iiT6_lPT7_lllS7_lllPT8_llli.has_dyn_sized_stack, 0
	.set _ZL30rocblas_trmm_outofplace_kernelI19rocblas_complex_numIdELi32ELi2ELb0ELb0ELb0ELb0EPKS1_S2_S1_Ev17rocblas_diagonal_iiT6_lPT7_lllS7_lllPT8_llli.has_recursion, 0
	.set _ZL30rocblas_trmm_outofplace_kernelI19rocblas_complex_numIdELi32ELi2ELb0ELb0ELb0ELb0EPKS1_S2_S1_Ev17rocblas_diagonal_iiT6_lPT7_lllS7_lllPT8_llli.has_indirect_call, 0
	.section	.AMDGPU.csdata,"",@progbits
; Kernel info:
; codeLenInByte = 9612
; TotalNumSgprs: 66
; NumVgprs: 93
; ScratchSize: 0
; MemoryBound: 0
; FloatMode: 240
; IeeeMode: 1
; LDSByteSize: 32768 bytes/workgroup (compile time only)
; SGPRBlocks: 0
; VGPRBlocks: 11
; NumSGPRsForWavesPerEU: 66
; NumVGPRsForWavesPerEU: 93
; Occupancy: 16
; WaveLimiterHint : 0
; COMPUTE_PGM_RSRC2:SCRATCH_EN: 0
; COMPUTE_PGM_RSRC2:USER_SGPR: 2
; COMPUTE_PGM_RSRC2:TRAP_HANDLER: 0
; COMPUTE_PGM_RSRC2:TGID_X_EN: 1
; COMPUTE_PGM_RSRC2:TGID_Y_EN: 1
; COMPUTE_PGM_RSRC2:TGID_Z_EN: 1
; COMPUTE_PGM_RSRC2:TIDIG_COMP_CNT: 1
	.section	.text._ZL30rocblas_trmm_outofplace_kernelI19rocblas_complex_numIdELi32ELi2ELb0ELb0ELb0ELb0ES1_KS1_S1_Ev17rocblas_diagonal_iiT6_lPT7_lllS6_lllPT8_llli,"axG",@progbits,_ZL30rocblas_trmm_outofplace_kernelI19rocblas_complex_numIdELi32ELi2ELb0ELb0ELb0ELb0ES1_KS1_S1_Ev17rocblas_diagonal_iiT6_lPT7_lllS6_lllPT8_llli,comdat
	.globl	_ZL30rocblas_trmm_outofplace_kernelI19rocblas_complex_numIdELi32ELi2ELb0ELb0ELb0ELb0ES1_KS1_S1_Ev17rocblas_diagonal_iiT6_lPT7_lllS6_lllPT8_llli ; -- Begin function _ZL30rocblas_trmm_outofplace_kernelI19rocblas_complex_numIdELi32ELi2ELb0ELb0ELb0ELb0ES1_KS1_S1_Ev17rocblas_diagonal_iiT6_lPT7_lllS6_lllPT8_llli
	.p2align	8
	.type	_ZL30rocblas_trmm_outofplace_kernelI19rocblas_complex_numIdELi32ELi2ELb0ELb0ELb0ELb0ES1_KS1_S1_Ev17rocblas_diagonal_iiT6_lPT7_lllS6_lllPT8_llli,@function
_ZL30rocblas_trmm_outofplace_kernelI19rocblas_complex_numIdELi32ELi2ELb0ELb0ELb0ELb0ES1_KS1_S1_Ev17rocblas_diagonal_iiT6_lPT7_lllS6_lllPT8_llli: ; @_ZL30rocblas_trmm_outofplace_kernelI19rocblas_complex_numIdELi32ELi2ELb0ELb0ELb0ELb0ES1_KS1_S1_Ev17rocblas_diagonal_iiT6_lPT7_lllS6_lllPT8_llli
; %bb.0:
	s_load_b32 s33, s[0:1], 0x88
	s_lshr_b32 s34, ttmp7, 16
	s_wait_kmcnt 0x0
	s_cmp_ge_u32 s34, s33
	s_cbranch_scc1 .LBB121_67
; %bb.1:
	s_load_b128 s[36:39], s[0:1], 0x10
	s_wait_kmcnt 0x0
	v_cmp_eq_f64_e64 s2, s[36:37], 0
	v_cmp_eq_f64_e64 s3, s[38:39], 0
	s_and_b32 s2, s2, s3
	s_delay_alu instid0(SALU_CYCLE_1)
	s_and_b32 vcc_lo, exec_lo, s2
	s_cbranch_vccnz .LBB121_67
; %bb.2:
	s_clause 0x1
	s_load_b96 s[40:42], s[0:1], 0x0
	s_load_b512 s[8:23], s[0:1], 0x28
	s_add_nc_u64 s[44:45], s[0:1], 0x90
	s_load_b256 s[24:31], s[0:1], 0x68
	v_and_b32_e32 v6, 0x3ff, v0
	v_bfe_u32 v58, v0, 10, 10
	s_and_b32 s43, ttmp7, 0xffff
	s_mov_b32 s35, 0
	s_delay_alu instid0(VALU_DEP_2) | instskip(SKIP_2) | instid1(VALU_DEP_3)
	v_lshl_add_u32 v0, ttmp9, 5, v6
	v_lshlrev_b32_e32 v2, 4, v6
	v_lshlrev_b32_e32 v59, 9, v58
	v_ashrrev_i32_e32 v1, 31, v0
	s_delay_alu instid0(VALU_DEP_3) | instskip(NEXT) | instid1(VALU_DEP_3)
	v_or_b32_e32 v60, 0x4000, v2
	v_add_nc_u32_e32 v61, v59, v2
	v_add_nc_u32_e32 v4, 16, v0
	s_wait_kmcnt 0x0
	s_add_co_i32 s0, s42, -1
	v_sub_co_u32 v2, vcc_lo, s41, v0
	s_wait_alu 0xfffe
	s_ashr_i32 s1, s0, 31
	v_cmp_gt_i32_e64 s2, s41, v0
	s_wait_alu 0xfffe
	s_lshr_b32 s1, s1, 27
	v_add_nc_u32_e32 v63, 0x100, v61
	s_wait_alu 0xfffe
	s_add_co_i32 s0, s0, s1
	v_add_nc_u32_e32 v64, 0x2000, v61
	s_wait_alu 0xfffe
	s_ashr_i32 s54, s0, 5
	v_add_nc_u32_e32 v65, 0x2100, v61
	s_cmp_le_i32 s43, s54
	v_cmp_gt_i32_e64 s3, s41, v4
	s_cselect_b32 s55, -1, 0
	s_cmp_eq_u32 s40, 0x84
	v_ashrrev_i32_e32 v5, 31, v4
	s_cselect_b32 s56, -1, 0
	s_lshl_b32 s4, s43, 5
	s_ashr_i32 s0, s41, 31
	v_add_nc_u32_e32 v69, s4, v6
	v_lshlrev_b64_e32 v[6:7], 4, v[0:1]
	s_wait_alu 0xfffe
	v_sub_co_ci_u32_e64 v3, null, s0, v1, vcc_lo
	v_add_nc_u32_e32 v70, s4, v58
	s_lshl_b64 s[4:5], s[18:19], 4
	v_mov_b32_e32 v0, 0
	v_add_nc_u32_e32 v62, v60, v59
	s_wait_alu 0xfffe
	s_add_nc_u64 s[4:5], s[16:17], s[4:5]
	s_lshl_b64 s[0:1], s[26:27], 4
	s_wait_alu 0xfffe
	v_add_co_u32 v8, vcc_lo, s4, v6
	s_add_nc_u64 s[24:25], s[24:25], s[0:1]
	v_cmp_gt_i64_e64 s0, 1, v[2:3]
	v_cmp_gt_i64_e64 s1, 17, v[2:3]
	s_lshl_b64 s[6:7], s[10:11], 4
	v_add_nc_u32_e32 v66, 0x100, v62
	v_add_nc_u32_e32 v67, 0x2000, v62
	;; [unrolled: 1-line block ×3, first 2 shown]
	s_wait_alu 0xfffd
	v_add_co_ci_u32_e64 v9, null, s5, v7, vcc_lo
	v_mov_b32_e32 v1, 0x3ff00000
	s_mov_b32 s46, s42
	s_ashr_i32 s47, s42, 31
	s_add_nc_u64 s[4:5], s[8:9], s[6:7]
	s_lshl_b64 s[26:27], s[20:21], 9
	s_add_nc_u64 s[48:49], s[46:47], -16
	s_lshl_b64 s[18:19], s[20:21], 4
	s_lshl_b64 s[10:11], s[22:23], 4
	s_wait_alu 0xfffe
	s_add_nc_u64 s[16:17], s[4:5], 0x100
	s_lshl_b64 s[14:15], s[14:15], 4
	s_lshl_b64 s[22:23], s[12:13], 4
	s_branch .LBB121_4
.LBB121_3:                              ;   in Loop: Header=BB121_4 Depth=1
	s_add_co_i32 s34, s34, 0x10000
	s_wait_alu 0xfffe
	s_cmp_ge_u32 s34, s33
	s_cbranch_scc1 .LBB121_67
.LBB121_4:                              ; =>This Loop Header: Depth=1
                                        ;     Child Loop BB121_7 Depth 2
                                        ;       Child Loop BB121_10 Depth 3
	s_and_not1_b32 vcc_lo, exec_lo, s55
	s_wait_alu 0xfffe
	s_cbranch_vccnz .LBB121_3
; %bb.5:                                ;   in Loop: Header=BB121_4 Depth=1
	v_mad_co_u64_u32 v[10:11], null, s10, s34, v[8:9]
	s_load_b32 s57, s[44:45], 0x4
	s_mul_u64 s[4:5], s[30:31], s[34:35]
	v_mov_b32_e32 v14, v69
	s_mul_u64 s[6:7], s[14:15], s[34:35]
	s_wait_alu 0xfffe
	s_lshl_b64 s[4:5], s[4:5], 4
	s_add_nc_u64 s[50:51], s[16:17], s[6:7]
	v_mov_b32_e32 v2, v11
	s_wait_alu 0xfffe
	s_add_nc_u64 s[40:41], s[24:25], s[4:5]
	s_mov_b32 s59, s43
	s_delay_alu instid0(VALU_DEP_1) | instskip(NEXT) | instid1(VALU_DEP_1)
	v_mad_co_u64_u32 v[2:3], null, s11, s34, v[2:3]
	v_dual_mov_b32 v12, v70 :: v_dual_mov_b32 v11, v2
	s_wait_kmcnt 0x0
	s_lshl_b32 s58, s57, 5
	s_branch .LBB121_7
.LBB121_6:                              ;   in Loop: Header=BB121_7 Depth=2
	s_wait_alu 0xfffe
	s_or_b32 exec_lo, exec_lo, s4
	v_add_nc_u32_e32 v14, s58, v14
	v_add_nc_u32_e32 v12, s58, v12
	s_add_co_i32 s59, s57, s59
	s_wait_alu 0xfffe
	s_cmp_gt_i32 s59, s54
	s_cbranch_scc1 .LBB121_3
.LBB121_7:                              ;   Parent Loop BB121_4 Depth=1
                                        ; =>  This Loop Header: Depth=2
                                        ;       Child Loop BB121_10 Depth 3
	s_wait_alu 0xfffe
	s_lshl_b32 s4, s59, 5
	v_ashrrev_i32_e32 v15, 31, v14
	s_wait_alu 0xfffe
	v_add_nc_u32_e32 v16, s4, v58
	v_ashrrev_i32_e32 v13, 31, v12
	s_sub_co_i32 s60, s42, s4
	s_delay_alu instid0(SALU_CYCLE_1) | instskip(NEXT) | instid1(VALU_DEP_2)
	s_cmp_lt_i32 s60, 1
	v_ashrrev_i32_e32 v17, 31, v16
	s_cbranch_scc1 .LBB121_58
; %bb.8:                                ;   in Loop: Header=BB121_7 Depth=2
	v_lshlrev_b64_e32 v[2:3], 4, v[12:13]
	v_mad_co_u64_u32 v[18:19], null, s18, v12, 0x100
	v_mul_lo_u32 v22, s18, v13
	v_mul_lo_u32 v23, s19, v12
	v_mad_co_u64_u32 v[26:27], null, s22, v12, s[50:51]
	v_add_co_u32 v2, vcc_lo, 0x100, v2
	s_wait_alu 0xfffd
	v_add_co_ci_u32_e64 v3, null, 0, v3, vcc_lo
	v_sub_co_u32 v20, vcc_lo, v12, v14
	v_add3_u32 v19, v23, v19, v22
	s_delay_alu instid0(VALU_DEP_3)
	v_mul_lo_u32 v28, s20, v3
	v_mul_lo_u32 v29, s21, v2
	v_mad_co_u64_u32 v[22:23], null, s20, v2, 0x100
	v_mul_lo_u32 v3, s12, v3
	v_mul_lo_u32 v32, s13, v2
	v_mad_co_u64_u32 v[24:25], null, s12, v2, s[50:51]
	v_mul_lo_u32 v2, s22, v13
	v_mul_lo_u32 v33, s23, v12
	s_wait_alu 0xfffd
	v_sub_co_ci_u32_e64 v21, null, v13, v15, vcc_lo
	v_add3_u32 v23, v29, v23, v28
	v_add_co_u32 v28, vcc_lo, v16, 16
	s_wait_alu 0xfffd
	v_add_co_ci_u32_e64 v29, null, 0, v17, vcc_lo
	v_add3_u32 v25, v32, v25, v3
	v_add_co_u32 v32, s5, v20, 16
	v_add3_u32 v27, v33, v27, v2
	s_wait_alu 0xf1ff
	v_add_co_ci_u32_e64 v33, null, 0, v21, s5
	v_add_co_u32 v34, s5, v20, -16
	v_mov_b32_e32 v50, 0
	v_mov_b32_e32 v44, 0
	v_mov_b32_e32 v40, 0
	v_mov_b32_e32 v48, 0
	v_lshlrev_b64_e32 v[30:31], 4, v[14:15]
	v_cmp_le_i64_e64 s4, s[46:47], v[28:29]
	v_dual_mov_b32 v51, 0 :: v_dual_mov_b32 v52, 0
	v_dual_mov_b32 v45, 0 :: v_dual_mov_b32 v42, 0
	v_dual_mov_b32 v41, 0 :: v_dual_mov_b32 v38, 0
	v_dual_mov_b32 v49, 0 :: v_dual_mov_b32 v46, 0
	s_wait_alu 0xf1ff
	v_add_co_ci_u32_e64 v35, null, -1, v21, s5
	v_mov_b32_e32 v53, 0
	v_mov_b32_e32 v43, 0
	;; [unrolled: 1-line block ×4, first 2 shown]
	v_dual_mov_b32 v37, v11 :: v_dual_mov_b32 v36, v10
	s_mov_b64 s[52:53], 0
	v_cmp_le_i32_e32 vcc_lo, s42, v16
	s_branch .LBB121_10
.LBB121_9:                              ;   in Loop: Header=BB121_10 Depth=3
	s_wait_alu 0xfffe
	s_or_b32 exec_lo, exec_lo, s5
	s_wait_dscnt 0x0
	s_barrier_signal -1
	s_barrier_wait -1
	global_inv scope:SCOPE_SE
	ds_load_b128 v[54:57], v59
	ds_load_b128 v[71:74], v59 offset:16
	ds_load_b128 v[75:78], v59 offset:32
	;; [unrolled: 1-line block ×3, first 2 shown]
	ds_load_b128 v[83:86], v60
	v_add_co_u32 v36, s5, v36, s26
	s_wait_alu 0xf1ff
	v_add_co_ci_u32_e64 v37, null, s27, v37, s5
	v_add_co_u32 v24, s5, 0x200, v24
	s_wait_alu 0xf1ff
	v_add_co_ci_u32_e64 v25, null, 0, v25, s5
	;; [unrolled: 3-line block ×3, first 2 shown]
	s_add_nc_u64 s[52:53], s[52:53], 32
	s_wait_alu 0xfffe
	s_cmp_ge_i32 s52, s60
	s_wait_dscnt 0x0
	v_mul_f64_e32 v[2:3], v[56:57], v[85:86]
	v_mul_f64_e32 v[87:88], v[54:55], v[85:86]
	s_delay_alu instid0(VALU_DEP_2) | instskip(NEXT) | instid1(VALU_DEP_2)
	v_fma_f64 v[2:3], v[54:55], v[83:84], -v[2:3]
	v_fma_f64 v[87:88], v[56:57], v[83:84], v[87:88]
	s_delay_alu instid0(VALU_DEP_2) | instskip(NEXT) | instid1(VALU_DEP_2)
	v_add_f64_e32 v[2:3], v[46:47], v[2:3]
	v_add_f64_e32 v[87:88], v[87:88], v[48:49]
	ds_load_b128 v[46:49], v60 offset:256
	s_wait_dscnt 0x0
	v_mul_f64_e32 v[89:90], v[56:57], v[48:49]
	s_delay_alu instid0(VALU_DEP_1) | instskip(SKIP_1) | instid1(VALU_DEP_1)
	v_fma_f64 v[89:90], v[54:55], v[46:47], -v[89:90]
	v_mul_f64_e32 v[54:55], v[54:55], v[48:49]
	v_fma_f64 v[54:55], v[56:57], v[46:47], v[54:55]
	s_delay_alu instid0(VALU_DEP_3) | instskip(NEXT) | instid1(VALU_DEP_2)
	v_add_f64_e32 v[56:57], v[38:39], v[89:90]
	v_add_f64_e32 v[54:55], v[54:55], v[40:41]
	ds_load_b128 v[38:41], v59 offset:8192
	s_wait_dscnt 0x0
	v_mul_f64_e32 v[89:90], v[40:41], v[85:86]
	v_mul_f64_e32 v[85:86], v[38:39], v[85:86]
	s_delay_alu instid0(VALU_DEP_2) | instskip(NEXT) | instid1(VALU_DEP_2)
	v_fma_f64 v[89:90], v[38:39], v[83:84], -v[89:90]
	v_fma_f64 v[83:84], v[40:41], v[83:84], v[85:86]
	s_delay_alu instid0(VALU_DEP_2) | instskip(SKIP_1) | instid1(VALU_DEP_3)
	v_add_f64_e32 v[85:86], v[42:43], v[89:90]
	v_mul_f64_e32 v[42:43], v[40:41], v[48:49]
	v_add_f64_e32 v[83:84], v[83:84], v[44:45]
	s_delay_alu instid0(VALU_DEP_2) | instskip(SKIP_1) | instid1(VALU_DEP_2)
	v_fma_f64 v[42:43], v[38:39], v[46:47], -v[42:43]
	v_mul_f64_e32 v[38:39], v[38:39], v[48:49]
	v_add_f64_e32 v[52:53], v[52:53], v[42:43]
	s_delay_alu instid0(VALU_DEP_2) | instskip(NEXT) | instid1(VALU_DEP_1)
	v_fma_f64 v[38:39], v[40:41], v[46:47], v[38:39]
	v_add_f64_e32 v[50:51], v[38:39], v[50:51]
	ds_load_b128 v[38:41], v60 offset:512
	s_wait_dscnt 0x0
	v_mul_f64_e32 v[42:43], v[73:74], v[40:41]
	v_mul_f64_e32 v[44:45], v[71:72], v[40:41]
	s_delay_alu instid0(VALU_DEP_2) | instskip(NEXT) | instid1(VALU_DEP_2)
	v_fma_f64 v[42:43], v[71:72], v[38:39], -v[42:43]
	v_fma_f64 v[44:45], v[73:74], v[38:39], v[44:45]
	s_delay_alu instid0(VALU_DEP_2) | instskip(NEXT) | instid1(VALU_DEP_2)
	v_add_f64_e32 v[2:3], v[2:3], v[42:43]
	v_add_f64_e32 v[87:88], v[44:45], v[87:88]
	ds_load_b128 v[42:45], v60 offset:768
	s_wait_dscnt 0x0
	v_mul_f64_e32 v[46:47], v[73:74], v[44:45]
	v_mul_f64_e32 v[48:49], v[71:72], v[44:45]
	s_delay_alu instid0(VALU_DEP_2) | instskip(NEXT) | instid1(VALU_DEP_2)
	v_fma_f64 v[46:47], v[71:72], v[42:43], -v[46:47]
	v_fma_f64 v[48:49], v[73:74], v[42:43], v[48:49]
	s_delay_alu instid0(VALU_DEP_2) | instskip(NEXT) | instid1(VALU_DEP_2)
	v_add_f64_e32 v[56:57], v[56:57], v[46:47]
	v_add_f64_e32 v[54:55], v[48:49], v[54:55]
	ds_load_b128 v[46:49], v59 offset:8208
	s_wait_dscnt 0x0
	v_mul_f64_e32 v[71:72], v[48:49], v[40:41]
	v_mul_f64_e32 v[40:41], v[46:47], v[40:41]
	s_delay_alu instid0(VALU_DEP_2) | instskip(NEXT) | instid1(VALU_DEP_2)
	v_fma_f64 v[71:72], v[46:47], v[38:39], -v[71:72]
	v_fma_f64 v[38:39], v[48:49], v[38:39], v[40:41]
	v_mul_f64_e32 v[40:41], v[46:47], v[44:45]
	s_delay_alu instid0(VALU_DEP_3) | instskip(NEXT) | instid1(VALU_DEP_3)
	v_add_f64_e32 v[71:72], v[85:86], v[71:72]
	v_add_f64_e32 v[73:74], v[38:39], v[83:84]
	v_mul_f64_e32 v[38:39], v[48:49], v[44:45]
	s_delay_alu instid0(VALU_DEP_4) | instskip(NEXT) | instid1(VALU_DEP_2)
	v_fma_f64 v[40:41], v[48:49], v[42:43], v[40:41]
	v_fma_f64 v[38:39], v[46:47], v[42:43], -v[38:39]
	s_delay_alu instid0(VALU_DEP_2) | instskip(NEXT) | instid1(VALU_DEP_2)
	v_add_f64_e32 v[50:51], v[40:41], v[50:51]
	v_add_f64_e32 v[52:53], v[52:53], v[38:39]
	ds_load_b128 v[38:41], v60 offset:1024
	s_wait_dscnt 0x0
	v_mul_f64_e32 v[42:43], v[77:78], v[40:41]
	v_mul_f64_e32 v[44:45], v[75:76], v[40:41]
	s_delay_alu instid0(VALU_DEP_2) | instskip(NEXT) | instid1(VALU_DEP_2)
	v_fma_f64 v[42:43], v[75:76], v[38:39], -v[42:43]
	v_fma_f64 v[44:45], v[77:78], v[38:39], v[44:45]
	s_delay_alu instid0(VALU_DEP_2) | instskip(NEXT) | instid1(VALU_DEP_2)
	v_add_f64_e32 v[2:3], v[2:3], v[42:43]
	v_add_f64_e32 v[83:84], v[44:45], v[87:88]
	ds_load_b128 v[42:45], v60 offset:1280
	s_wait_dscnt 0x0
	v_mul_f64_e32 v[46:47], v[77:78], v[44:45]
	v_mul_f64_e32 v[48:49], v[75:76], v[44:45]
	s_delay_alu instid0(VALU_DEP_2) | instskip(NEXT) | instid1(VALU_DEP_2)
	v_fma_f64 v[46:47], v[75:76], v[42:43], -v[46:47]
	v_fma_f64 v[48:49], v[77:78], v[42:43], v[48:49]
	s_delay_alu instid0(VALU_DEP_2) | instskip(NEXT) | instid1(VALU_DEP_2)
	v_add_f64_e32 v[56:57], v[56:57], v[46:47]
	v_add_f64_e32 v[54:55], v[48:49], v[54:55]
	ds_load_b128 v[46:49], v59 offset:8224
	s_wait_dscnt 0x0
	v_mul_f64_e32 v[75:76], v[48:49], v[40:41]
	v_mul_f64_e32 v[40:41], v[46:47], v[40:41]
	s_delay_alu instid0(VALU_DEP_2) | instskip(NEXT) | instid1(VALU_DEP_2)
	v_fma_f64 v[75:76], v[46:47], v[38:39], -v[75:76]
	v_fma_f64 v[38:39], v[48:49], v[38:39], v[40:41]
	v_mul_f64_e32 v[40:41], v[46:47], v[44:45]
	s_delay_alu instid0(VALU_DEP_3) | instskip(NEXT) | instid1(VALU_DEP_3)
	v_add_f64_e32 v[71:72], v[71:72], v[75:76]
	v_add_f64_e32 v[73:74], v[38:39], v[73:74]
	v_mul_f64_e32 v[38:39], v[48:49], v[44:45]
	s_delay_alu instid0(VALU_DEP_4) | instskip(NEXT) | instid1(VALU_DEP_2)
	v_fma_f64 v[40:41], v[48:49], v[42:43], v[40:41]
	v_fma_f64 v[38:39], v[46:47], v[42:43], -v[38:39]
	s_delay_alu instid0(VALU_DEP_2) | instskip(NEXT) | instid1(VALU_DEP_2)
	v_add_f64_e32 v[50:51], v[40:41], v[50:51]
	;; [unrolled: 38-line block ×3, first 2 shown]
	v_add_f64_e32 v[52:53], v[52:53], v[38:39]
	ds_load_b128 v[38:41], v59 offset:64
	ds_load_b128 v[42:45], v60 offset:2048
	s_wait_dscnt 0x0
	v_mul_f64_e32 v[46:47], v[40:41], v[44:45]
	v_mul_f64_e32 v[48:49], v[38:39], v[44:45]
	s_delay_alu instid0(VALU_DEP_2) | instskip(NEXT) | instid1(VALU_DEP_2)
	v_fma_f64 v[46:47], v[38:39], v[42:43], -v[46:47]
	v_fma_f64 v[48:49], v[40:41], v[42:43], v[48:49]
	s_delay_alu instid0(VALU_DEP_2) | instskip(NEXT) | instid1(VALU_DEP_2)
	v_add_f64_e32 v[2:3], v[2:3], v[46:47]
	v_add_f64_e32 v[75:76], v[48:49], v[75:76]
	ds_load_b128 v[46:49], v60 offset:2304
	s_wait_dscnt 0x0
	v_mul_f64_e32 v[77:78], v[40:41], v[48:49]
	s_delay_alu instid0(VALU_DEP_1) | instskip(SKIP_1) | instid1(VALU_DEP_2)
	v_fma_f64 v[77:78], v[38:39], v[46:47], -v[77:78]
	v_mul_f64_e32 v[38:39], v[38:39], v[48:49]
	v_add_f64_e32 v[56:57], v[56:57], v[77:78]
	s_delay_alu instid0(VALU_DEP_2) | instskip(NEXT) | instid1(VALU_DEP_1)
	v_fma_f64 v[38:39], v[40:41], v[46:47], v[38:39]
	v_add_f64_e32 v[54:55], v[38:39], v[54:55]
	ds_load_b128 v[38:41], v59 offset:8256
	s_wait_dscnt 0x0
	v_mul_f64_e32 v[77:78], v[40:41], v[44:45]
	v_mul_f64_e32 v[44:45], v[38:39], v[44:45]
	s_delay_alu instid0(VALU_DEP_2) | instskip(NEXT) | instid1(VALU_DEP_2)
	v_fma_f64 v[77:78], v[38:39], v[42:43], -v[77:78]
	v_fma_f64 v[42:43], v[40:41], v[42:43], v[44:45]
	s_delay_alu instid0(VALU_DEP_2) | instskip(NEXT) | instid1(VALU_DEP_2)
	v_add_f64_e32 v[71:72], v[71:72], v[77:78]
	v_add_f64_e32 v[73:74], v[42:43], v[73:74]
	v_mul_f64_e32 v[42:43], v[40:41], v[48:49]
	s_delay_alu instid0(VALU_DEP_1) | instskip(SKIP_1) | instid1(VALU_DEP_2)
	v_fma_f64 v[42:43], v[38:39], v[46:47], -v[42:43]
	v_mul_f64_e32 v[38:39], v[38:39], v[48:49]
	v_add_f64_e32 v[52:53], v[52:53], v[42:43]
	s_delay_alu instid0(VALU_DEP_2) | instskip(NEXT) | instid1(VALU_DEP_1)
	v_fma_f64 v[38:39], v[40:41], v[46:47], v[38:39]
	v_add_f64_e32 v[50:51], v[38:39], v[50:51]
	ds_load_b128 v[38:41], v59 offset:80
	ds_load_b128 v[42:45], v60 offset:2560
	s_wait_dscnt 0x0
	v_mul_f64_e32 v[46:47], v[40:41], v[44:45]
	v_mul_f64_e32 v[48:49], v[38:39], v[44:45]
	s_delay_alu instid0(VALU_DEP_2) | instskip(NEXT) | instid1(VALU_DEP_2)
	v_fma_f64 v[46:47], v[38:39], v[42:43], -v[46:47]
	v_fma_f64 v[48:49], v[40:41], v[42:43], v[48:49]
	s_delay_alu instid0(VALU_DEP_2) | instskip(NEXT) | instid1(VALU_DEP_2)
	v_add_f64_e32 v[2:3], v[2:3], v[46:47]
	v_add_f64_e32 v[75:76], v[48:49], v[75:76]
	ds_load_b128 v[46:49], v60 offset:2816
	s_wait_dscnt 0x0
	v_mul_f64_e32 v[77:78], v[40:41], v[48:49]
	s_delay_alu instid0(VALU_DEP_1) | instskip(SKIP_1) | instid1(VALU_DEP_2)
	v_fma_f64 v[77:78], v[38:39], v[46:47], -v[77:78]
	v_mul_f64_e32 v[38:39], v[38:39], v[48:49]
	v_add_f64_e32 v[56:57], v[56:57], v[77:78]
	s_delay_alu instid0(VALU_DEP_2) | instskip(NEXT) | instid1(VALU_DEP_1)
	v_fma_f64 v[38:39], v[40:41], v[46:47], v[38:39]
	v_add_f64_e32 v[54:55], v[38:39], v[54:55]
	ds_load_b128 v[38:41], v59 offset:8272
	s_wait_dscnt 0x0
	v_mul_f64_e32 v[77:78], v[40:41], v[44:45]
	v_mul_f64_e32 v[44:45], v[38:39], v[44:45]
	s_delay_alu instid0(VALU_DEP_2) | instskip(NEXT) | instid1(VALU_DEP_2)
	v_fma_f64 v[77:78], v[38:39], v[42:43], -v[77:78]
	v_fma_f64 v[42:43], v[40:41], v[42:43], v[44:45]
	s_delay_alu instid0(VALU_DEP_2) | instskip(NEXT) | instid1(VALU_DEP_2)
	v_add_f64_e32 v[71:72], v[71:72], v[77:78]
	v_add_f64_e32 v[73:74], v[42:43], v[73:74]
	v_mul_f64_e32 v[42:43], v[40:41], v[48:49]
	s_delay_alu instid0(VALU_DEP_1) | instskip(SKIP_1) | instid1(VALU_DEP_2)
	v_fma_f64 v[42:43], v[38:39], v[46:47], -v[42:43]
	v_mul_f64_e32 v[38:39], v[38:39], v[48:49]
	v_add_f64_e32 v[52:53], v[52:53], v[42:43]
	s_delay_alu instid0(VALU_DEP_2) | instskip(NEXT) | instid1(VALU_DEP_1)
	v_fma_f64 v[38:39], v[40:41], v[46:47], v[38:39]
	v_add_f64_e32 v[50:51], v[38:39], v[50:51]
	ds_load_b128 v[38:41], v59 offset:96
	ds_load_b128 v[42:45], v60 offset:3072
	s_wait_dscnt 0x0
	v_mul_f64_e32 v[46:47], v[40:41], v[44:45]
	v_mul_f64_e32 v[48:49], v[38:39], v[44:45]
	s_delay_alu instid0(VALU_DEP_2) | instskip(NEXT) | instid1(VALU_DEP_2)
	v_fma_f64 v[46:47], v[38:39], v[42:43], -v[46:47]
	v_fma_f64 v[48:49], v[40:41], v[42:43], v[48:49]
	s_delay_alu instid0(VALU_DEP_2) | instskip(NEXT) | instid1(VALU_DEP_2)
	v_add_f64_e32 v[2:3], v[2:3], v[46:47]
	v_add_f64_e32 v[75:76], v[48:49], v[75:76]
	ds_load_b128 v[46:49], v60 offset:3328
	s_wait_dscnt 0x0
	v_mul_f64_e32 v[77:78], v[40:41], v[48:49]
	s_delay_alu instid0(VALU_DEP_1) | instskip(SKIP_1) | instid1(VALU_DEP_2)
	v_fma_f64 v[77:78], v[38:39], v[46:47], -v[77:78]
	v_mul_f64_e32 v[38:39], v[38:39], v[48:49]
	v_add_f64_e32 v[56:57], v[56:57], v[77:78]
	s_delay_alu instid0(VALU_DEP_2) | instskip(NEXT) | instid1(VALU_DEP_1)
	v_fma_f64 v[38:39], v[40:41], v[46:47], v[38:39]
	v_add_f64_e32 v[54:55], v[38:39], v[54:55]
	ds_load_b128 v[38:41], v59 offset:8288
	s_wait_dscnt 0x0
	v_mul_f64_e32 v[77:78], v[40:41], v[44:45]
	v_mul_f64_e32 v[44:45], v[38:39], v[44:45]
	s_delay_alu instid0(VALU_DEP_2) | instskip(NEXT) | instid1(VALU_DEP_2)
	v_fma_f64 v[77:78], v[38:39], v[42:43], -v[77:78]
	v_fma_f64 v[42:43], v[40:41], v[42:43], v[44:45]
	s_delay_alu instid0(VALU_DEP_2) | instskip(NEXT) | instid1(VALU_DEP_2)
	v_add_f64_e32 v[71:72], v[71:72], v[77:78]
	v_add_f64_e32 v[73:74], v[42:43], v[73:74]
	v_mul_f64_e32 v[42:43], v[40:41], v[48:49]
	s_delay_alu instid0(VALU_DEP_1) | instskip(SKIP_1) | instid1(VALU_DEP_2)
	v_fma_f64 v[42:43], v[38:39], v[46:47], -v[42:43]
	v_mul_f64_e32 v[38:39], v[38:39], v[48:49]
	v_add_f64_e32 v[52:53], v[52:53], v[42:43]
	s_delay_alu instid0(VALU_DEP_2) | instskip(NEXT) | instid1(VALU_DEP_1)
	v_fma_f64 v[38:39], v[40:41], v[46:47], v[38:39]
	v_add_f64_e32 v[50:51], v[38:39], v[50:51]
	ds_load_b128 v[38:41], v59 offset:112
	ds_load_b128 v[42:45], v60 offset:3584
	s_wait_dscnt 0x0
	v_mul_f64_e32 v[46:47], v[40:41], v[44:45]
	v_mul_f64_e32 v[48:49], v[38:39], v[44:45]
	s_delay_alu instid0(VALU_DEP_2) | instskip(NEXT) | instid1(VALU_DEP_2)
	v_fma_f64 v[46:47], v[38:39], v[42:43], -v[46:47]
	v_fma_f64 v[48:49], v[40:41], v[42:43], v[48:49]
	s_delay_alu instid0(VALU_DEP_2) | instskip(NEXT) | instid1(VALU_DEP_2)
	v_add_f64_e32 v[2:3], v[2:3], v[46:47]
	v_add_f64_e32 v[75:76], v[48:49], v[75:76]
	ds_load_b128 v[46:49], v60 offset:3840
	s_wait_dscnt 0x0
	v_mul_f64_e32 v[77:78], v[40:41], v[48:49]
	s_delay_alu instid0(VALU_DEP_1) | instskip(SKIP_1) | instid1(VALU_DEP_2)
	v_fma_f64 v[77:78], v[38:39], v[46:47], -v[77:78]
	v_mul_f64_e32 v[38:39], v[38:39], v[48:49]
	v_add_f64_e32 v[56:57], v[56:57], v[77:78]
	s_delay_alu instid0(VALU_DEP_2) | instskip(NEXT) | instid1(VALU_DEP_1)
	v_fma_f64 v[38:39], v[40:41], v[46:47], v[38:39]
	v_add_f64_e32 v[54:55], v[38:39], v[54:55]
	ds_load_b128 v[38:41], v59 offset:8304
	s_wait_dscnt 0x0
	v_mul_f64_e32 v[77:78], v[40:41], v[44:45]
	v_mul_f64_e32 v[44:45], v[38:39], v[44:45]
	s_delay_alu instid0(VALU_DEP_2) | instskip(NEXT) | instid1(VALU_DEP_2)
	v_fma_f64 v[77:78], v[38:39], v[42:43], -v[77:78]
	v_fma_f64 v[42:43], v[40:41], v[42:43], v[44:45]
	s_delay_alu instid0(VALU_DEP_2) | instskip(NEXT) | instid1(VALU_DEP_2)
	v_add_f64_e32 v[71:72], v[71:72], v[77:78]
	v_add_f64_e32 v[73:74], v[42:43], v[73:74]
	v_mul_f64_e32 v[42:43], v[40:41], v[48:49]
	s_delay_alu instid0(VALU_DEP_1) | instskip(SKIP_1) | instid1(VALU_DEP_2)
	v_fma_f64 v[42:43], v[38:39], v[46:47], -v[42:43]
	v_mul_f64_e32 v[38:39], v[38:39], v[48:49]
	v_add_f64_e32 v[52:53], v[52:53], v[42:43]
	s_delay_alu instid0(VALU_DEP_2) | instskip(NEXT) | instid1(VALU_DEP_1)
	v_fma_f64 v[38:39], v[40:41], v[46:47], v[38:39]
	v_add_f64_e32 v[50:51], v[38:39], v[50:51]
	ds_load_b128 v[38:41], v59 offset:128
	ds_load_b128 v[42:45], v60 offset:4096
	s_wait_dscnt 0x0
	v_mul_f64_e32 v[46:47], v[40:41], v[44:45]
	v_mul_f64_e32 v[48:49], v[38:39], v[44:45]
	s_delay_alu instid0(VALU_DEP_2) | instskip(NEXT) | instid1(VALU_DEP_2)
	v_fma_f64 v[46:47], v[38:39], v[42:43], -v[46:47]
	v_fma_f64 v[48:49], v[40:41], v[42:43], v[48:49]
	s_delay_alu instid0(VALU_DEP_2) | instskip(NEXT) | instid1(VALU_DEP_2)
	v_add_f64_e32 v[2:3], v[2:3], v[46:47]
	v_add_f64_e32 v[75:76], v[48:49], v[75:76]
	ds_load_b128 v[46:49], v60 offset:4352
	s_wait_dscnt 0x0
	v_mul_f64_e32 v[77:78], v[40:41], v[48:49]
	s_delay_alu instid0(VALU_DEP_1) | instskip(SKIP_1) | instid1(VALU_DEP_2)
	v_fma_f64 v[77:78], v[38:39], v[46:47], -v[77:78]
	v_mul_f64_e32 v[38:39], v[38:39], v[48:49]
	v_add_f64_e32 v[56:57], v[56:57], v[77:78]
	s_delay_alu instid0(VALU_DEP_2) | instskip(NEXT) | instid1(VALU_DEP_1)
	v_fma_f64 v[38:39], v[40:41], v[46:47], v[38:39]
	v_add_f64_e32 v[54:55], v[38:39], v[54:55]
	ds_load_b128 v[38:41], v59 offset:8320
	s_wait_dscnt 0x0
	v_mul_f64_e32 v[77:78], v[40:41], v[44:45]
	v_mul_f64_e32 v[44:45], v[38:39], v[44:45]
	s_delay_alu instid0(VALU_DEP_2) | instskip(NEXT) | instid1(VALU_DEP_2)
	v_fma_f64 v[77:78], v[38:39], v[42:43], -v[77:78]
	v_fma_f64 v[42:43], v[40:41], v[42:43], v[44:45]
	s_delay_alu instid0(VALU_DEP_2) | instskip(NEXT) | instid1(VALU_DEP_2)
	v_add_f64_e32 v[71:72], v[71:72], v[77:78]
	v_add_f64_e32 v[73:74], v[42:43], v[73:74]
	v_mul_f64_e32 v[42:43], v[40:41], v[48:49]
	s_delay_alu instid0(VALU_DEP_1) | instskip(SKIP_1) | instid1(VALU_DEP_2)
	v_fma_f64 v[42:43], v[38:39], v[46:47], -v[42:43]
	v_mul_f64_e32 v[38:39], v[38:39], v[48:49]
	v_add_f64_e32 v[52:53], v[52:53], v[42:43]
	s_delay_alu instid0(VALU_DEP_2) | instskip(NEXT) | instid1(VALU_DEP_1)
	v_fma_f64 v[38:39], v[40:41], v[46:47], v[38:39]
	v_add_f64_e32 v[50:51], v[38:39], v[50:51]
	ds_load_b128 v[38:41], v59 offset:144
	ds_load_b128 v[42:45], v60 offset:4608
	s_wait_dscnt 0x0
	v_mul_f64_e32 v[46:47], v[40:41], v[44:45]
	v_mul_f64_e32 v[48:49], v[38:39], v[44:45]
	s_delay_alu instid0(VALU_DEP_2) | instskip(NEXT) | instid1(VALU_DEP_2)
	v_fma_f64 v[46:47], v[38:39], v[42:43], -v[46:47]
	v_fma_f64 v[48:49], v[40:41], v[42:43], v[48:49]
	s_delay_alu instid0(VALU_DEP_2) | instskip(NEXT) | instid1(VALU_DEP_2)
	v_add_f64_e32 v[2:3], v[2:3], v[46:47]
	v_add_f64_e32 v[75:76], v[48:49], v[75:76]
	ds_load_b128 v[46:49], v60 offset:4864
	s_wait_dscnt 0x0
	v_mul_f64_e32 v[77:78], v[40:41], v[48:49]
	s_delay_alu instid0(VALU_DEP_1) | instskip(SKIP_1) | instid1(VALU_DEP_2)
	v_fma_f64 v[77:78], v[38:39], v[46:47], -v[77:78]
	v_mul_f64_e32 v[38:39], v[38:39], v[48:49]
	v_add_f64_e32 v[56:57], v[56:57], v[77:78]
	s_delay_alu instid0(VALU_DEP_2) | instskip(NEXT) | instid1(VALU_DEP_1)
	v_fma_f64 v[38:39], v[40:41], v[46:47], v[38:39]
	v_add_f64_e32 v[54:55], v[38:39], v[54:55]
	ds_load_b128 v[38:41], v59 offset:8336
	s_wait_dscnt 0x0
	v_mul_f64_e32 v[77:78], v[40:41], v[44:45]
	v_mul_f64_e32 v[44:45], v[38:39], v[44:45]
	s_delay_alu instid0(VALU_DEP_2) | instskip(NEXT) | instid1(VALU_DEP_2)
	v_fma_f64 v[77:78], v[38:39], v[42:43], -v[77:78]
	v_fma_f64 v[42:43], v[40:41], v[42:43], v[44:45]
	s_delay_alu instid0(VALU_DEP_2) | instskip(NEXT) | instid1(VALU_DEP_2)
	v_add_f64_e32 v[71:72], v[71:72], v[77:78]
	v_add_f64_e32 v[73:74], v[42:43], v[73:74]
	v_mul_f64_e32 v[42:43], v[40:41], v[48:49]
	s_delay_alu instid0(VALU_DEP_1) | instskip(SKIP_1) | instid1(VALU_DEP_2)
	v_fma_f64 v[42:43], v[38:39], v[46:47], -v[42:43]
	v_mul_f64_e32 v[38:39], v[38:39], v[48:49]
	v_add_f64_e32 v[52:53], v[52:53], v[42:43]
	s_delay_alu instid0(VALU_DEP_2) | instskip(NEXT) | instid1(VALU_DEP_1)
	v_fma_f64 v[38:39], v[40:41], v[46:47], v[38:39]
	v_add_f64_e32 v[50:51], v[38:39], v[50:51]
	ds_load_b128 v[38:41], v59 offset:160
	ds_load_b128 v[42:45], v60 offset:5120
	s_wait_dscnt 0x0
	v_mul_f64_e32 v[46:47], v[40:41], v[44:45]
	v_mul_f64_e32 v[48:49], v[38:39], v[44:45]
	s_delay_alu instid0(VALU_DEP_2) | instskip(NEXT) | instid1(VALU_DEP_2)
	v_fma_f64 v[46:47], v[38:39], v[42:43], -v[46:47]
	v_fma_f64 v[48:49], v[40:41], v[42:43], v[48:49]
	s_delay_alu instid0(VALU_DEP_2) | instskip(NEXT) | instid1(VALU_DEP_2)
	v_add_f64_e32 v[2:3], v[2:3], v[46:47]
	v_add_f64_e32 v[75:76], v[48:49], v[75:76]
	ds_load_b128 v[46:49], v60 offset:5376
	s_wait_dscnt 0x0
	v_mul_f64_e32 v[77:78], v[40:41], v[48:49]
	s_delay_alu instid0(VALU_DEP_1) | instskip(SKIP_1) | instid1(VALU_DEP_2)
	v_fma_f64 v[77:78], v[38:39], v[46:47], -v[77:78]
	v_mul_f64_e32 v[38:39], v[38:39], v[48:49]
	v_add_f64_e32 v[56:57], v[56:57], v[77:78]
	s_delay_alu instid0(VALU_DEP_2) | instskip(NEXT) | instid1(VALU_DEP_1)
	v_fma_f64 v[38:39], v[40:41], v[46:47], v[38:39]
	v_add_f64_e32 v[54:55], v[38:39], v[54:55]
	ds_load_b128 v[38:41], v59 offset:8352
	s_wait_dscnt 0x0
	v_mul_f64_e32 v[77:78], v[40:41], v[44:45]
	v_mul_f64_e32 v[44:45], v[38:39], v[44:45]
	s_delay_alu instid0(VALU_DEP_2) | instskip(NEXT) | instid1(VALU_DEP_2)
	v_fma_f64 v[77:78], v[38:39], v[42:43], -v[77:78]
	v_fma_f64 v[42:43], v[40:41], v[42:43], v[44:45]
	s_delay_alu instid0(VALU_DEP_2) | instskip(NEXT) | instid1(VALU_DEP_2)
	v_add_f64_e32 v[71:72], v[71:72], v[77:78]
	v_add_f64_e32 v[73:74], v[42:43], v[73:74]
	v_mul_f64_e32 v[42:43], v[40:41], v[48:49]
	s_delay_alu instid0(VALU_DEP_1) | instskip(SKIP_1) | instid1(VALU_DEP_2)
	v_fma_f64 v[42:43], v[38:39], v[46:47], -v[42:43]
	v_mul_f64_e32 v[38:39], v[38:39], v[48:49]
	v_add_f64_e32 v[52:53], v[52:53], v[42:43]
	s_delay_alu instid0(VALU_DEP_2) | instskip(NEXT) | instid1(VALU_DEP_1)
	v_fma_f64 v[38:39], v[40:41], v[46:47], v[38:39]
	v_add_f64_e32 v[50:51], v[38:39], v[50:51]
	ds_load_b128 v[38:41], v59 offset:176
	ds_load_b128 v[42:45], v60 offset:5632
	s_wait_dscnt 0x0
	v_mul_f64_e32 v[46:47], v[40:41], v[44:45]
	v_mul_f64_e32 v[48:49], v[38:39], v[44:45]
	s_delay_alu instid0(VALU_DEP_2) | instskip(NEXT) | instid1(VALU_DEP_2)
	v_fma_f64 v[46:47], v[38:39], v[42:43], -v[46:47]
	v_fma_f64 v[48:49], v[40:41], v[42:43], v[48:49]
	s_delay_alu instid0(VALU_DEP_2) | instskip(NEXT) | instid1(VALU_DEP_2)
	v_add_f64_e32 v[2:3], v[2:3], v[46:47]
	v_add_f64_e32 v[75:76], v[48:49], v[75:76]
	ds_load_b128 v[46:49], v60 offset:5888
	s_wait_dscnt 0x0
	v_mul_f64_e32 v[77:78], v[40:41], v[48:49]
	s_delay_alu instid0(VALU_DEP_1) | instskip(SKIP_1) | instid1(VALU_DEP_2)
	v_fma_f64 v[77:78], v[38:39], v[46:47], -v[77:78]
	v_mul_f64_e32 v[38:39], v[38:39], v[48:49]
	v_add_f64_e32 v[56:57], v[56:57], v[77:78]
	s_delay_alu instid0(VALU_DEP_2) | instskip(NEXT) | instid1(VALU_DEP_1)
	v_fma_f64 v[38:39], v[40:41], v[46:47], v[38:39]
	v_add_f64_e32 v[54:55], v[38:39], v[54:55]
	ds_load_b128 v[38:41], v59 offset:8368
	s_wait_dscnt 0x0
	v_mul_f64_e32 v[77:78], v[40:41], v[44:45]
	v_mul_f64_e32 v[44:45], v[38:39], v[44:45]
	s_delay_alu instid0(VALU_DEP_2) | instskip(NEXT) | instid1(VALU_DEP_2)
	v_fma_f64 v[77:78], v[38:39], v[42:43], -v[77:78]
	v_fma_f64 v[42:43], v[40:41], v[42:43], v[44:45]
	s_delay_alu instid0(VALU_DEP_2) | instskip(NEXT) | instid1(VALU_DEP_2)
	v_add_f64_e32 v[71:72], v[71:72], v[77:78]
	v_add_f64_e32 v[73:74], v[42:43], v[73:74]
	v_mul_f64_e32 v[42:43], v[40:41], v[48:49]
	s_delay_alu instid0(VALU_DEP_1) | instskip(SKIP_1) | instid1(VALU_DEP_2)
	v_fma_f64 v[42:43], v[38:39], v[46:47], -v[42:43]
	v_mul_f64_e32 v[38:39], v[38:39], v[48:49]
	v_add_f64_e32 v[52:53], v[52:53], v[42:43]
	s_delay_alu instid0(VALU_DEP_2) | instskip(NEXT) | instid1(VALU_DEP_1)
	v_fma_f64 v[38:39], v[40:41], v[46:47], v[38:39]
	v_add_f64_e32 v[50:51], v[38:39], v[50:51]
	ds_load_b128 v[38:41], v59 offset:192
	ds_load_b128 v[42:45], v60 offset:6144
	s_wait_dscnt 0x0
	v_mul_f64_e32 v[46:47], v[40:41], v[44:45]
	v_mul_f64_e32 v[48:49], v[38:39], v[44:45]
	s_delay_alu instid0(VALU_DEP_2) | instskip(NEXT) | instid1(VALU_DEP_2)
	v_fma_f64 v[46:47], v[38:39], v[42:43], -v[46:47]
	v_fma_f64 v[48:49], v[40:41], v[42:43], v[48:49]
	s_delay_alu instid0(VALU_DEP_2) | instskip(NEXT) | instid1(VALU_DEP_2)
	v_add_f64_e32 v[2:3], v[2:3], v[46:47]
	v_add_f64_e32 v[75:76], v[48:49], v[75:76]
	ds_load_b128 v[46:49], v60 offset:6400
	s_wait_dscnt 0x0
	v_mul_f64_e32 v[77:78], v[40:41], v[48:49]
	s_delay_alu instid0(VALU_DEP_1) | instskip(SKIP_1) | instid1(VALU_DEP_2)
	v_fma_f64 v[77:78], v[38:39], v[46:47], -v[77:78]
	v_mul_f64_e32 v[38:39], v[38:39], v[48:49]
	v_add_f64_e32 v[56:57], v[56:57], v[77:78]
	s_delay_alu instid0(VALU_DEP_2) | instskip(NEXT) | instid1(VALU_DEP_1)
	v_fma_f64 v[38:39], v[40:41], v[46:47], v[38:39]
	v_add_f64_e32 v[54:55], v[38:39], v[54:55]
	ds_load_b128 v[38:41], v59 offset:8384
	s_wait_dscnt 0x0
	v_mul_f64_e32 v[77:78], v[40:41], v[44:45]
	v_mul_f64_e32 v[44:45], v[38:39], v[44:45]
	s_delay_alu instid0(VALU_DEP_2) | instskip(NEXT) | instid1(VALU_DEP_2)
	v_fma_f64 v[77:78], v[38:39], v[42:43], -v[77:78]
	v_fma_f64 v[42:43], v[40:41], v[42:43], v[44:45]
	s_delay_alu instid0(VALU_DEP_2) | instskip(NEXT) | instid1(VALU_DEP_2)
	v_add_f64_e32 v[71:72], v[71:72], v[77:78]
	v_add_f64_e32 v[73:74], v[42:43], v[73:74]
	v_mul_f64_e32 v[42:43], v[40:41], v[48:49]
	s_delay_alu instid0(VALU_DEP_1) | instskip(SKIP_1) | instid1(VALU_DEP_2)
	v_fma_f64 v[42:43], v[38:39], v[46:47], -v[42:43]
	v_mul_f64_e32 v[38:39], v[38:39], v[48:49]
	v_add_f64_e32 v[52:53], v[52:53], v[42:43]
	s_delay_alu instid0(VALU_DEP_2) | instskip(NEXT) | instid1(VALU_DEP_1)
	v_fma_f64 v[38:39], v[40:41], v[46:47], v[38:39]
	v_add_f64_e32 v[50:51], v[38:39], v[50:51]
	ds_load_b128 v[38:41], v59 offset:208
	ds_load_b128 v[42:45], v60 offset:6656
	s_wait_dscnt 0x0
	v_mul_f64_e32 v[46:47], v[40:41], v[44:45]
	v_mul_f64_e32 v[48:49], v[38:39], v[44:45]
	s_delay_alu instid0(VALU_DEP_2) | instskip(NEXT) | instid1(VALU_DEP_2)
	v_fma_f64 v[46:47], v[38:39], v[42:43], -v[46:47]
	v_fma_f64 v[48:49], v[40:41], v[42:43], v[48:49]
	s_delay_alu instid0(VALU_DEP_2) | instskip(NEXT) | instid1(VALU_DEP_2)
	v_add_f64_e32 v[2:3], v[2:3], v[46:47]
	v_add_f64_e32 v[75:76], v[48:49], v[75:76]
	ds_load_b128 v[46:49], v60 offset:6912
	s_wait_dscnt 0x0
	v_mul_f64_e32 v[77:78], v[40:41], v[48:49]
	s_delay_alu instid0(VALU_DEP_1) | instskip(SKIP_1) | instid1(VALU_DEP_2)
	v_fma_f64 v[77:78], v[38:39], v[46:47], -v[77:78]
	v_mul_f64_e32 v[38:39], v[38:39], v[48:49]
	v_add_f64_e32 v[56:57], v[56:57], v[77:78]
	s_delay_alu instid0(VALU_DEP_2) | instskip(NEXT) | instid1(VALU_DEP_1)
	v_fma_f64 v[38:39], v[40:41], v[46:47], v[38:39]
	v_add_f64_e32 v[54:55], v[38:39], v[54:55]
	ds_load_b128 v[38:41], v59 offset:8400
	s_wait_dscnt 0x0
	v_mul_f64_e32 v[77:78], v[40:41], v[44:45]
	v_mul_f64_e32 v[44:45], v[38:39], v[44:45]
	s_delay_alu instid0(VALU_DEP_2) | instskip(NEXT) | instid1(VALU_DEP_2)
	v_fma_f64 v[77:78], v[38:39], v[42:43], -v[77:78]
	v_fma_f64 v[42:43], v[40:41], v[42:43], v[44:45]
	s_delay_alu instid0(VALU_DEP_2) | instskip(NEXT) | instid1(VALU_DEP_2)
	v_add_f64_e32 v[71:72], v[71:72], v[77:78]
	v_add_f64_e32 v[73:74], v[42:43], v[73:74]
	v_mul_f64_e32 v[42:43], v[40:41], v[48:49]
	s_delay_alu instid0(VALU_DEP_1) | instskip(SKIP_1) | instid1(VALU_DEP_2)
	v_fma_f64 v[42:43], v[38:39], v[46:47], -v[42:43]
	v_mul_f64_e32 v[38:39], v[38:39], v[48:49]
	v_add_f64_e32 v[52:53], v[52:53], v[42:43]
	s_delay_alu instid0(VALU_DEP_2) | instskip(NEXT) | instid1(VALU_DEP_1)
	v_fma_f64 v[38:39], v[40:41], v[46:47], v[38:39]
	v_add_f64_e32 v[50:51], v[38:39], v[50:51]
	ds_load_b128 v[38:41], v59 offset:224
	ds_load_b128 v[42:45], v60 offset:7168
	s_wait_dscnt 0x0
	v_mul_f64_e32 v[46:47], v[40:41], v[44:45]
	v_mul_f64_e32 v[48:49], v[38:39], v[44:45]
	s_delay_alu instid0(VALU_DEP_2) | instskip(NEXT) | instid1(VALU_DEP_2)
	v_fma_f64 v[46:47], v[38:39], v[42:43], -v[46:47]
	v_fma_f64 v[48:49], v[40:41], v[42:43], v[48:49]
	s_delay_alu instid0(VALU_DEP_2) | instskip(NEXT) | instid1(VALU_DEP_2)
	v_add_f64_e32 v[2:3], v[2:3], v[46:47]
	v_add_f64_e32 v[75:76], v[48:49], v[75:76]
	ds_load_b128 v[46:49], v60 offset:7424
	s_wait_dscnt 0x0
	v_mul_f64_e32 v[77:78], v[40:41], v[48:49]
	s_delay_alu instid0(VALU_DEP_1) | instskip(SKIP_1) | instid1(VALU_DEP_2)
	v_fma_f64 v[77:78], v[38:39], v[46:47], -v[77:78]
	v_mul_f64_e32 v[38:39], v[38:39], v[48:49]
	v_add_f64_e32 v[56:57], v[56:57], v[77:78]
	s_delay_alu instid0(VALU_DEP_2) | instskip(NEXT) | instid1(VALU_DEP_1)
	v_fma_f64 v[38:39], v[40:41], v[46:47], v[38:39]
	v_add_f64_e32 v[54:55], v[38:39], v[54:55]
	ds_load_b128 v[38:41], v59 offset:8416
	s_wait_dscnt 0x0
	v_mul_f64_e32 v[77:78], v[40:41], v[44:45]
	v_mul_f64_e32 v[44:45], v[38:39], v[44:45]
	s_delay_alu instid0(VALU_DEP_2) | instskip(NEXT) | instid1(VALU_DEP_2)
	v_fma_f64 v[77:78], v[38:39], v[42:43], -v[77:78]
	v_fma_f64 v[42:43], v[40:41], v[42:43], v[44:45]
	s_delay_alu instid0(VALU_DEP_2) | instskip(NEXT) | instid1(VALU_DEP_2)
	v_add_f64_e32 v[71:72], v[71:72], v[77:78]
	v_add_f64_e32 v[73:74], v[42:43], v[73:74]
	v_mul_f64_e32 v[42:43], v[40:41], v[48:49]
	s_delay_alu instid0(VALU_DEP_1) | instskip(SKIP_1) | instid1(VALU_DEP_2)
	v_fma_f64 v[42:43], v[38:39], v[46:47], -v[42:43]
	v_mul_f64_e32 v[38:39], v[38:39], v[48:49]
	v_add_f64_e32 v[52:53], v[52:53], v[42:43]
	s_delay_alu instid0(VALU_DEP_2) | instskip(NEXT) | instid1(VALU_DEP_1)
	v_fma_f64 v[38:39], v[40:41], v[46:47], v[38:39]
	v_add_f64_e32 v[50:51], v[38:39], v[50:51]
	ds_load_b128 v[38:41], v59 offset:240
	ds_load_b128 v[42:45], v60 offset:7680
	s_wait_dscnt 0x0
	v_mul_f64_e32 v[46:47], v[40:41], v[44:45]
	v_mul_f64_e32 v[48:49], v[38:39], v[44:45]
	s_delay_alu instid0(VALU_DEP_2) | instskip(NEXT) | instid1(VALU_DEP_2)
	v_fma_f64 v[46:47], v[38:39], v[42:43], -v[46:47]
	v_fma_f64 v[48:49], v[40:41], v[42:43], v[48:49]
	s_delay_alu instid0(VALU_DEP_2) | instskip(NEXT) | instid1(VALU_DEP_2)
	v_add_f64_e32 v[2:3], v[2:3], v[46:47]
	v_add_f64_e32 v[75:76], v[48:49], v[75:76]
	ds_load_b128 v[46:49], v60 offset:7936
	s_wait_dscnt 0x0
	v_mul_f64_e32 v[77:78], v[40:41], v[48:49]
	s_delay_alu instid0(VALU_DEP_1) | instskip(SKIP_1) | instid1(VALU_DEP_2)
	v_fma_f64 v[77:78], v[38:39], v[46:47], -v[77:78]
	v_mul_f64_e32 v[38:39], v[38:39], v[48:49]
	v_add_f64_e32 v[56:57], v[56:57], v[77:78]
	s_delay_alu instid0(VALU_DEP_2) | instskip(NEXT) | instid1(VALU_DEP_1)
	v_fma_f64 v[38:39], v[40:41], v[46:47], v[38:39]
	v_add_f64_e32 v[54:55], v[38:39], v[54:55]
	ds_load_b128 v[38:41], v59 offset:8432
	s_wait_dscnt 0x0
	v_mul_f64_e32 v[77:78], v[40:41], v[44:45]
	v_mul_f64_e32 v[44:45], v[38:39], v[44:45]
	s_delay_alu instid0(VALU_DEP_2) | instskip(NEXT) | instid1(VALU_DEP_2)
	v_fma_f64 v[77:78], v[38:39], v[42:43], -v[77:78]
	v_fma_f64 v[42:43], v[40:41], v[42:43], v[44:45]
	s_delay_alu instid0(VALU_DEP_2) | instskip(NEXT) | instid1(VALU_DEP_2)
	v_add_f64_e32 v[71:72], v[71:72], v[77:78]
	v_add_f64_e32 v[73:74], v[42:43], v[73:74]
	v_mul_f64_e32 v[42:43], v[40:41], v[48:49]
	s_delay_alu instid0(VALU_DEP_1) | instskip(SKIP_1) | instid1(VALU_DEP_2)
	v_fma_f64 v[42:43], v[38:39], v[46:47], -v[42:43]
	v_mul_f64_e32 v[38:39], v[38:39], v[48:49]
	v_add_f64_e32 v[52:53], v[52:53], v[42:43]
	s_delay_alu instid0(VALU_DEP_2) | instskip(NEXT) | instid1(VALU_DEP_1)
	v_fma_f64 v[38:39], v[40:41], v[46:47], v[38:39]
	v_add_f64_e32 v[50:51], v[38:39], v[50:51]
	ds_load_b128 v[38:41], v59 offset:256
	ds_load_b128 v[42:45], v60 offset:8192
	s_wait_dscnt 0x0
	v_mul_f64_e32 v[46:47], v[40:41], v[44:45]
	v_mul_f64_e32 v[48:49], v[38:39], v[44:45]
	s_delay_alu instid0(VALU_DEP_2) | instskip(NEXT) | instid1(VALU_DEP_2)
	v_fma_f64 v[46:47], v[38:39], v[42:43], -v[46:47]
	v_fma_f64 v[48:49], v[40:41], v[42:43], v[48:49]
	s_delay_alu instid0(VALU_DEP_2) | instskip(NEXT) | instid1(VALU_DEP_2)
	v_add_f64_e32 v[2:3], v[2:3], v[46:47]
	v_add_f64_e32 v[75:76], v[48:49], v[75:76]
	ds_load_b128 v[46:49], v60 offset:8448
	s_wait_dscnt 0x0
	v_mul_f64_e32 v[77:78], v[40:41], v[48:49]
	s_delay_alu instid0(VALU_DEP_1) | instskip(SKIP_1) | instid1(VALU_DEP_2)
	v_fma_f64 v[77:78], v[38:39], v[46:47], -v[77:78]
	v_mul_f64_e32 v[38:39], v[38:39], v[48:49]
	v_add_f64_e32 v[56:57], v[56:57], v[77:78]
	s_delay_alu instid0(VALU_DEP_2) | instskip(NEXT) | instid1(VALU_DEP_1)
	v_fma_f64 v[38:39], v[40:41], v[46:47], v[38:39]
	v_add_f64_e32 v[54:55], v[38:39], v[54:55]
	ds_load_b128 v[38:41], v59 offset:8448
	s_wait_dscnt 0x0
	v_mul_f64_e32 v[77:78], v[40:41], v[44:45]
	v_mul_f64_e32 v[44:45], v[38:39], v[44:45]
	s_delay_alu instid0(VALU_DEP_2) | instskip(NEXT) | instid1(VALU_DEP_2)
	v_fma_f64 v[77:78], v[38:39], v[42:43], -v[77:78]
	v_fma_f64 v[42:43], v[40:41], v[42:43], v[44:45]
	s_delay_alu instid0(VALU_DEP_2) | instskip(NEXT) | instid1(VALU_DEP_2)
	v_add_f64_e32 v[71:72], v[71:72], v[77:78]
	v_add_f64_e32 v[73:74], v[42:43], v[73:74]
	v_mul_f64_e32 v[42:43], v[40:41], v[48:49]
	s_delay_alu instid0(VALU_DEP_1) | instskip(SKIP_1) | instid1(VALU_DEP_2)
	v_fma_f64 v[42:43], v[38:39], v[46:47], -v[42:43]
	v_mul_f64_e32 v[38:39], v[38:39], v[48:49]
	v_add_f64_e32 v[52:53], v[52:53], v[42:43]
	s_delay_alu instid0(VALU_DEP_2) | instskip(NEXT) | instid1(VALU_DEP_1)
	v_fma_f64 v[38:39], v[40:41], v[46:47], v[38:39]
	v_add_f64_e32 v[50:51], v[38:39], v[50:51]
	ds_load_b128 v[38:41], v59 offset:272
	ds_load_b128 v[42:45], v60 offset:8704
	s_wait_dscnt 0x0
	v_mul_f64_e32 v[46:47], v[40:41], v[44:45]
	v_mul_f64_e32 v[48:49], v[38:39], v[44:45]
	s_delay_alu instid0(VALU_DEP_2) | instskip(NEXT) | instid1(VALU_DEP_2)
	v_fma_f64 v[46:47], v[38:39], v[42:43], -v[46:47]
	v_fma_f64 v[48:49], v[40:41], v[42:43], v[48:49]
	s_delay_alu instid0(VALU_DEP_2) | instskip(NEXT) | instid1(VALU_DEP_2)
	v_add_f64_e32 v[2:3], v[2:3], v[46:47]
	v_add_f64_e32 v[75:76], v[48:49], v[75:76]
	ds_load_b128 v[46:49], v60 offset:8960
	s_wait_dscnt 0x0
	v_mul_f64_e32 v[77:78], v[40:41], v[48:49]
	s_delay_alu instid0(VALU_DEP_1) | instskip(SKIP_1) | instid1(VALU_DEP_2)
	v_fma_f64 v[77:78], v[38:39], v[46:47], -v[77:78]
	v_mul_f64_e32 v[38:39], v[38:39], v[48:49]
	v_add_f64_e32 v[56:57], v[56:57], v[77:78]
	s_delay_alu instid0(VALU_DEP_2) | instskip(NEXT) | instid1(VALU_DEP_1)
	v_fma_f64 v[38:39], v[40:41], v[46:47], v[38:39]
	v_add_f64_e32 v[54:55], v[38:39], v[54:55]
	ds_load_b128 v[38:41], v59 offset:8464
	s_wait_dscnt 0x0
	v_mul_f64_e32 v[77:78], v[40:41], v[44:45]
	v_mul_f64_e32 v[44:45], v[38:39], v[44:45]
	s_delay_alu instid0(VALU_DEP_2) | instskip(NEXT) | instid1(VALU_DEP_2)
	v_fma_f64 v[77:78], v[38:39], v[42:43], -v[77:78]
	v_fma_f64 v[42:43], v[40:41], v[42:43], v[44:45]
	s_delay_alu instid0(VALU_DEP_2) | instskip(NEXT) | instid1(VALU_DEP_2)
	v_add_f64_e32 v[71:72], v[71:72], v[77:78]
	v_add_f64_e32 v[73:74], v[42:43], v[73:74]
	v_mul_f64_e32 v[42:43], v[40:41], v[48:49]
	s_delay_alu instid0(VALU_DEP_1) | instskip(SKIP_1) | instid1(VALU_DEP_2)
	v_fma_f64 v[42:43], v[38:39], v[46:47], -v[42:43]
	v_mul_f64_e32 v[38:39], v[38:39], v[48:49]
	v_add_f64_e32 v[52:53], v[52:53], v[42:43]
	s_delay_alu instid0(VALU_DEP_2) | instskip(NEXT) | instid1(VALU_DEP_1)
	v_fma_f64 v[38:39], v[40:41], v[46:47], v[38:39]
	v_add_f64_e32 v[50:51], v[38:39], v[50:51]
	ds_load_b128 v[38:41], v59 offset:288
	ds_load_b128 v[42:45], v60 offset:9216
	s_wait_dscnt 0x0
	v_mul_f64_e32 v[46:47], v[40:41], v[44:45]
	v_mul_f64_e32 v[48:49], v[38:39], v[44:45]
	s_delay_alu instid0(VALU_DEP_2) | instskip(NEXT) | instid1(VALU_DEP_2)
	v_fma_f64 v[46:47], v[38:39], v[42:43], -v[46:47]
	v_fma_f64 v[48:49], v[40:41], v[42:43], v[48:49]
	s_delay_alu instid0(VALU_DEP_2) | instskip(NEXT) | instid1(VALU_DEP_2)
	v_add_f64_e32 v[2:3], v[2:3], v[46:47]
	v_add_f64_e32 v[75:76], v[48:49], v[75:76]
	ds_load_b128 v[46:49], v60 offset:9472
	s_wait_dscnt 0x0
	v_mul_f64_e32 v[77:78], v[40:41], v[48:49]
	s_delay_alu instid0(VALU_DEP_1) | instskip(SKIP_1) | instid1(VALU_DEP_2)
	v_fma_f64 v[77:78], v[38:39], v[46:47], -v[77:78]
	v_mul_f64_e32 v[38:39], v[38:39], v[48:49]
	v_add_f64_e32 v[56:57], v[56:57], v[77:78]
	s_delay_alu instid0(VALU_DEP_2) | instskip(NEXT) | instid1(VALU_DEP_1)
	v_fma_f64 v[38:39], v[40:41], v[46:47], v[38:39]
	v_add_f64_e32 v[54:55], v[38:39], v[54:55]
	ds_load_b128 v[38:41], v59 offset:8480
	s_wait_dscnt 0x0
	v_mul_f64_e32 v[77:78], v[40:41], v[44:45]
	v_mul_f64_e32 v[44:45], v[38:39], v[44:45]
	s_delay_alu instid0(VALU_DEP_2) | instskip(NEXT) | instid1(VALU_DEP_2)
	v_fma_f64 v[77:78], v[38:39], v[42:43], -v[77:78]
	v_fma_f64 v[42:43], v[40:41], v[42:43], v[44:45]
	s_delay_alu instid0(VALU_DEP_2) | instskip(NEXT) | instid1(VALU_DEP_2)
	v_add_f64_e32 v[71:72], v[71:72], v[77:78]
	v_add_f64_e32 v[73:74], v[42:43], v[73:74]
	v_mul_f64_e32 v[42:43], v[40:41], v[48:49]
	s_delay_alu instid0(VALU_DEP_1) | instskip(SKIP_1) | instid1(VALU_DEP_2)
	v_fma_f64 v[42:43], v[38:39], v[46:47], -v[42:43]
	v_mul_f64_e32 v[38:39], v[38:39], v[48:49]
	v_add_f64_e32 v[52:53], v[52:53], v[42:43]
	s_delay_alu instid0(VALU_DEP_2) | instskip(NEXT) | instid1(VALU_DEP_1)
	v_fma_f64 v[38:39], v[40:41], v[46:47], v[38:39]
	v_add_f64_e32 v[50:51], v[38:39], v[50:51]
	ds_load_b128 v[38:41], v59 offset:304
	ds_load_b128 v[42:45], v60 offset:9728
	s_wait_dscnt 0x0
	v_mul_f64_e32 v[46:47], v[40:41], v[44:45]
	v_mul_f64_e32 v[48:49], v[38:39], v[44:45]
	s_delay_alu instid0(VALU_DEP_2) | instskip(NEXT) | instid1(VALU_DEP_2)
	v_fma_f64 v[46:47], v[38:39], v[42:43], -v[46:47]
	v_fma_f64 v[48:49], v[40:41], v[42:43], v[48:49]
	s_delay_alu instid0(VALU_DEP_2) | instskip(NEXT) | instid1(VALU_DEP_2)
	v_add_f64_e32 v[2:3], v[2:3], v[46:47]
	v_add_f64_e32 v[75:76], v[48:49], v[75:76]
	ds_load_b128 v[46:49], v60 offset:9984
	s_wait_dscnt 0x0
	v_mul_f64_e32 v[77:78], v[40:41], v[48:49]
	s_delay_alu instid0(VALU_DEP_1) | instskip(SKIP_1) | instid1(VALU_DEP_2)
	v_fma_f64 v[77:78], v[38:39], v[46:47], -v[77:78]
	v_mul_f64_e32 v[38:39], v[38:39], v[48:49]
	v_add_f64_e32 v[56:57], v[56:57], v[77:78]
	s_delay_alu instid0(VALU_DEP_2) | instskip(NEXT) | instid1(VALU_DEP_1)
	v_fma_f64 v[38:39], v[40:41], v[46:47], v[38:39]
	v_add_f64_e32 v[54:55], v[38:39], v[54:55]
	ds_load_b128 v[38:41], v59 offset:8496
	s_wait_dscnt 0x0
	v_mul_f64_e32 v[77:78], v[40:41], v[44:45]
	v_mul_f64_e32 v[44:45], v[38:39], v[44:45]
	s_delay_alu instid0(VALU_DEP_2) | instskip(NEXT) | instid1(VALU_DEP_2)
	v_fma_f64 v[77:78], v[38:39], v[42:43], -v[77:78]
	v_fma_f64 v[42:43], v[40:41], v[42:43], v[44:45]
	s_delay_alu instid0(VALU_DEP_2) | instskip(NEXT) | instid1(VALU_DEP_2)
	v_add_f64_e32 v[71:72], v[71:72], v[77:78]
	v_add_f64_e32 v[73:74], v[42:43], v[73:74]
	v_mul_f64_e32 v[42:43], v[40:41], v[48:49]
	s_delay_alu instid0(VALU_DEP_1) | instskip(SKIP_1) | instid1(VALU_DEP_2)
	v_fma_f64 v[42:43], v[38:39], v[46:47], -v[42:43]
	v_mul_f64_e32 v[38:39], v[38:39], v[48:49]
	v_add_f64_e32 v[52:53], v[52:53], v[42:43]
	s_delay_alu instid0(VALU_DEP_2) | instskip(NEXT) | instid1(VALU_DEP_1)
	v_fma_f64 v[38:39], v[40:41], v[46:47], v[38:39]
	v_add_f64_e32 v[50:51], v[38:39], v[50:51]
	ds_load_b128 v[38:41], v59 offset:320
	ds_load_b128 v[42:45], v60 offset:10240
	s_wait_dscnt 0x0
	v_mul_f64_e32 v[46:47], v[40:41], v[44:45]
	v_mul_f64_e32 v[48:49], v[38:39], v[44:45]
	s_delay_alu instid0(VALU_DEP_2) | instskip(NEXT) | instid1(VALU_DEP_2)
	v_fma_f64 v[46:47], v[38:39], v[42:43], -v[46:47]
	v_fma_f64 v[48:49], v[40:41], v[42:43], v[48:49]
	s_delay_alu instid0(VALU_DEP_2) | instskip(NEXT) | instid1(VALU_DEP_2)
	v_add_f64_e32 v[2:3], v[2:3], v[46:47]
	v_add_f64_e32 v[75:76], v[48:49], v[75:76]
	ds_load_b128 v[46:49], v60 offset:10496
	s_wait_dscnt 0x0
	v_mul_f64_e32 v[77:78], v[40:41], v[48:49]
	s_delay_alu instid0(VALU_DEP_1) | instskip(SKIP_1) | instid1(VALU_DEP_2)
	v_fma_f64 v[77:78], v[38:39], v[46:47], -v[77:78]
	v_mul_f64_e32 v[38:39], v[38:39], v[48:49]
	v_add_f64_e32 v[56:57], v[56:57], v[77:78]
	s_delay_alu instid0(VALU_DEP_2) | instskip(NEXT) | instid1(VALU_DEP_1)
	v_fma_f64 v[38:39], v[40:41], v[46:47], v[38:39]
	v_add_f64_e32 v[54:55], v[38:39], v[54:55]
	ds_load_b128 v[38:41], v59 offset:8512
	s_wait_dscnt 0x0
	v_mul_f64_e32 v[77:78], v[40:41], v[44:45]
	v_mul_f64_e32 v[44:45], v[38:39], v[44:45]
	s_delay_alu instid0(VALU_DEP_2) | instskip(NEXT) | instid1(VALU_DEP_2)
	v_fma_f64 v[77:78], v[38:39], v[42:43], -v[77:78]
	v_fma_f64 v[42:43], v[40:41], v[42:43], v[44:45]
	s_delay_alu instid0(VALU_DEP_2) | instskip(NEXT) | instid1(VALU_DEP_2)
	v_add_f64_e32 v[71:72], v[71:72], v[77:78]
	v_add_f64_e32 v[73:74], v[42:43], v[73:74]
	v_mul_f64_e32 v[42:43], v[40:41], v[48:49]
	s_delay_alu instid0(VALU_DEP_1) | instskip(SKIP_1) | instid1(VALU_DEP_2)
	v_fma_f64 v[42:43], v[38:39], v[46:47], -v[42:43]
	v_mul_f64_e32 v[38:39], v[38:39], v[48:49]
	v_add_f64_e32 v[52:53], v[52:53], v[42:43]
	s_delay_alu instid0(VALU_DEP_2) | instskip(NEXT) | instid1(VALU_DEP_1)
	v_fma_f64 v[38:39], v[40:41], v[46:47], v[38:39]
	v_add_f64_e32 v[50:51], v[38:39], v[50:51]
	ds_load_b128 v[38:41], v59 offset:336
	ds_load_b128 v[42:45], v60 offset:10752
	s_wait_dscnt 0x0
	v_mul_f64_e32 v[46:47], v[40:41], v[44:45]
	v_mul_f64_e32 v[48:49], v[38:39], v[44:45]
	s_delay_alu instid0(VALU_DEP_2) | instskip(NEXT) | instid1(VALU_DEP_2)
	v_fma_f64 v[46:47], v[38:39], v[42:43], -v[46:47]
	v_fma_f64 v[48:49], v[40:41], v[42:43], v[48:49]
	s_delay_alu instid0(VALU_DEP_2) | instskip(NEXT) | instid1(VALU_DEP_2)
	v_add_f64_e32 v[2:3], v[2:3], v[46:47]
	v_add_f64_e32 v[75:76], v[48:49], v[75:76]
	ds_load_b128 v[46:49], v60 offset:11008
	s_wait_dscnt 0x0
	v_mul_f64_e32 v[77:78], v[40:41], v[48:49]
	s_delay_alu instid0(VALU_DEP_1) | instskip(SKIP_1) | instid1(VALU_DEP_2)
	v_fma_f64 v[77:78], v[38:39], v[46:47], -v[77:78]
	v_mul_f64_e32 v[38:39], v[38:39], v[48:49]
	v_add_f64_e32 v[56:57], v[56:57], v[77:78]
	s_delay_alu instid0(VALU_DEP_2) | instskip(NEXT) | instid1(VALU_DEP_1)
	v_fma_f64 v[38:39], v[40:41], v[46:47], v[38:39]
	v_add_f64_e32 v[54:55], v[38:39], v[54:55]
	ds_load_b128 v[38:41], v59 offset:8528
	s_wait_dscnt 0x0
	v_mul_f64_e32 v[77:78], v[40:41], v[44:45]
	v_mul_f64_e32 v[44:45], v[38:39], v[44:45]
	s_delay_alu instid0(VALU_DEP_2) | instskip(NEXT) | instid1(VALU_DEP_2)
	v_fma_f64 v[77:78], v[38:39], v[42:43], -v[77:78]
	v_fma_f64 v[42:43], v[40:41], v[42:43], v[44:45]
	s_delay_alu instid0(VALU_DEP_2) | instskip(NEXT) | instid1(VALU_DEP_2)
	v_add_f64_e32 v[71:72], v[71:72], v[77:78]
	v_add_f64_e32 v[73:74], v[42:43], v[73:74]
	v_mul_f64_e32 v[42:43], v[40:41], v[48:49]
	s_delay_alu instid0(VALU_DEP_1) | instskip(SKIP_1) | instid1(VALU_DEP_2)
	v_fma_f64 v[42:43], v[38:39], v[46:47], -v[42:43]
	v_mul_f64_e32 v[38:39], v[38:39], v[48:49]
	v_add_f64_e32 v[52:53], v[52:53], v[42:43]
	s_delay_alu instid0(VALU_DEP_2) | instskip(NEXT) | instid1(VALU_DEP_1)
	v_fma_f64 v[38:39], v[40:41], v[46:47], v[38:39]
	v_add_f64_e32 v[50:51], v[38:39], v[50:51]
	ds_load_b128 v[38:41], v59 offset:352
	ds_load_b128 v[42:45], v60 offset:11264
	s_wait_dscnt 0x0
	v_mul_f64_e32 v[46:47], v[40:41], v[44:45]
	v_mul_f64_e32 v[48:49], v[38:39], v[44:45]
	s_delay_alu instid0(VALU_DEP_2) | instskip(NEXT) | instid1(VALU_DEP_2)
	v_fma_f64 v[46:47], v[38:39], v[42:43], -v[46:47]
	v_fma_f64 v[48:49], v[40:41], v[42:43], v[48:49]
	s_delay_alu instid0(VALU_DEP_2) | instskip(NEXT) | instid1(VALU_DEP_2)
	v_add_f64_e32 v[2:3], v[2:3], v[46:47]
	v_add_f64_e32 v[75:76], v[48:49], v[75:76]
	ds_load_b128 v[46:49], v60 offset:11520
	s_wait_dscnt 0x0
	v_mul_f64_e32 v[77:78], v[40:41], v[48:49]
	s_delay_alu instid0(VALU_DEP_1) | instskip(SKIP_1) | instid1(VALU_DEP_2)
	v_fma_f64 v[77:78], v[38:39], v[46:47], -v[77:78]
	v_mul_f64_e32 v[38:39], v[38:39], v[48:49]
	v_add_f64_e32 v[56:57], v[56:57], v[77:78]
	s_delay_alu instid0(VALU_DEP_2) | instskip(NEXT) | instid1(VALU_DEP_1)
	v_fma_f64 v[38:39], v[40:41], v[46:47], v[38:39]
	v_add_f64_e32 v[54:55], v[38:39], v[54:55]
	ds_load_b128 v[38:41], v59 offset:8544
	s_wait_dscnt 0x0
	v_mul_f64_e32 v[77:78], v[40:41], v[44:45]
	v_mul_f64_e32 v[44:45], v[38:39], v[44:45]
	s_delay_alu instid0(VALU_DEP_2) | instskip(NEXT) | instid1(VALU_DEP_2)
	v_fma_f64 v[77:78], v[38:39], v[42:43], -v[77:78]
	v_fma_f64 v[42:43], v[40:41], v[42:43], v[44:45]
	s_delay_alu instid0(VALU_DEP_2) | instskip(NEXT) | instid1(VALU_DEP_2)
	v_add_f64_e32 v[71:72], v[71:72], v[77:78]
	v_add_f64_e32 v[73:74], v[42:43], v[73:74]
	v_mul_f64_e32 v[42:43], v[40:41], v[48:49]
	s_delay_alu instid0(VALU_DEP_1) | instskip(SKIP_1) | instid1(VALU_DEP_2)
	v_fma_f64 v[42:43], v[38:39], v[46:47], -v[42:43]
	v_mul_f64_e32 v[38:39], v[38:39], v[48:49]
	v_add_f64_e32 v[52:53], v[52:53], v[42:43]
	s_delay_alu instid0(VALU_DEP_2) | instskip(NEXT) | instid1(VALU_DEP_1)
	v_fma_f64 v[38:39], v[40:41], v[46:47], v[38:39]
	v_add_f64_e32 v[50:51], v[38:39], v[50:51]
	ds_load_b128 v[38:41], v59 offset:368
	ds_load_b128 v[42:45], v60 offset:11776
	s_wait_dscnt 0x0
	v_mul_f64_e32 v[46:47], v[40:41], v[44:45]
	v_mul_f64_e32 v[48:49], v[38:39], v[44:45]
	s_delay_alu instid0(VALU_DEP_2) | instskip(NEXT) | instid1(VALU_DEP_2)
	v_fma_f64 v[46:47], v[38:39], v[42:43], -v[46:47]
	v_fma_f64 v[48:49], v[40:41], v[42:43], v[48:49]
	s_delay_alu instid0(VALU_DEP_2) | instskip(NEXT) | instid1(VALU_DEP_2)
	v_add_f64_e32 v[2:3], v[2:3], v[46:47]
	v_add_f64_e32 v[75:76], v[48:49], v[75:76]
	ds_load_b128 v[46:49], v60 offset:12032
	s_wait_dscnt 0x0
	v_mul_f64_e32 v[77:78], v[40:41], v[48:49]
	s_delay_alu instid0(VALU_DEP_1) | instskip(SKIP_1) | instid1(VALU_DEP_2)
	v_fma_f64 v[77:78], v[38:39], v[46:47], -v[77:78]
	v_mul_f64_e32 v[38:39], v[38:39], v[48:49]
	v_add_f64_e32 v[56:57], v[56:57], v[77:78]
	s_delay_alu instid0(VALU_DEP_2) | instskip(NEXT) | instid1(VALU_DEP_1)
	v_fma_f64 v[38:39], v[40:41], v[46:47], v[38:39]
	v_add_f64_e32 v[54:55], v[38:39], v[54:55]
	ds_load_b128 v[38:41], v59 offset:8560
	s_wait_dscnt 0x0
	v_mul_f64_e32 v[77:78], v[40:41], v[44:45]
	v_mul_f64_e32 v[44:45], v[38:39], v[44:45]
	s_delay_alu instid0(VALU_DEP_2) | instskip(NEXT) | instid1(VALU_DEP_2)
	v_fma_f64 v[77:78], v[38:39], v[42:43], -v[77:78]
	v_fma_f64 v[42:43], v[40:41], v[42:43], v[44:45]
	s_delay_alu instid0(VALU_DEP_2) | instskip(NEXT) | instid1(VALU_DEP_2)
	v_add_f64_e32 v[71:72], v[71:72], v[77:78]
	v_add_f64_e32 v[73:74], v[42:43], v[73:74]
	v_mul_f64_e32 v[42:43], v[40:41], v[48:49]
	s_delay_alu instid0(VALU_DEP_1) | instskip(SKIP_1) | instid1(VALU_DEP_2)
	v_fma_f64 v[42:43], v[38:39], v[46:47], -v[42:43]
	v_mul_f64_e32 v[38:39], v[38:39], v[48:49]
	v_add_f64_e32 v[52:53], v[52:53], v[42:43]
	s_delay_alu instid0(VALU_DEP_2) | instskip(NEXT) | instid1(VALU_DEP_1)
	v_fma_f64 v[38:39], v[40:41], v[46:47], v[38:39]
	v_add_f64_e32 v[50:51], v[38:39], v[50:51]
	ds_load_b128 v[38:41], v59 offset:384
	ds_load_b128 v[42:45], v60 offset:12288
	s_wait_dscnt 0x0
	v_mul_f64_e32 v[46:47], v[40:41], v[44:45]
	v_mul_f64_e32 v[48:49], v[38:39], v[44:45]
	s_delay_alu instid0(VALU_DEP_2) | instskip(NEXT) | instid1(VALU_DEP_2)
	v_fma_f64 v[46:47], v[38:39], v[42:43], -v[46:47]
	v_fma_f64 v[48:49], v[40:41], v[42:43], v[48:49]
	s_delay_alu instid0(VALU_DEP_2) | instskip(NEXT) | instid1(VALU_DEP_2)
	v_add_f64_e32 v[2:3], v[2:3], v[46:47]
	v_add_f64_e32 v[75:76], v[48:49], v[75:76]
	ds_load_b128 v[46:49], v60 offset:12544
	s_wait_dscnt 0x0
	v_mul_f64_e32 v[77:78], v[40:41], v[48:49]
	s_delay_alu instid0(VALU_DEP_1) | instskip(SKIP_1) | instid1(VALU_DEP_2)
	v_fma_f64 v[77:78], v[38:39], v[46:47], -v[77:78]
	v_mul_f64_e32 v[38:39], v[38:39], v[48:49]
	v_add_f64_e32 v[56:57], v[56:57], v[77:78]
	s_delay_alu instid0(VALU_DEP_2) | instskip(NEXT) | instid1(VALU_DEP_1)
	v_fma_f64 v[38:39], v[40:41], v[46:47], v[38:39]
	v_add_f64_e32 v[54:55], v[38:39], v[54:55]
	ds_load_b128 v[38:41], v59 offset:8576
	s_wait_dscnt 0x0
	v_mul_f64_e32 v[77:78], v[40:41], v[44:45]
	v_mul_f64_e32 v[44:45], v[38:39], v[44:45]
	s_delay_alu instid0(VALU_DEP_2) | instskip(NEXT) | instid1(VALU_DEP_2)
	v_fma_f64 v[77:78], v[38:39], v[42:43], -v[77:78]
	v_fma_f64 v[42:43], v[40:41], v[42:43], v[44:45]
	s_delay_alu instid0(VALU_DEP_2) | instskip(NEXT) | instid1(VALU_DEP_2)
	v_add_f64_e32 v[71:72], v[71:72], v[77:78]
	v_add_f64_e32 v[73:74], v[42:43], v[73:74]
	v_mul_f64_e32 v[42:43], v[40:41], v[48:49]
	s_delay_alu instid0(VALU_DEP_1) | instskip(SKIP_1) | instid1(VALU_DEP_2)
	v_fma_f64 v[42:43], v[38:39], v[46:47], -v[42:43]
	v_mul_f64_e32 v[38:39], v[38:39], v[48:49]
	v_add_f64_e32 v[52:53], v[52:53], v[42:43]
	s_delay_alu instid0(VALU_DEP_2) | instskip(NEXT) | instid1(VALU_DEP_1)
	v_fma_f64 v[38:39], v[40:41], v[46:47], v[38:39]
	v_add_f64_e32 v[50:51], v[38:39], v[50:51]
	ds_load_b128 v[38:41], v59 offset:400
	ds_load_b128 v[42:45], v60 offset:12800
	s_wait_dscnt 0x0
	v_mul_f64_e32 v[46:47], v[40:41], v[44:45]
	v_mul_f64_e32 v[48:49], v[38:39], v[44:45]
	s_delay_alu instid0(VALU_DEP_2) | instskip(NEXT) | instid1(VALU_DEP_2)
	v_fma_f64 v[46:47], v[38:39], v[42:43], -v[46:47]
	v_fma_f64 v[48:49], v[40:41], v[42:43], v[48:49]
	s_delay_alu instid0(VALU_DEP_2) | instskip(NEXT) | instid1(VALU_DEP_2)
	v_add_f64_e32 v[2:3], v[2:3], v[46:47]
	v_add_f64_e32 v[75:76], v[48:49], v[75:76]
	ds_load_b128 v[46:49], v60 offset:13056
	s_wait_dscnt 0x0
	v_mul_f64_e32 v[77:78], v[40:41], v[48:49]
	s_delay_alu instid0(VALU_DEP_1) | instskip(SKIP_1) | instid1(VALU_DEP_2)
	v_fma_f64 v[77:78], v[38:39], v[46:47], -v[77:78]
	v_mul_f64_e32 v[38:39], v[38:39], v[48:49]
	v_add_f64_e32 v[56:57], v[56:57], v[77:78]
	s_delay_alu instid0(VALU_DEP_2) | instskip(NEXT) | instid1(VALU_DEP_1)
	v_fma_f64 v[38:39], v[40:41], v[46:47], v[38:39]
	v_add_f64_e32 v[54:55], v[38:39], v[54:55]
	ds_load_b128 v[38:41], v59 offset:8592
	s_wait_dscnt 0x0
	v_mul_f64_e32 v[77:78], v[40:41], v[44:45]
	v_mul_f64_e32 v[44:45], v[38:39], v[44:45]
	s_delay_alu instid0(VALU_DEP_2) | instskip(NEXT) | instid1(VALU_DEP_2)
	v_fma_f64 v[77:78], v[38:39], v[42:43], -v[77:78]
	v_fma_f64 v[42:43], v[40:41], v[42:43], v[44:45]
	s_delay_alu instid0(VALU_DEP_2) | instskip(NEXT) | instid1(VALU_DEP_2)
	v_add_f64_e32 v[71:72], v[71:72], v[77:78]
	v_add_f64_e32 v[73:74], v[42:43], v[73:74]
	v_mul_f64_e32 v[42:43], v[40:41], v[48:49]
	s_delay_alu instid0(VALU_DEP_1) | instskip(SKIP_1) | instid1(VALU_DEP_2)
	v_fma_f64 v[42:43], v[38:39], v[46:47], -v[42:43]
	v_mul_f64_e32 v[38:39], v[38:39], v[48:49]
	v_add_f64_e32 v[52:53], v[52:53], v[42:43]
	s_delay_alu instid0(VALU_DEP_2) | instskip(NEXT) | instid1(VALU_DEP_1)
	v_fma_f64 v[38:39], v[40:41], v[46:47], v[38:39]
	v_add_f64_e32 v[50:51], v[38:39], v[50:51]
	ds_load_b128 v[38:41], v59 offset:416
	ds_load_b128 v[42:45], v60 offset:13312
	s_wait_dscnt 0x0
	v_mul_f64_e32 v[46:47], v[40:41], v[44:45]
	v_mul_f64_e32 v[48:49], v[38:39], v[44:45]
	s_delay_alu instid0(VALU_DEP_2) | instskip(NEXT) | instid1(VALU_DEP_2)
	v_fma_f64 v[46:47], v[38:39], v[42:43], -v[46:47]
	v_fma_f64 v[48:49], v[40:41], v[42:43], v[48:49]
	s_delay_alu instid0(VALU_DEP_2) | instskip(NEXT) | instid1(VALU_DEP_2)
	v_add_f64_e32 v[2:3], v[2:3], v[46:47]
	v_add_f64_e32 v[75:76], v[48:49], v[75:76]
	ds_load_b128 v[46:49], v60 offset:13568
	s_wait_dscnt 0x0
	v_mul_f64_e32 v[77:78], v[40:41], v[48:49]
	s_delay_alu instid0(VALU_DEP_1) | instskip(SKIP_1) | instid1(VALU_DEP_2)
	v_fma_f64 v[77:78], v[38:39], v[46:47], -v[77:78]
	v_mul_f64_e32 v[38:39], v[38:39], v[48:49]
	v_add_f64_e32 v[56:57], v[56:57], v[77:78]
	s_delay_alu instid0(VALU_DEP_2) | instskip(NEXT) | instid1(VALU_DEP_1)
	v_fma_f64 v[38:39], v[40:41], v[46:47], v[38:39]
	v_add_f64_e32 v[54:55], v[38:39], v[54:55]
	ds_load_b128 v[38:41], v59 offset:8608
	s_wait_dscnt 0x0
	v_mul_f64_e32 v[77:78], v[40:41], v[44:45]
	v_mul_f64_e32 v[44:45], v[38:39], v[44:45]
	s_delay_alu instid0(VALU_DEP_2) | instskip(NEXT) | instid1(VALU_DEP_2)
	v_fma_f64 v[77:78], v[38:39], v[42:43], -v[77:78]
	v_fma_f64 v[42:43], v[40:41], v[42:43], v[44:45]
	s_delay_alu instid0(VALU_DEP_2) | instskip(NEXT) | instid1(VALU_DEP_2)
	v_add_f64_e32 v[71:72], v[71:72], v[77:78]
	v_add_f64_e32 v[73:74], v[42:43], v[73:74]
	v_mul_f64_e32 v[42:43], v[40:41], v[48:49]
	s_delay_alu instid0(VALU_DEP_1) | instskip(SKIP_1) | instid1(VALU_DEP_2)
	v_fma_f64 v[42:43], v[38:39], v[46:47], -v[42:43]
	v_mul_f64_e32 v[38:39], v[38:39], v[48:49]
	v_add_f64_e32 v[52:53], v[52:53], v[42:43]
	s_delay_alu instid0(VALU_DEP_2) | instskip(NEXT) | instid1(VALU_DEP_1)
	v_fma_f64 v[38:39], v[40:41], v[46:47], v[38:39]
	v_add_f64_e32 v[50:51], v[38:39], v[50:51]
	ds_load_b128 v[38:41], v59 offset:432
	ds_load_b128 v[42:45], v60 offset:13824
	s_wait_dscnt 0x0
	v_mul_f64_e32 v[46:47], v[40:41], v[44:45]
	v_mul_f64_e32 v[48:49], v[38:39], v[44:45]
	s_delay_alu instid0(VALU_DEP_2) | instskip(NEXT) | instid1(VALU_DEP_2)
	v_fma_f64 v[46:47], v[38:39], v[42:43], -v[46:47]
	v_fma_f64 v[48:49], v[40:41], v[42:43], v[48:49]
	s_delay_alu instid0(VALU_DEP_2) | instskip(NEXT) | instid1(VALU_DEP_2)
	v_add_f64_e32 v[2:3], v[2:3], v[46:47]
	v_add_f64_e32 v[75:76], v[48:49], v[75:76]
	ds_load_b128 v[46:49], v60 offset:14080
	s_wait_dscnt 0x0
	v_mul_f64_e32 v[77:78], v[40:41], v[48:49]
	s_delay_alu instid0(VALU_DEP_1) | instskip(SKIP_1) | instid1(VALU_DEP_2)
	v_fma_f64 v[77:78], v[38:39], v[46:47], -v[77:78]
	v_mul_f64_e32 v[38:39], v[38:39], v[48:49]
	v_add_f64_e32 v[56:57], v[56:57], v[77:78]
	s_delay_alu instid0(VALU_DEP_2) | instskip(NEXT) | instid1(VALU_DEP_1)
	v_fma_f64 v[38:39], v[40:41], v[46:47], v[38:39]
	v_add_f64_e32 v[54:55], v[38:39], v[54:55]
	ds_load_b128 v[38:41], v59 offset:8624
	s_wait_dscnt 0x0
	v_mul_f64_e32 v[77:78], v[40:41], v[44:45]
	v_mul_f64_e32 v[44:45], v[38:39], v[44:45]
	s_delay_alu instid0(VALU_DEP_2) | instskip(NEXT) | instid1(VALU_DEP_2)
	v_fma_f64 v[77:78], v[38:39], v[42:43], -v[77:78]
	v_fma_f64 v[42:43], v[40:41], v[42:43], v[44:45]
	s_delay_alu instid0(VALU_DEP_2) | instskip(NEXT) | instid1(VALU_DEP_2)
	v_add_f64_e32 v[71:72], v[71:72], v[77:78]
	v_add_f64_e32 v[73:74], v[42:43], v[73:74]
	v_mul_f64_e32 v[42:43], v[40:41], v[48:49]
	s_delay_alu instid0(VALU_DEP_1) | instskip(SKIP_1) | instid1(VALU_DEP_2)
	v_fma_f64 v[42:43], v[38:39], v[46:47], -v[42:43]
	v_mul_f64_e32 v[38:39], v[38:39], v[48:49]
	v_add_f64_e32 v[52:53], v[52:53], v[42:43]
	s_delay_alu instid0(VALU_DEP_2) | instskip(NEXT) | instid1(VALU_DEP_1)
	v_fma_f64 v[38:39], v[40:41], v[46:47], v[38:39]
	v_add_f64_e32 v[50:51], v[38:39], v[50:51]
	ds_load_b128 v[38:41], v59 offset:448
	ds_load_b128 v[42:45], v60 offset:14336
	s_wait_dscnt 0x0
	v_mul_f64_e32 v[46:47], v[40:41], v[44:45]
	v_mul_f64_e32 v[48:49], v[38:39], v[44:45]
	s_delay_alu instid0(VALU_DEP_2) | instskip(NEXT) | instid1(VALU_DEP_2)
	v_fma_f64 v[46:47], v[38:39], v[42:43], -v[46:47]
	v_fma_f64 v[48:49], v[40:41], v[42:43], v[48:49]
	s_delay_alu instid0(VALU_DEP_2) | instskip(NEXT) | instid1(VALU_DEP_2)
	v_add_f64_e32 v[2:3], v[2:3], v[46:47]
	v_add_f64_e32 v[75:76], v[48:49], v[75:76]
	ds_load_b128 v[46:49], v60 offset:14592
	s_wait_dscnt 0x0
	v_mul_f64_e32 v[77:78], v[40:41], v[48:49]
	s_delay_alu instid0(VALU_DEP_1) | instskip(SKIP_1) | instid1(VALU_DEP_2)
	v_fma_f64 v[77:78], v[38:39], v[46:47], -v[77:78]
	v_mul_f64_e32 v[38:39], v[38:39], v[48:49]
	v_add_f64_e32 v[56:57], v[56:57], v[77:78]
	s_delay_alu instid0(VALU_DEP_2) | instskip(NEXT) | instid1(VALU_DEP_1)
	v_fma_f64 v[38:39], v[40:41], v[46:47], v[38:39]
	v_add_f64_e32 v[54:55], v[38:39], v[54:55]
	ds_load_b128 v[38:41], v59 offset:8640
	s_wait_dscnt 0x0
	v_mul_f64_e32 v[77:78], v[40:41], v[44:45]
	v_mul_f64_e32 v[44:45], v[38:39], v[44:45]
	s_delay_alu instid0(VALU_DEP_2) | instskip(NEXT) | instid1(VALU_DEP_2)
	v_fma_f64 v[77:78], v[38:39], v[42:43], -v[77:78]
	v_fma_f64 v[42:43], v[40:41], v[42:43], v[44:45]
	s_delay_alu instid0(VALU_DEP_2) | instskip(NEXT) | instid1(VALU_DEP_2)
	v_add_f64_e32 v[71:72], v[71:72], v[77:78]
	v_add_f64_e32 v[73:74], v[42:43], v[73:74]
	v_mul_f64_e32 v[42:43], v[40:41], v[48:49]
	s_delay_alu instid0(VALU_DEP_1) | instskip(SKIP_1) | instid1(VALU_DEP_2)
	v_fma_f64 v[42:43], v[38:39], v[46:47], -v[42:43]
	v_mul_f64_e32 v[38:39], v[38:39], v[48:49]
	v_add_f64_e32 v[52:53], v[52:53], v[42:43]
	s_delay_alu instid0(VALU_DEP_2) | instskip(NEXT) | instid1(VALU_DEP_1)
	v_fma_f64 v[38:39], v[40:41], v[46:47], v[38:39]
	v_add_f64_e32 v[50:51], v[38:39], v[50:51]
	ds_load_b128 v[38:41], v59 offset:464
	ds_load_b128 v[42:45], v60 offset:14848
	s_wait_dscnt 0x0
	v_mul_f64_e32 v[46:47], v[40:41], v[44:45]
	v_mul_f64_e32 v[48:49], v[38:39], v[44:45]
	s_delay_alu instid0(VALU_DEP_2) | instskip(NEXT) | instid1(VALU_DEP_2)
	v_fma_f64 v[46:47], v[38:39], v[42:43], -v[46:47]
	v_fma_f64 v[48:49], v[40:41], v[42:43], v[48:49]
	s_delay_alu instid0(VALU_DEP_2) | instskip(NEXT) | instid1(VALU_DEP_2)
	v_add_f64_e32 v[2:3], v[2:3], v[46:47]
	v_add_f64_e32 v[75:76], v[48:49], v[75:76]
	ds_load_b128 v[46:49], v60 offset:15104
	s_wait_dscnt 0x0
	v_mul_f64_e32 v[77:78], v[40:41], v[48:49]
	s_delay_alu instid0(VALU_DEP_1) | instskip(SKIP_1) | instid1(VALU_DEP_2)
	v_fma_f64 v[77:78], v[38:39], v[46:47], -v[77:78]
	v_mul_f64_e32 v[38:39], v[38:39], v[48:49]
	v_add_f64_e32 v[56:57], v[56:57], v[77:78]
	s_delay_alu instid0(VALU_DEP_2) | instskip(NEXT) | instid1(VALU_DEP_1)
	v_fma_f64 v[38:39], v[40:41], v[46:47], v[38:39]
	v_add_f64_e32 v[54:55], v[38:39], v[54:55]
	ds_load_b128 v[38:41], v59 offset:8656
	s_wait_dscnt 0x0
	v_mul_f64_e32 v[77:78], v[40:41], v[44:45]
	v_mul_f64_e32 v[44:45], v[38:39], v[44:45]
	s_delay_alu instid0(VALU_DEP_2) | instskip(NEXT) | instid1(VALU_DEP_2)
	v_fma_f64 v[77:78], v[38:39], v[42:43], -v[77:78]
	v_fma_f64 v[42:43], v[40:41], v[42:43], v[44:45]
	s_delay_alu instid0(VALU_DEP_2) | instskip(NEXT) | instid1(VALU_DEP_2)
	v_add_f64_e32 v[71:72], v[71:72], v[77:78]
	v_add_f64_e32 v[73:74], v[42:43], v[73:74]
	v_mul_f64_e32 v[42:43], v[40:41], v[48:49]
	s_delay_alu instid0(VALU_DEP_1) | instskip(SKIP_1) | instid1(VALU_DEP_2)
	v_fma_f64 v[42:43], v[38:39], v[46:47], -v[42:43]
	v_mul_f64_e32 v[38:39], v[38:39], v[48:49]
	v_add_f64_e32 v[52:53], v[52:53], v[42:43]
	s_delay_alu instid0(VALU_DEP_2) | instskip(NEXT) | instid1(VALU_DEP_1)
	v_fma_f64 v[38:39], v[40:41], v[46:47], v[38:39]
	v_add_f64_e32 v[50:51], v[38:39], v[50:51]
	ds_load_b128 v[38:41], v59 offset:480
	ds_load_b128 v[42:45], v60 offset:15360
	s_wait_dscnt 0x0
	v_mul_f64_e32 v[46:47], v[40:41], v[44:45]
	v_mul_f64_e32 v[48:49], v[38:39], v[44:45]
	s_delay_alu instid0(VALU_DEP_2) | instskip(NEXT) | instid1(VALU_DEP_2)
	v_fma_f64 v[46:47], v[38:39], v[42:43], -v[46:47]
	v_fma_f64 v[48:49], v[40:41], v[42:43], v[48:49]
	s_delay_alu instid0(VALU_DEP_2) | instskip(NEXT) | instid1(VALU_DEP_2)
	v_add_f64_e32 v[77:78], v[2:3], v[46:47]
	v_add_f64_e32 v[75:76], v[48:49], v[75:76]
	ds_load_b128 v[46:49], v60 offset:15616
	s_wait_dscnt 0x0
	v_mul_f64_e32 v[2:3], v[40:41], v[48:49]
	s_delay_alu instid0(VALU_DEP_1) | instskip(SKIP_1) | instid1(VALU_DEP_2)
	v_fma_f64 v[2:3], v[38:39], v[46:47], -v[2:3]
	v_mul_f64_e32 v[38:39], v[38:39], v[48:49]
	v_add_f64_e32 v[56:57], v[56:57], v[2:3]
	s_delay_alu instid0(VALU_DEP_2) | instskip(NEXT) | instid1(VALU_DEP_1)
	v_fma_f64 v[38:39], v[40:41], v[46:47], v[38:39]
	v_add_f64_e32 v[79:80], v[38:39], v[54:55]
	ds_load_b128 v[38:41], v59 offset:8672
	s_wait_dscnt 0x0
	v_mul_f64_e32 v[2:3], v[40:41], v[44:45]
	v_mul_f64_e32 v[44:45], v[38:39], v[44:45]
	s_delay_alu instid0(VALU_DEP_2) | instskip(NEXT) | instid1(VALU_DEP_2)
	v_fma_f64 v[2:3], v[38:39], v[42:43], -v[2:3]
	v_fma_f64 v[42:43], v[40:41], v[42:43], v[44:45]
	s_delay_alu instid0(VALU_DEP_2) | instskip(SKIP_1) | instid1(VALU_DEP_3)
	v_add_f64_e32 v[81:82], v[71:72], v[2:3]
	v_mul_f64_e32 v[2:3], v[40:41], v[48:49]
	v_add_f64_e32 v[83:84], v[42:43], v[73:74]
	s_delay_alu instid0(VALU_DEP_2) | instskip(SKIP_1) | instid1(VALU_DEP_2)
	v_fma_f64 v[2:3], v[38:39], v[46:47], -v[2:3]
	v_mul_f64_e32 v[38:39], v[38:39], v[48:49]
	v_add_f64_e32 v[2:3], v[52:53], v[2:3]
	s_delay_alu instid0(VALU_DEP_2) | instskip(NEXT) | instid1(VALU_DEP_1)
	v_fma_f64 v[38:39], v[40:41], v[46:47], v[38:39]
	v_add_f64_e32 v[50:51], v[38:39], v[50:51]
	ds_load_b128 v[38:41], v59 offset:496
	ds_load_b128 v[42:45], v60 offset:15872
	;; [unrolled: 1-line block ×3, first 2 shown]
	s_wait_dscnt 0x1
	v_mul_f64_e32 v[46:47], v[40:41], v[44:45]
	s_wait_dscnt 0x0
	v_mul_f64_e32 v[71:72], v[40:41], v[54:55]
	v_mul_f64_e32 v[48:49], v[38:39], v[44:45]
	s_delay_alu instid0(VALU_DEP_3) | instskip(NEXT) | instid1(VALU_DEP_3)
	v_fma_f64 v[46:47], v[38:39], v[42:43], -v[46:47]
	v_fma_f64 v[71:72], v[38:39], v[52:53], -v[71:72]
	v_mul_f64_e32 v[38:39], v[38:39], v[54:55]
	s_delay_alu instid0(VALU_DEP_4) | instskip(NEXT) | instid1(VALU_DEP_4)
	v_fma_f64 v[48:49], v[40:41], v[42:43], v[48:49]
	v_add_f64_e32 v[46:47], v[77:78], v[46:47]
	s_delay_alu instid0(VALU_DEP_3)
	v_fma_f64 v[40:41], v[40:41], v[52:53], v[38:39]
	v_add_f64_e32 v[38:39], v[56:57], v[71:72]
	ds_load_b128 v[71:74], v59 offset:8688
	v_add_f64_e32 v[48:49], v[48:49], v[75:76]
	s_wait_loadcnt_dscnt 0x0
	s_barrier_signal -1
	s_barrier_wait -1
	global_inv scope:SCOPE_SE
	v_mul_f64_e32 v[56:57], v[73:74], v[44:45]
	v_mul_f64_e32 v[44:45], v[71:72], v[44:45]
	v_add_f64_e32 v[40:41], v[40:41], v[79:80]
	s_delay_alu instid0(VALU_DEP_3) | instskip(NEXT) | instid1(VALU_DEP_3)
	v_fma_f64 v[56:57], v[71:72], v[42:43], -v[56:57]
	v_fma_f64 v[44:45], v[73:74], v[42:43], v[44:45]
	s_delay_alu instid0(VALU_DEP_2) | instskip(SKIP_2) | instid1(VALU_DEP_4)
	v_add_f64_e32 v[42:43], v[81:82], v[56:57]
	v_mul_f64_e32 v[56:57], v[73:74], v[54:55]
	v_mul_f64_e32 v[54:55], v[71:72], v[54:55]
	v_add_f64_e32 v[44:45], v[44:45], v[83:84]
	s_delay_alu instid0(VALU_DEP_3) | instskip(NEXT) | instid1(VALU_DEP_3)
	v_fma_f64 v[56:57], v[71:72], v[52:53], -v[56:57]
	v_fma_f64 v[54:55], v[73:74], v[52:53], v[54:55]
	s_delay_alu instid0(VALU_DEP_2) | instskip(NEXT) | instid1(VALU_DEP_2)
	v_add_f64_e32 v[52:53], v[2:3], v[56:57]
	v_add_f64_e32 v[50:51], v[54:55], v[50:51]
	s_cbranch_scc1 .LBB121_59
.LBB121_10:                             ;   Parent Loop BB121_4 Depth=1
                                        ;     Parent Loop BB121_7 Depth=2
                                        ; =>    This Inner Loop Header: Depth=3
	s_wait_alu 0xfffe
	v_add_co_u32 v54, s5, v14, s52
	s_wait_alu 0xf1ff
	v_add_co_ci_u32_e64 v55, null, s53, v15, s5
	v_cmp_eq_u64_e64 s7, s[52:53], v[20:21]
	v_add_co_u32 v56, s8, v26, v30
	s_delay_alu instid0(VALU_DEP_3)
	v_cmp_lt_i64_e64 s5, v[54:55], v[16:17]
	v_cmp_le_i64_e64 s6, s[46:47], v[54:55]
	s_wait_alu 0xf1ff
	v_add_co_ci_u32_e64 v57, null, v27, v31, s8
	s_and_b32 s62, s56, s7
	s_or_b32 s8, vcc_lo, s5
	s_wait_alu 0xfffe
	s_or_b32 s7, s6, s8
	s_wait_alu 0xfffe
	s_nor_b32 s7, s7, s62
	s_wait_alu 0xfffe
	s_and_saveexec_b32 s8, s7
	s_wait_alu 0xfffe
	s_xor_b32 s7, exec_lo, s8
	s_cbranch_execz .LBB121_12
; %bb.11:                               ;   in Loop: Header=BB121_10 Depth=3
	global_load_b128 v[71:74], v[56:57], off offset:-256
	s_wait_loadcnt 0x0
	ds_store_2addr_b64 v61, v[71:72], v[73:74] offset1:1
.LBB121_12:                             ;   in Loop: Header=BB121_10 Depth=3
	s_wait_alu 0xfffe
	s_or_saveexec_b32 s7, s7
	s_xor_b32 s61, s62, -1
	s_wait_alu 0xfffe
	s_xor_b32 exec_lo, exec_lo, s7
	s_cbranch_execz .LBB121_18
; %bb.13:                               ;   in Loop: Header=BB121_10 Depth=3
	s_and_saveexec_b32 s8, s61
	s_wait_alu 0xfffe
	s_xor_b32 s8, exec_lo, s8
; %bb.14:                               ;   in Loop: Header=BB121_10 Depth=3
	v_dual_mov_b32 v71, v0 :: v_dual_mov_b32 v72, v0
	v_dual_mov_b32 v73, v0 :: v_dual_mov_b32 v74, v0
	ds_store_b128 v61, v[71:74]
; %bb.15:                               ;   in Loop: Header=BB121_10 Depth=3
	s_wait_alu 0xfffe
	s_and_not1_saveexec_b32 s8, s8
; %bb.16:                               ;   in Loop: Header=BB121_10 Depth=3
	v_dual_mov_b32 v2, v0 :: v_dual_mov_b32 v3, v0
	ds_store_b128 v61, v[0:3]
; %bb.17:                               ;   in Loop: Header=BB121_10 Depth=3
	s_wait_alu 0xfffe
	s_or_b32 exec_lo, exec_lo, s8
.LBB121_18:                             ;   in Loop: Header=BB121_10 Depth=3
	s_delay_alu instid0(SALU_CYCLE_1) | instskip(SKIP_4) | instid1(VALU_DEP_2)
	s_or_b32 exec_lo, exec_lo, s7
	v_add_co_u32 v2, s7, v54, 16
	s_wait_alu 0xf1ff
	v_add_co_ci_u32_e64 v3, null, 0, v55, s7
	v_cmp_eq_u64_e64 s9, s[52:53], v[34:35]
	v_cmp_lt_i64_e64 s8, v[2:3], v[16:17]
	v_cmp_le_i64_e64 s7, s[46:47], v[2:3]
	s_and_b32 s9, s56, s9
	s_or_b32 s8, vcc_lo, s8
	s_wait_alu 0xfffe
	s_or_b32 s8, s7, s8
	s_wait_alu 0xfffe
	s_nor_b32 s8, s8, s9
	s_wait_alu 0xfffe
	s_and_saveexec_b32 s63, s8
	s_delay_alu instid0(SALU_CYCLE_1)
	s_xor_b32 s8, exec_lo, s63
	s_cbranch_execz .LBB121_20
; %bb.19:                               ;   in Loop: Header=BB121_10 Depth=3
	global_load_b128 v[71:74], v[56:57], off
	s_wait_loadcnt 0x0
	ds_store_2addr_b64 v63, v[71:72], v[73:74] offset1:1
.LBB121_20:                             ;   in Loop: Header=BB121_10 Depth=3
	s_wait_alu 0xfffe
	s_and_not1_saveexec_b32 s8, s8
	s_cbranch_execz .LBB121_26
; %bb.21:                               ;   in Loop: Header=BB121_10 Depth=3
	s_xor_b32 s9, s9, -1
	s_wait_alu 0xfffe
	s_and_saveexec_b32 s63, s9
	s_delay_alu instid0(SALU_CYCLE_1)
	s_xor_b32 s9, exec_lo, s63
; %bb.22:                               ;   in Loop: Header=BB121_10 Depth=3
	v_dual_mov_b32 v71, v0 :: v_dual_mov_b32 v72, v0
	v_dual_mov_b32 v73, v0 :: v_dual_mov_b32 v74, v0
	ds_store_b128 v61, v[71:74] offset:256
; %bb.23:                               ;   in Loop: Header=BB121_10 Depth=3
	s_wait_alu 0xfffe
	s_and_not1_saveexec_b32 s9, s9
; %bb.24:                               ;   in Loop: Header=BB121_10 Depth=3
	v_dual_mov_b32 v2, v0 :: v_dual_mov_b32 v3, v0
	ds_store_b128 v61, v[0:3] offset:256
; %bb.25:                               ;   in Loop: Header=BB121_10 Depth=3
	s_wait_alu 0xfffe
	s_or_b32 exec_lo, exec_lo, s9
.LBB121_26:                             ;   in Loop: Header=BB121_10 Depth=3
	s_wait_alu 0xfffe
	s_or_b32 exec_lo, exec_lo, s8
	v_cmp_eq_u64_e64 s8, s[52:53], v[32:33]
	v_cmp_lt_i64_e64 s9, v[54:55], v[28:29]
	s_and_b32 s63, s56, s8
	v_add_co_u32 v54, s8, v24, v30
	s_or_b32 s9, s4, s9
	v_add_co_ci_u32_e64 v55, null, v25, v31, s8
	s_wait_alu 0xfffe
	s_or_b32 s8, s9, s63
	s_wait_alu 0xfffe
	s_nor_b32 s6, s6, s8
	s_wait_alu 0xfffe
	s_and_saveexec_b32 s8, s6
	s_wait_alu 0xfffe
	s_xor_b32 s6, exec_lo, s8
	s_cbranch_execz .LBB121_28
; %bb.27:                               ;   in Loop: Header=BB121_10 Depth=3
	global_load_b128 v[71:74], v[54:55], off offset:-256
	s_wait_loadcnt 0x0
	ds_store_2addr_b64 v64, v[71:72], v[73:74] offset1:1
.LBB121_28:                             ;   in Loop: Header=BB121_10 Depth=3
	s_wait_alu 0xfffe
	s_and_not1_saveexec_b32 s6, s6
	s_cbranch_execz .LBB121_34
; %bb.29:                               ;   in Loop: Header=BB121_10 Depth=3
	s_xor_b32 s8, s63, -1
	s_wait_alu 0xfffe
	s_and_saveexec_b32 s9, s8
	s_wait_alu 0xfffe
	s_xor_b32 s8, exec_lo, s9
; %bb.30:                               ;   in Loop: Header=BB121_10 Depth=3
	v_dual_mov_b32 v71, v0 :: v_dual_mov_b32 v72, v0
	v_dual_mov_b32 v73, v0 :: v_dual_mov_b32 v74, v0
	ds_store_b128 v61, v[71:74] offset:8192
; %bb.31:                               ;   in Loop: Header=BB121_10 Depth=3
	s_wait_alu 0xfffe
	s_and_not1_saveexec_b32 s8, s8
; %bb.32:                               ;   in Loop: Header=BB121_10 Depth=3
	v_dual_mov_b32 v2, v0 :: v_dual_mov_b32 v3, v0
	ds_store_b128 v61, v[0:3] offset:8192
; %bb.33:                               ;   in Loop: Header=BB121_10 Depth=3
	s_wait_alu 0xfffe
	s_or_b32 exec_lo, exec_lo, s8
.LBB121_34:                             ;   in Loop: Header=BB121_10 Depth=3
	s_wait_alu 0xfffe
	s_or_b32 exec_lo, exec_lo, s6
	s_or_b32 s5, s4, s5
	s_wait_alu 0xfffe
	s_or_b32 s5, s7, s5
	s_wait_alu 0xfffe
	s_nor_b32 s5, s5, s62
	s_wait_alu 0xfffe
	s_and_saveexec_b32 s6, s5
	s_wait_alu 0xfffe
	s_xor_b32 s5, exec_lo, s6
	s_cbranch_execz .LBB121_36
; %bb.35:                               ;   in Loop: Header=BB121_10 Depth=3
	global_load_b128 v[54:57], v[54:55], off
	s_wait_loadcnt 0x0
	ds_store_2addr_b64 v65, v[54:55], v[56:57] offset1:1
.LBB121_36:                             ;   in Loop: Header=BB121_10 Depth=3
	s_wait_alu 0xfffe
	s_and_not1_saveexec_b32 s5, s5
	s_cbranch_execz .LBB121_42
; %bb.37:                               ;   in Loop: Header=BB121_10 Depth=3
	s_and_saveexec_b32 s6, s61
	s_wait_alu 0xfffe
	s_xor_b32 s6, exec_lo, s6
; %bb.38:                               ;   in Loop: Header=BB121_10 Depth=3
	v_dual_mov_b32 v54, v0 :: v_dual_mov_b32 v55, v0
	v_dual_mov_b32 v56, v0 :: v_dual_mov_b32 v57, v0
	ds_store_b128 v61, v[54:57] offset:8448
; %bb.39:                               ;   in Loop: Header=BB121_10 Depth=3
	s_wait_alu 0xfffe
	s_and_not1_saveexec_b32 s6, s6
; %bb.40:                               ;   in Loop: Header=BB121_10 Depth=3
	v_dual_mov_b32 v2, v0 :: v_dual_mov_b32 v3, v0
	ds_store_b128 v61, v[0:3] offset:8448
; %bb.41:                               ;   in Loop: Header=BB121_10 Depth=3
	s_wait_alu 0xfffe
	s_or_b32 exec_lo, exec_lo, s6
.LBB121_42:                             ;   in Loop: Header=BB121_10 Depth=3
	s_wait_alu 0xfffe
	s_or_b32 exec_lo, exec_lo, s5
	v_add_co_u32 v2, s5, v12, s52
	s_wait_alu 0xf1ff
	v_add_co_ci_u32_e64 v3, null, s53, v13, s5
	v_add_co_u32 v54, s6, v36, v18
	s_wait_alu 0xf1ff
	v_add_co_ci_u32_e64 v55, null, v37, v19, s6
	s_delay_alu instid0(VALU_DEP_3)
	v_cmp_le_i64_e64 s5, s[46:47], v[2:3]
	s_nor_b32 s6, s5, s0
	s_wait_alu 0xfffe
	s_and_saveexec_b32 s7, s6
	s_wait_alu 0xfffe
	s_xor_b32 s6, exec_lo, s7
	s_cbranch_execz .LBB121_44
; %bb.43:                               ;   in Loop: Header=BB121_10 Depth=3
	global_load_b128 v[71:74], v[54:55], off offset:-256
	s_wait_loadcnt 0x0
	ds_store_2addr_b64 v62, v[71:72], v[73:74] offset1:1
.LBB121_44:                             ;   in Loop: Header=BB121_10 Depth=3
	s_wait_alu 0xfffe
	s_and_not1_saveexec_b32 s6, s6
; %bb.45:                               ;   in Loop: Header=BB121_10 Depth=3
	v_dual_mov_b32 v71, v0 :: v_dual_mov_b32 v72, v0
	v_dual_mov_b32 v73, v0 :: v_dual_mov_b32 v74, v0
	ds_store_b128 v62, v[71:74]
; %bb.46:                               ;   in Loop: Header=BB121_10 Depth=3
	s_wait_alu 0xfffe
	s_or_b32 exec_lo, exec_lo, s6
	s_nor_b32 s5, s5, s1
	s_wait_alu 0xfffe
	s_and_saveexec_b32 s6, s5
	s_wait_alu 0xfffe
	s_xor_b32 s5, exec_lo, s6
	s_cbranch_execz .LBB121_48
; %bb.47:                               ;   in Loop: Header=BB121_10 Depth=3
	global_load_b128 v[54:57], v[54:55], off
	s_wait_loadcnt 0x0
	ds_store_2addr_b64 v66, v[54:55], v[56:57] offset1:1
.LBB121_48:                             ;   in Loop: Header=BB121_10 Depth=3
	s_wait_alu 0xfffe
	s_and_not1_saveexec_b32 s5, s5
; %bb.49:                               ;   in Loop: Header=BB121_10 Depth=3
	v_dual_mov_b32 v54, v0 :: v_dual_mov_b32 v55, v0
	v_dual_mov_b32 v56, v0 :: v_dual_mov_b32 v57, v0
	ds_store_b128 v62, v[54:57] offset:256
; %bb.50:                               ;   in Loop: Header=BB121_10 Depth=3
	s_wait_alu 0xfffe
	s_or_b32 exec_lo, exec_lo, s5
	v_cmp_le_i64_e64 s5, s[48:49], v[2:3]
	v_add_co_u32 v2, s6, v36, v22
	s_wait_alu 0xf1ff
	v_add_co_ci_u32_e64 v3, null, v37, v23, s6
	s_nor_b32 s6, s5, s0
	s_wait_alu 0xfffe
	s_and_saveexec_b32 s7, s6
	s_wait_alu 0xfffe
	s_xor_b32 s6, exec_lo, s7
	s_cbranch_execz .LBB121_52
; %bb.51:                               ;   in Loop: Header=BB121_10 Depth=3
	global_load_b128 v[54:57], v[2:3], off offset:-256
	s_wait_loadcnt 0x0
	ds_store_2addr_b64 v67, v[54:55], v[56:57] offset1:1
.LBB121_52:                             ;   in Loop: Header=BB121_10 Depth=3
	s_wait_alu 0xfffe
	s_and_not1_saveexec_b32 s6, s6
; %bb.53:                               ;   in Loop: Header=BB121_10 Depth=3
	v_dual_mov_b32 v54, v0 :: v_dual_mov_b32 v55, v0
	v_dual_mov_b32 v56, v0 :: v_dual_mov_b32 v57, v0
	ds_store_b128 v62, v[54:57] offset:8192
; %bb.54:                               ;   in Loop: Header=BB121_10 Depth=3
	s_wait_alu 0xfffe
	s_or_b32 exec_lo, exec_lo, s6
	s_nor_b32 s5, s5, s1
	s_wait_alu 0xfffe
	s_and_saveexec_b32 s6, s5
	s_wait_alu 0xfffe
	s_xor_b32 s5, exec_lo, s6
	s_cbranch_execz .LBB121_56
; %bb.55:                               ;   in Loop: Header=BB121_10 Depth=3
	global_load_b128 v[54:57], v[2:3], off
	s_wait_loadcnt 0x0
	ds_store_2addr_b64 v68, v[54:55], v[56:57] offset1:1
.LBB121_56:                             ;   in Loop: Header=BB121_10 Depth=3
	s_wait_alu 0xfffe
	s_and_not1_saveexec_b32 s5, s5
	s_cbranch_execz .LBB121_9
; %bb.57:                               ;   in Loop: Header=BB121_10 Depth=3
	v_dual_mov_b32 v54, v0 :: v_dual_mov_b32 v55, v0
	v_dual_mov_b32 v56, v0 :: v_dual_mov_b32 v57, v0
	ds_store_b128 v62, v[54:57] offset:8448
	s_branch .LBB121_9
.LBB121_58:                             ;   in Loop: Header=BB121_7 Depth=2
	v_mov_b32_e32 v46, 0
	v_mov_b32_e32 v38, 0
	v_mov_b32_e32 v42, 0
	v_dual_mov_b32 v52, 0 :: v_dual_mov_b32 v47, 0
	v_dual_mov_b32 v48, 0 :: v_dual_mov_b32 v39, 0
	;; [unrolled: 1-line block ×5, first 2 shown]
	v_mov_b32_e32 v41, 0
	v_mov_b32_e32 v45, 0
	;; [unrolled: 1-line block ×3, first 2 shown]
.LBB121_59:                             ;   in Loop: Header=BB121_7 Depth=2
	v_mul_lo_u32 v13, s29, v16
	v_mul_lo_u32 v15, s28, v17
	v_mad_co_u64_u32 v[2:3], null, s28, v16, 0
	v_cmp_gt_i32_e32 vcc_lo, s42, v16
	s_delay_alu instid0(VALU_DEP_2) | instskip(NEXT) | instid1(VALU_DEP_1)
	v_add3_u32 v3, v3, v15, v13
	v_lshlrev_b64_e32 v[2:3], 4, v[2:3]
	s_delay_alu instid0(VALU_DEP_1) | instskip(SKIP_1) | instid1(VALU_DEP_2)
	v_add_co_u32 v2, s4, s40, v2
	s_wait_alu 0xf1ff
	v_add_co_ci_u32_e64 v3, null, s41, v3, s4
	s_and_b32 s4, s2, vcc_lo
	s_wait_alu 0xfffe
	s_and_saveexec_b32 s5, s4
	s_cbranch_execz .LBB121_61
; %bb.60:                               ;   in Loop: Header=BB121_7 Depth=2
	v_add_co_u32 v21, s4, v2, v6
	s_wait_alu 0xf1ff
	v_add_co_ci_u32_e64 v22, null, v3, v7, s4
	v_mul_f64_e32 v[23:24], s[38:39], v[48:49]
	v_mul_f64_e32 v[25:26], s[36:37], v[48:49]
	global_load_b128 v[17:20], v[21:22], off
	v_fma_f64 v[23:24], s[36:37], v[46:47], -v[23:24]
	v_fma_f64 v[25:26], s[38:39], v[46:47], v[25:26]
	s_wait_loadcnt 0x0
	s_delay_alu instid0(VALU_DEP_2) | instskip(NEXT) | instid1(VALU_DEP_2)
	v_add_f64_e32 v[17:18], v[17:18], v[23:24]
	v_add_f64_e32 v[19:20], v[25:26], v[19:20]
	global_store_b128 v[21:22], v[17:20], off
.LBB121_61:                             ;   in Loop: Header=BB121_7 Depth=2
	s_wait_alu 0xfffe
	s_or_b32 exec_lo, exec_lo, s5
	s_and_b32 s5, s3, vcc_lo
	s_wait_alu 0xfffe
	s_and_saveexec_b32 s4, s5
	s_cbranch_execz .LBB121_63
; %bb.62:                               ;   in Loop: Header=BB121_7 Depth=2
	v_lshlrev_b64_e32 v[17:18], 4, v[4:5]
	v_mul_f64_e32 v[21:22], s[38:39], v[40:41]
	v_mul_f64_e32 v[23:24], s[36:37], v[40:41]
	s_delay_alu instid0(VALU_DEP_3) | instskip(SKIP_1) | instid1(VALU_DEP_4)
	v_add_co_u32 v2, vcc_lo, v2, v17
	s_wait_alu 0xfffd
	v_add_co_ci_u32_e64 v3, null, v3, v18, vcc_lo
	global_load_b128 v[17:20], v[2:3], off
	v_fma_f64 v[21:22], s[36:37], v[38:39], -v[21:22]
	v_fma_f64 v[23:24], s[38:39], v[38:39], v[23:24]
	s_wait_loadcnt 0x0
	s_delay_alu instid0(VALU_DEP_2) | instskip(NEXT) | instid1(VALU_DEP_2)
	v_add_f64_e32 v[17:18], v[17:18], v[21:22]
	v_add_f64_e32 v[19:20], v[23:24], v[19:20]
	global_store_b128 v[2:3], v[17:20], off
.LBB121_63:                             ;   in Loop: Header=BB121_7 Depth=2
	s_wait_alu 0xfffe
	s_or_b32 exec_lo, exec_lo, s4
	v_add_nc_u32_e32 v13, 16, v16
	s_delay_alu instid0(VALU_DEP_1) | instskip(SKIP_3) | instid1(VALU_DEP_4)
	v_ashrrev_i32_e32 v15, 31, v13
	v_mul_lo_u32 v16, s29, v13
	v_mad_co_u64_u32 v[2:3], null, s28, v13, 0
	v_cmp_gt_i32_e32 vcc_lo, s42, v13
	v_mul_lo_u32 v15, s28, v15
	s_delay_alu instid0(VALU_DEP_1) | instskip(NEXT) | instid1(VALU_DEP_1)
	v_add3_u32 v3, v3, v15, v16
	v_lshlrev_b64_e32 v[2:3], 4, v[2:3]
	s_delay_alu instid0(VALU_DEP_1) | instskip(SKIP_1) | instid1(VALU_DEP_2)
	v_add_co_u32 v2, s4, s40, v2
	s_wait_alu 0xf1ff
	v_add_co_ci_u32_e64 v3, null, s41, v3, s4
	s_and_b32 s4, s2, vcc_lo
	s_wait_alu 0xfffe
	s_and_saveexec_b32 s5, s4
	s_cbranch_execz .LBB121_65
; %bb.64:                               ;   in Loop: Header=BB121_7 Depth=2
	v_add_co_u32 v19, s4, v2, v6
	s_wait_alu 0xf1ff
	v_add_co_ci_u32_e64 v20, null, v3, v7, s4
	v_mul_f64_e32 v[21:22], s[38:39], v[44:45]
	v_mul_f64_e32 v[23:24], s[36:37], v[44:45]
	global_load_b128 v[15:18], v[19:20], off
	v_fma_f64 v[21:22], s[36:37], v[42:43], -v[21:22]
	v_fma_f64 v[23:24], s[38:39], v[42:43], v[23:24]
	s_wait_loadcnt 0x0
	s_delay_alu instid0(VALU_DEP_2) | instskip(NEXT) | instid1(VALU_DEP_2)
	v_add_f64_e32 v[15:16], v[15:16], v[21:22]
	v_add_f64_e32 v[17:18], v[23:24], v[17:18]
	global_store_b128 v[19:20], v[15:18], off
.LBB121_65:                             ;   in Loop: Header=BB121_7 Depth=2
	s_wait_alu 0xfffe
	s_or_b32 exec_lo, exec_lo, s5
	s_and_b32 s5, s3, vcc_lo
	s_wait_alu 0xfffe
	s_and_saveexec_b32 s4, s5
	s_cbranch_execz .LBB121_6
; %bb.66:                               ;   in Loop: Header=BB121_7 Depth=2
	v_lshlrev_b64_e32 v[15:16], 4, v[4:5]
	v_mul_f64_e32 v[19:20], s[38:39], v[50:51]
	v_mul_f64_e32 v[21:22], s[36:37], v[50:51]
	s_delay_alu instid0(VALU_DEP_3) | instskip(SKIP_1) | instid1(VALU_DEP_4)
	v_add_co_u32 v2, vcc_lo, v2, v15
	s_wait_alu 0xfffd
	v_add_co_ci_u32_e64 v3, null, v3, v16, vcc_lo
	global_load_b128 v[15:18], v[2:3], off
	v_fma_f64 v[19:20], s[36:37], v[52:53], -v[19:20]
	v_fma_f64 v[21:22], s[38:39], v[52:53], v[21:22]
	s_wait_loadcnt 0x0
	s_delay_alu instid0(VALU_DEP_2) | instskip(NEXT) | instid1(VALU_DEP_2)
	v_add_f64_e32 v[15:16], v[15:16], v[19:20]
	v_add_f64_e32 v[17:18], v[21:22], v[17:18]
	global_store_b128 v[2:3], v[15:18], off
	s_branch .LBB121_6
.LBB121_67:
	s_endpgm
	.section	.rodata,"a",@progbits
	.p2align	6, 0x0
	.amdhsa_kernel _ZL30rocblas_trmm_outofplace_kernelI19rocblas_complex_numIdELi32ELi2ELb0ELb0ELb0ELb0ES1_KS1_S1_Ev17rocblas_diagonal_iiT6_lPT7_lllS6_lllPT8_llli
		.amdhsa_group_segment_fixed_size 32768
		.amdhsa_private_segment_fixed_size 0
		.amdhsa_kernarg_size 400
		.amdhsa_user_sgpr_count 2
		.amdhsa_user_sgpr_dispatch_ptr 0
		.amdhsa_user_sgpr_queue_ptr 0
		.amdhsa_user_sgpr_kernarg_segment_ptr 1
		.amdhsa_user_sgpr_dispatch_id 0
		.amdhsa_user_sgpr_private_segment_size 0
		.amdhsa_wavefront_size32 1
		.amdhsa_uses_dynamic_stack 0
		.amdhsa_enable_private_segment 0
		.amdhsa_system_sgpr_workgroup_id_x 1
		.amdhsa_system_sgpr_workgroup_id_y 1
		.amdhsa_system_sgpr_workgroup_id_z 1
		.amdhsa_system_sgpr_workgroup_info 0
		.amdhsa_system_vgpr_workitem_id 1
		.amdhsa_next_free_vgpr 91
		.amdhsa_next_free_sgpr 64
		.amdhsa_reserve_vcc 1
		.amdhsa_float_round_mode_32 0
		.amdhsa_float_round_mode_16_64 0
		.amdhsa_float_denorm_mode_32 3
		.amdhsa_float_denorm_mode_16_64 3
		.amdhsa_fp16_overflow 0
		.amdhsa_workgroup_processor_mode 1
		.amdhsa_memory_ordered 1
		.amdhsa_forward_progress 1
		.amdhsa_inst_pref_size 75
		.amdhsa_round_robin_scheduling 0
		.amdhsa_exception_fp_ieee_invalid_op 0
		.amdhsa_exception_fp_denorm_src 0
		.amdhsa_exception_fp_ieee_div_zero 0
		.amdhsa_exception_fp_ieee_overflow 0
		.amdhsa_exception_fp_ieee_underflow 0
		.amdhsa_exception_fp_ieee_inexact 0
		.amdhsa_exception_int_div_zero 0
	.end_amdhsa_kernel
	.section	.text._ZL30rocblas_trmm_outofplace_kernelI19rocblas_complex_numIdELi32ELi2ELb0ELb0ELb0ELb0ES1_KS1_S1_Ev17rocblas_diagonal_iiT6_lPT7_lllS6_lllPT8_llli,"axG",@progbits,_ZL30rocblas_trmm_outofplace_kernelI19rocblas_complex_numIdELi32ELi2ELb0ELb0ELb0ELb0ES1_KS1_S1_Ev17rocblas_diagonal_iiT6_lPT7_lllS6_lllPT8_llli,comdat
.Lfunc_end121:
	.size	_ZL30rocblas_trmm_outofplace_kernelI19rocblas_complex_numIdELi32ELi2ELb0ELb0ELb0ELb0ES1_KS1_S1_Ev17rocblas_diagonal_iiT6_lPT7_lllS6_lllPT8_llli, .Lfunc_end121-_ZL30rocblas_trmm_outofplace_kernelI19rocblas_complex_numIdELi32ELi2ELb0ELb0ELb0ELb0ES1_KS1_S1_Ev17rocblas_diagonal_iiT6_lPT7_lllS6_lllPT8_llli
                                        ; -- End function
	.set _ZL30rocblas_trmm_outofplace_kernelI19rocblas_complex_numIdELi32ELi2ELb0ELb0ELb0ELb0ES1_KS1_S1_Ev17rocblas_diagonal_iiT6_lPT7_lllS6_lllPT8_llli.num_vgpr, 91
	.set _ZL30rocblas_trmm_outofplace_kernelI19rocblas_complex_numIdELi32ELi2ELb0ELb0ELb0ELb0ES1_KS1_S1_Ev17rocblas_diagonal_iiT6_lPT7_lllS6_lllPT8_llli.num_agpr, 0
	.set _ZL30rocblas_trmm_outofplace_kernelI19rocblas_complex_numIdELi32ELi2ELb0ELb0ELb0ELb0ES1_KS1_S1_Ev17rocblas_diagonal_iiT6_lPT7_lllS6_lllPT8_llli.numbered_sgpr, 64
	.set _ZL30rocblas_trmm_outofplace_kernelI19rocblas_complex_numIdELi32ELi2ELb0ELb0ELb0ELb0ES1_KS1_S1_Ev17rocblas_diagonal_iiT6_lPT7_lllS6_lllPT8_llli.num_named_barrier, 0
	.set _ZL30rocblas_trmm_outofplace_kernelI19rocblas_complex_numIdELi32ELi2ELb0ELb0ELb0ELb0ES1_KS1_S1_Ev17rocblas_diagonal_iiT6_lPT7_lllS6_lllPT8_llli.private_seg_size, 0
	.set _ZL30rocblas_trmm_outofplace_kernelI19rocblas_complex_numIdELi32ELi2ELb0ELb0ELb0ELb0ES1_KS1_S1_Ev17rocblas_diagonal_iiT6_lPT7_lllS6_lllPT8_llli.uses_vcc, 1
	.set _ZL30rocblas_trmm_outofplace_kernelI19rocblas_complex_numIdELi32ELi2ELb0ELb0ELb0ELb0ES1_KS1_S1_Ev17rocblas_diagonal_iiT6_lPT7_lllS6_lllPT8_llli.uses_flat_scratch, 0
	.set _ZL30rocblas_trmm_outofplace_kernelI19rocblas_complex_numIdELi32ELi2ELb0ELb0ELb0ELb0ES1_KS1_S1_Ev17rocblas_diagonal_iiT6_lPT7_lllS6_lllPT8_llli.has_dyn_sized_stack, 0
	.set _ZL30rocblas_trmm_outofplace_kernelI19rocblas_complex_numIdELi32ELi2ELb0ELb0ELb0ELb0ES1_KS1_S1_Ev17rocblas_diagonal_iiT6_lPT7_lllS6_lllPT8_llli.has_recursion, 0
	.set _ZL30rocblas_trmm_outofplace_kernelI19rocblas_complex_numIdELi32ELi2ELb0ELb0ELb0ELb0ES1_KS1_S1_Ev17rocblas_diagonal_iiT6_lPT7_lllS6_lllPT8_llli.has_indirect_call, 0
	.section	.AMDGPU.csdata,"",@progbits
; Kernel info:
; codeLenInByte = 9564
; TotalNumSgprs: 66
; NumVgprs: 91
; ScratchSize: 0
; MemoryBound: 0
; FloatMode: 240
; IeeeMode: 1
; LDSByteSize: 32768 bytes/workgroup (compile time only)
; SGPRBlocks: 0
; VGPRBlocks: 11
; NumSGPRsForWavesPerEU: 66
; NumVGPRsForWavesPerEU: 91
; Occupancy: 16
; WaveLimiterHint : 0
; COMPUTE_PGM_RSRC2:SCRATCH_EN: 0
; COMPUTE_PGM_RSRC2:USER_SGPR: 2
; COMPUTE_PGM_RSRC2:TRAP_HANDLER: 0
; COMPUTE_PGM_RSRC2:TGID_X_EN: 1
; COMPUTE_PGM_RSRC2:TGID_Y_EN: 1
; COMPUTE_PGM_RSRC2:TGID_Z_EN: 1
; COMPUTE_PGM_RSRC2:TIDIG_COMP_CNT: 1
	.section	.text._ZL30rocblas_trmm_outofplace_kernelI19rocblas_complex_numIdELi32ELi2ELb0ELb1ELb0ELb0EPKS1_S2_S1_Ev17rocblas_diagonal_iiT6_lPT7_lllS7_lllPT8_llli,"axG",@progbits,_ZL30rocblas_trmm_outofplace_kernelI19rocblas_complex_numIdELi32ELi2ELb0ELb1ELb0ELb0EPKS1_S2_S1_Ev17rocblas_diagonal_iiT6_lPT7_lllS7_lllPT8_llli,comdat
	.globl	_ZL30rocblas_trmm_outofplace_kernelI19rocblas_complex_numIdELi32ELi2ELb0ELb1ELb0ELb0EPKS1_S2_S1_Ev17rocblas_diagonal_iiT6_lPT7_lllS7_lllPT8_llli ; -- Begin function _ZL30rocblas_trmm_outofplace_kernelI19rocblas_complex_numIdELi32ELi2ELb0ELb1ELb0ELb0EPKS1_S2_S1_Ev17rocblas_diagonal_iiT6_lPT7_lllS7_lllPT8_llli
	.p2align	8
	.type	_ZL30rocblas_trmm_outofplace_kernelI19rocblas_complex_numIdELi32ELi2ELb0ELb1ELb0ELb0EPKS1_S2_S1_Ev17rocblas_diagonal_iiT6_lPT7_lllS7_lllPT8_llli,@function
_ZL30rocblas_trmm_outofplace_kernelI19rocblas_complex_numIdELi32ELi2ELb0ELb1ELb0ELb0EPKS1_S2_S1_Ev17rocblas_diagonal_iiT6_lPT7_lllS7_lllPT8_llli: ; @_ZL30rocblas_trmm_outofplace_kernelI19rocblas_complex_numIdELi32ELi2ELb0ELb1ELb0ELb0EPKS1_S2_S1_Ev17rocblas_diagonal_iiT6_lPT7_lllS7_lllPT8_llli
; %bb.0:
	s_load_b32 s33, s[0:1], 0x80
	s_lshr_b32 s34, ttmp7, 16
	s_wait_kmcnt 0x0
	s_cmp_ge_u32 s34, s33
	s_cbranch_scc1 .LBB122_67
; %bb.1:
	s_clause 0x2
	s_load_b96 s[36:38], s[0:1], 0x0
	s_load_b256 s[4:11], s[0:1], 0x50
	s_load_b128 s[28:31], s[0:1], 0x70
	v_bfe_u32 v59, v0, 10, 10
	s_load_b512 s[12:27], s[0:1], 0x10
	s_add_nc_u64 s[40:41], s[0:1], 0x88
	s_and_b32 s39, ttmp7, 0xffff
	s_mov_b32 s35, 0
	v_lshl_add_u32 v7, v59, 4, 0x100
	v_lshlrev_b32_e32 v61, 9, v59
	v_lshl_add_u32 v73, s39, 5, v59
	s_wait_kmcnt 0x0
	s_delay_alu instid0(VALU_DEP_3)
	v_mad_co_u64_u32 v[8:9], null, s4, v7, 0
	s_add_co_i32 s0, s38, -1
	v_and_b32_e32 v58, 0x3ff, v0
	s_ashr_i32 s1, s0, 31
	v_mad_co_u64_u32 v[3:4], null, s4, v59, 0
	s_lshr_b32 s1, s1, 27
	v_lshl_add_u32 v1, ttmp9, 5, v58
	s_add_co_i32 s0, s0, s1
	v_mov_b32_e32 v0, 0
	s_wait_alu 0xfffe
	s_ashr_i32 s50, s0, 5
	s_lshl_b64 s[0:1], s[10:11], 4
	s_cmp_le_i32 s39, s50
	v_ashrrev_i32_e32 v2, 31, v1
	s_cselect_b32 s51, -1, 0
	s_cmp_eq_u32 s36, 0x84
	v_sub_co_u32 v5, vcc_lo, s37, v1
	s_cselect_b32 s52, -1, 0
	s_ashr_i32 s2, s37, 31
	s_wait_alu 0xfffe
	s_add_nc_u64 s[42:43], s[8:9], s[0:1]
	v_sub_co_ci_u32_e64 v6, null, s2, v2, vcc_lo
	v_cmp_gt_i32_e64 s2, s37, v1
	v_lshlrev_b64_e32 v[10:11], 4, v[1:2]
	s_lshl_b64 s[8:9], s[26:27], 4
	v_cmp_gt_i64_e64 s0, 1, v[5:6]
	v_cmp_gt_i64_e64 s1, 17, v[5:6]
	v_mad_co_u64_u32 v[4:5], null, s5, v59, v[4:5]
	v_add_nc_u32_e32 v5, 16, v1
	v_mov_b32_e32 v1, v9
	s_add_nc_u64 s[8:9], s[24:25], s[8:9]
	s_lshl_b64 s[44:45], s[4:5], 9
	v_sub_co_u32 v71, s4, 0, v58
	s_delay_alu instid0(VALU_DEP_2)
	v_mad_co_u64_u32 v[1:2], null, s5, v7, v[1:2]
	v_lshlrev_b32_e32 v60, 4, v58
	v_lshlrev_b64_e32 v[12:13], 4, v[3:4]
	v_add_co_u32 v3, vcc_lo, s8, v10
	v_ashrrev_i32_e32 v6, 31, v5
	s_wait_alu 0xfffd
	v_add_co_ci_u32_e64 v4, null, s9, v11, vcc_lo
	v_mov_b32_e32 v9, v1
	v_or_b32_e32 v62, 0x4000, v60
	v_add_nc_u32_e32 v63, v61, v60
	v_add_co_u32 v14, vcc_lo, 0x100, v3
	s_wait_alu 0xf1ff
	v_sub_co_ci_u32_e64 v72, null, 0, 0, s4
	v_dual_mov_b32 v1, 0x3ff00000 :: v_dual_add_nc_u32 v64, v62, v61
	s_lshl_b64 s[4:5], s[18:19], 4
	v_lshlrev_b64_e32 v[16:17], 4, v[5:6]
	v_add_nc_u32_e32 v65, 0x100, v63
	v_add_nc_u32_e32 v66, 0x2000, v63
	;; [unrolled: 1-line block ×6, first 2 shown]
	v_cmp_gt_i32_e64 s3, s37, v5
	s_wait_alu 0xfffd
	v_add_co_ci_u32_e64 v15, null, 0, v4, vcc_lo
	s_mov_b32 s10, s38
	s_ashr_i32 s11, s38, 31
	s_wait_alu 0xfffe
	s_add_nc_u64 s[4:5], s[16:17], s[4:5]
	s_add_nc_u64 s[46:47], s[10:11], -16
	s_lshl_b64 s[18:19], s[6:7], 4
	s_wait_alu 0xfffe
	s_add_nc_u64 s[16:17], s[4:5], 0x100
	s_lshl_b64 s[22:23], s[22:23], 4
	s_lshl_b64 s[24:25], s[20:21], 4
	s_branch .LBB122_4
.LBB122_2:                              ;   in Loop: Header=BB122_4 Depth=1
	s_add_co_i32 s34, s34, 0x10000
	s_wait_alu 0xfffe
	s_cmp_ge_u32 s34, s33
	s_cselect_b32 s4, -1, 0
.LBB122_3:                              ;   in Loop: Header=BB122_4 Depth=1
	s_wait_alu 0xfffe
	s_and_b32 vcc_lo, exec_lo, s4
	s_wait_alu 0xfffe
	s_cbranch_vccnz .LBB122_67
.LBB122_4:                              ; =>This Loop Header: Depth=1
                                        ;     Child Loop BB122_8 Depth 2
                                        ;       Child Loop BB122_11 Depth 3
	s_mul_u64 s[4:5], s[14:15], s[34:35]
	s_wait_alu 0xfffe
	s_lshl_b64 s[4:5], s[4:5], 4
	s_wait_alu 0xfffe
	s_add_nc_u64 s[4:5], s[12:13], s[4:5]
	global_load_b128 v[4:7], v0, s[4:5]
	s_wait_loadcnt 0x0
	v_cmp_eq_f64_e32 vcc_lo, 0, v[4:5]
	v_cmp_eq_f64_e64 s4, 0, v[6:7]
	s_wait_alu 0xfffe
	s_and_b32 s4, vcc_lo, s4
	s_wait_alu 0xfffe
	s_and_b32 vcc_lo, exec_lo, s4
	s_mov_b32 s4, -1
	s_wait_alu 0xfffe
	s_cbranch_vccnz .LBB122_3
; %bb.5:                                ;   in Loop: Header=BB122_4 Depth=1
	s_and_not1_b32 vcc_lo, exec_lo, s51
	s_wait_alu 0xfffe
	s_cbranch_vccnz .LBB122_2
; %bb.6:                                ;   in Loop: Header=BB122_4 Depth=1
	v_mad_co_u64_u32 v[18:19], null, s18, s34, v[14:15]
	s_load_b32 s53, s[40:41], 0x4
	s_mul_u64 s[4:5], s[30:31], s[34:35]
	s_mul_u64 s[6:7], s[22:23], s[34:35]
	s_wait_alu 0xfffe
	s_lshl_b64 s[4:5], s[4:5], 4
	s_add_nc_u64 s[36:37], s[16:17], s[6:7]
	s_wait_alu 0xfffe
	s_add_nc_u64 s[26:27], s[42:43], s[4:5]
	v_mov_b32_e32 v2, v19
	s_mov_b32 s55, s39
	v_mov_b32_e32 v20, v73
	s_delay_alu instid0(VALU_DEP_2) | instskip(NEXT) | instid1(VALU_DEP_1)
	v_mad_co_u64_u32 v[2:3], null, s19, s34, v[2:3]
	v_mov_b32_e32 v19, v2
	s_wait_kmcnt 0x0
	s_lshl_b32 s54, s53, 5
	s_branch .LBB122_8
.LBB122_7:                              ;   in Loop: Header=BB122_8 Depth=2
	s_wait_alu 0xfffe
	s_or_b32 exec_lo, exec_lo, s4
	v_add_nc_u32_e32 v20, s54, v20
	s_add_co_i32 s55, s53, s55
	s_wait_alu 0xfffe
	s_cmp_gt_i32 s55, s50
	s_cbranch_scc1 .LBB122_2
.LBB122_8:                              ;   Parent Loop BB122_4 Depth=1
                                        ; =>  This Loop Header: Depth=2
                                        ;       Child Loop BB122_11 Depth 3
	s_wait_alu 0xfffe
	s_lshl_b32 s56, s55, 5
	v_mov_b32_e32 v46, 0
	s_wait_alu 0xfffe
	v_dual_mov_b32 v47, 0 :: v_dual_add_nc_u32 v22, s56, v59
	v_mov_b32_e32 v48, 0
	v_mov_b32_e32 v38, 0
	;; [unrolled: 1-line block ×6, first 2 shown]
	v_dual_mov_b32 v50, 0 :: v_dual_mov_b32 v49, 0
	v_mov_b32_e32 v39, 0
	v_mov_b32_e32 v41, 0
	;; [unrolled: 1-line block ×6, first 2 shown]
	v_ashrrev_i32_e32 v23, 31, v22
	s_cmp_lt_i32 s55, 0
	s_cbranch_scc1 .LBB122_59
; %bb.9:                                ;   in Loop: Header=BB122_8 Depth=2
	v_ashrrev_i32_e32 v21, 31, v20
	v_mad_co_u64_u32 v[24:25], null, s24, v20, s[36:37]
	v_mul_lo_u32 v32, s25, v20
	v_add_co_u32 v28, s4, v22, 16
	s_delay_alu instid0(VALU_DEP_4) | instskip(SKIP_4) | instid1(VALU_DEP_4)
	v_lshlrev_b64_e32 v[2:3], 4, v[20:21]
	v_mul_lo_u32 v33, s24, v21
	s_wait_alu 0xf1ff
	v_add_co_ci_u32_e64 v29, null, 0, v23, s4
	v_add_co_u32 v30, s4, v71, v20
	v_add_co_u32 v2, vcc_lo, 0x100, v2
	s_wait_alu 0xfffd
	v_add_co_ci_u32_e64 v3, null, 0, v3, vcc_lo
	s_wait_alu 0xf1ff
	v_add_co_ci_u32_e64 v31, null, v72, v21, s4
	v_mul_lo_u32 v34, s21, v2
	s_delay_alu instid0(VALU_DEP_3)
	v_mul_lo_u32 v3, s20, v3
	v_mad_co_u64_u32 v[26:27], null, s20, v2, s[36:37]
	v_add3_u32 v25, v32, v25, v33
	v_add_co_u32 v32, s5, v30, 16
	s_wait_alu 0xf1ff
	v_add_co_ci_u32_e64 v33, null, 0, v31, s5
	v_mov_b32_e32 v50, 0
	v_add3_u32 v27, v34, v27, v3
	v_add_co_u32 v34, s5, v30, -16
	v_mov_b32_e32 v44, 0
	v_mov_b32_e32 v40, 0
	;; [unrolled: 1-line block ×3, first 2 shown]
	v_cmp_le_i64_e64 s4, s[10:11], v[28:29]
	v_dual_mov_b32 v51, 0 :: v_dual_mov_b32 v52, 0
	v_dual_mov_b32 v45, 0 :: v_dual_mov_b32 v42, 0
	;; [unrolled: 1-line block ×4, first 2 shown]
	s_wait_alu 0xf1ff
	v_add_co_ci_u32_e64 v35, null, -1, v31, s5
	v_mov_b32_e32 v53, 0
	v_mov_b32_e32 v43, 0
	;; [unrolled: 1-line block ×4, first 2 shown]
	v_dual_mov_b32 v37, v19 :: v_dual_mov_b32 v36, v18
	s_mov_b64 s[48:49], 0
	v_cmp_le_i32_e32 vcc_lo, s38, v22
	s_branch .LBB122_11
.LBB122_10:                             ;   in Loop: Header=BB122_11 Depth=3
	s_wait_alu 0xfffe
	s_or_b32 exec_lo, exec_lo, s5
	s_wait_dscnt 0x0
	s_barrier_signal -1
	s_barrier_wait -1
	global_inv scope:SCOPE_SE
	ds_load_b128 v[54:57], v61
	ds_load_b128 v[74:77], v61 offset:16
	ds_load_b128 v[78:81], v61 offset:32
	;; [unrolled: 1-line block ×3, first 2 shown]
	ds_load_b128 v[86:89], v62
	v_add_co_u32 v36, s5, v36, s44
	s_wait_alu 0xf1ff
	v_add_co_ci_u32_e64 v37, null, s45, v37, s5
	v_add_co_u32 v26, s5, 0x200, v26
	s_wait_alu 0xf1ff
	v_add_co_ci_u32_e64 v27, null, 0, v27, s5
	v_add_co_u32 v24, s5, 0x200, v24
	s_add_nc_u64 s[48:49], s[48:49], 32
	v_add_co_ci_u32_e64 v25, null, 0, v25, s5
	s_wait_alu 0xfffe
	s_sub_co_i32 s5, s48, 32
	s_wait_alu 0xfffe
	s_cmp_ge_i32 s5, s56
	s_wait_dscnt 0x0
	v_mul_f64_e32 v[2:3], v[56:57], v[88:89]
	v_mul_f64_e32 v[90:91], v[54:55], v[88:89]
	s_delay_alu instid0(VALU_DEP_2) | instskip(NEXT) | instid1(VALU_DEP_2)
	v_fma_f64 v[2:3], v[54:55], v[86:87], -v[2:3]
	v_fma_f64 v[90:91], v[56:57], v[86:87], v[90:91]
	s_delay_alu instid0(VALU_DEP_2) | instskip(NEXT) | instid1(VALU_DEP_2)
	v_add_f64_e32 v[2:3], v[46:47], v[2:3]
	v_add_f64_e32 v[90:91], v[90:91], v[48:49]
	ds_load_b128 v[46:49], v62 offset:256
	s_wait_dscnt 0x0
	v_mul_f64_e32 v[92:93], v[56:57], v[48:49]
	s_delay_alu instid0(VALU_DEP_1) | instskip(SKIP_1) | instid1(VALU_DEP_1)
	v_fma_f64 v[92:93], v[54:55], v[46:47], -v[92:93]
	v_mul_f64_e32 v[54:55], v[54:55], v[48:49]
	v_fma_f64 v[54:55], v[56:57], v[46:47], v[54:55]
	s_delay_alu instid0(VALU_DEP_3) | instskip(NEXT) | instid1(VALU_DEP_2)
	v_add_f64_e32 v[56:57], v[38:39], v[92:93]
	v_add_f64_e32 v[54:55], v[54:55], v[40:41]
	ds_load_b128 v[38:41], v61 offset:8192
	s_wait_dscnt 0x0
	v_mul_f64_e32 v[92:93], v[40:41], v[88:89]
	v_mul_f64_e32 v[88:89], v[38:39], v[88:89]
	s_delay_alu instid0(VALU_DEP_2) | instskip(NEXT) | instid1(VALU_DEP_2)
	v_fma_f64 v[92:93], v[38:39], v[86:87], -v[92:93]
	v_fma_f64 v[86:87], v[40:41], v[86:87], v[88:89]
	s_delay_alu instid0(VALU_DEP_2) | instskip(SKIP_1) | instid1(VALU_DEP_3)
	v_add_f64_e32 v[88:89], v[42:43], v[92:93]
	v_mul_f64_e32 v[42:43], v[40:41], v[48:49]
	v_add_f64_e32 v[86:87], v[86:87], v[44:45]
	s_delay_alu instid0(VALU_DEP_2) | instskip(SKIP_1) | instid1(VALU_DEP_2)
	v_fma_f64 v[42:43], v[38:39], v[46:47], -v[42:43]
	v_mul_f64_e32 v[38:39], v[38:39], v[48:49]
	v_add_f64_e32 v[52:53], v[52:53], v[42:43]
	s_delay_alu instid0(VALU_DEP_2) | instskip(NEXT) | instid1(VALU_DEP_1)
	v_fma_f64 v[38:39], v[40:41], v[46:47], v[38:39]
	v_add_f64_e32 v[50:51], v[38:39], v[50:51]
	ds_load_b128 v[38:41], v62 offset:512
	s_wait_dscnt 0x0
	v_mul_f64_e32 v[42:43], v[76:77], v[40:41]
	v_mul_f64_e32 v[44:45], v[74:75], v[40:41]
	s_delay_alu instid0(VALU_DEP_2) | instskip(NEXT) | instid1(VALU_DEP_2)
	v_fma_f64 v[42:43], v[74:75], v[38:39], -v[42:43]
	v_fma_f64 v[44:45], v[76:77], v[38:39], v[44:45]
	s_delay_alu instid0(VALU_DEP_2) | instskip(NEXT) | instid1(VALU_DEP_2)
	v_add_f64_e32 v[2:3], v[2:3], v[42:43]
	v_add_f64_e32 v[90:91], v[44:45], v[90:91]
	ds_load_b128 v[42:45], v62 offset:768
	s_wait_dscnt 0x0
	v_mul_f64_e32 v[46:47], v[76:77], v[44:45]
	v_mul_f64_e32 v[48:49], v[74:75], v[44:45]
	s_delay_alu instid0(VALU_DEP_2) | instskip(NEXT) | instid1(VALU_DEP_2)
	v_fma_f64 v[46:47], v[74:75], v[42:43], -v[46:47]
	v_fma_f64 v[48:49], v[76:77], v[42:43], v[48:49]
	s_delay_alu instid0(VALU_DEP_2) | instskip(NEXT) | instid1(VALU_DEP_2)
	v_add_f64_e32 v[56:57], v[56:57], v[46:47]
	v_add_f64_e32 v[54:55], v[48:49], v[54:55]
	ds_load_b128 v[46:49], v61 offset:8208
	s_wait_dscnt 0x0
	v_mul_f64_e32 v[74:75], v[48:49], v[40:41]
	v_mul_f64_e32 v[40:41], v[46:47], v[40:41]
	s_delay_alu instid0(VALU_DEP_2) | instskip(NEXT) | instid1(VALU_DEP_2)
	v_fma_f64 v[74:75], v[46:47], v[38:39], -v[74:75]
	v_fma_f64 v[38:39], v[48:49], v[38:39], v[40:41]
	v_mul_f64_e32 v[40:41], v[46:47], v[44:45]
	s_delay_alu instid0(VALU_DEP_3) | instskip(NEXT) | instid1(VALU_DEP_3)
	v_add_f64_e32 v[74:75], v[88:89], v[74:75]
	v_add_f64_e32 v[76:77], v[38:39], v[86:87]
	v_mul_f64_e32 v[38:39], v[48:49], v[44:45]
	s_delay_alu instid0(VALU_DEP_4) | instskip(NEXT) | instid1(VALU_DEP_2)
	v_fma_f64 v[40:41], v[48:49], v[42:43], v[40:41]
	v_fma_f64 v[38:39], v[46:47], v[42:43], -v[38:39]
	s_delay_alu instid0(VALU_DEP_2) | instskip(NEXT) | instid1(VALU_DEP_2)
	v_add_f64_e32 v[50:51], v[40:41], v[50:51]
	v_add_f64_e32 v[52:53], v[52:53], v[38:39]
	ds_load_b128 v[38:41], v62 offset:1024
	s_wait_dscnt 0x0
	v_mul_f64_e32 v[42:43], v[80:81], v[40:41]
	v_mul_f64_e32 v[44:45], v[78:79], v[40:41]
	s_delay_alu instid0(VALU_DEP_2) | instskip(NEXT) | instid1(VALU_DEP_2)
	v_fma_f64 v[42:43], v[78:79], v[38:39], -v[42:43]
	v_fma_f64 v[44:45], v[80:81], v[38:39], v[44:45]
	s_delay_alu instid0(VALU_DEP_2) | instskip(NEXT) | instid1(VALU_DEP_2)
	v_add_f64_e32 v[2:3], v[2:3], v[42:43]
	v_add_f64_e32 v[86:87], v[44:45], v[90:91]
	ds_load_b128 v[42:45], v62 offset:1280
	s_wait_dscnt 0x0
	v_mul_f64_e32 v[46:47], v[80:81], v[44:45]
	v_mul_f64_e32 v[48:49], v[78:79], v[44:45]
	s_delay_alu instid0(VALU_DEP_2) | instskip(NEXT) | instid1(VALU_DEP_2)
	v_fma_f64 v[46:47], v[78:79], v[42:43], -v[46:47]
	v_fma_f64 v[48:49], v[80:81], v[42:43], v[48:49]
	s_delay_alu instid0(VALU_DEP_2) | instskip(NEXT) | instid1(VALU_DEP_2)
	v_add_f64_e32 v[56:57], v[56:57], v[46:47]
	v_add_f64_e32 v[54:55], v[48:49], v[54:55]
	ds_load_b128 v[46:49], v61 offset:8224
	s_wait_dscnt 0x0
	v_mul_f64_e32 v[78:79], v[48:49], v[40:41]
	v_mul_f64_e32 v[40:41], v[46:47], v[40:41]
	s_delay_alu instid0(VALU_DEP_2) | instskip(NEXT) | instid1(VALU_DEP_2)
	v_fma_f64 v[78:79], v[46:47], v[38:39], -v[78:79]
	v_fma_f64 v[38:39], v[48:49], v[38:39], v[40:41]
	v_mul_f64_e32 v[40:41], v[46:47], v[44:45]
	s_delay_alu instid0(VALU_DEP_3) | instskip(NEXT) | instid1(VALU_DEP_3)
	v_add_f64_e32 v[74:75], v[74:75], v[78:79]
	v_add_f64_e32 v[76:77], v[38:39], v[76:77]
	v_mul_f64_e32 v[38:39], v[48:49], v[44:45]
	s_delay_alu instid0(VALU_DEP_4) | instskip(NEXT) | instid1(VALU_DEP_2)
	v_fma_f64 v[40:41], v[48:49], v[42:43], v[40:41]
	v_fma_f64 v[38:39], v[46:47], v[42:43], -v[38:39]
	s_delay_alu instid0(VALU_DEP_2) | instskip(NEXT) | instid1(VALU_DEP_2)
	v_add_f64_e32 v[50:51], v[40:41], v[50:51]
	;; [unrolled: 38-line block ×3, first 2 shown]
	v_add_f64_e32 v[52:53], v[52:53], v[38:39]
	ds_load_b128 v[38:41], v61 offset:64
	ds_load_b128 v[42:45], v62 offset:2048
	s_wait_dscnt 0x0
	v_mul_f64_e32 v[46:47], v[40:41], v[44:45]
	v_mul_f64_e32 v[48:49], v[38:39], v[44:45]
	s_delay_alu instid0(VALU_DEP_2) | instskip(NEXT) | instid1(VALU_DEP_2)
	v_fma_f64 v[46:47], v[38:39], v[42:43], -v[46:47]
	v_fma_f64 v[48:49], v[40:41], v[42:43], v[48:49]
	s_delay_alu instid0(VALU_DEP_2) | instskip(NEXT) | instid1(VALU_DEP_2)
	v_add_f64_e32 v[2:3], v[2:3], v[46:47]
	v_add_f64_e32 v[78:79], v[48:49], v[78:79]
	ds_load_b128 v[46:49], v62 offset:2304
	s_wait_dscnt 0x0
	v_mul_f64_e32 v[80:81], v[40:41], v[48:49]
	s_delay_alu instid0(VALU_DEP_1) | instskip(SKIP_1) | instid1(VALU_DEP_2)
	v_fma_f64 v[80:81], v[38:39], v[46:47], -v[80:81]
	v_mul_f64_e32 v[38:39], v[38:39], v[48:49]
	v_add_f64_e32 v[56:57], v[56:57], v[80:81]
	s_delay_alu instid0(VALU_DEP_2) | instskip(NEXT) | instid1(VALU_DEP_1)
	v_fma_f64 v[38:39], v[40:41], v[46:47], v[38:39]
	v_add_f64_e32 v[54:55], v[38:39], v[54:55]
	ds_load_b128 v[38:41], v61 offset:8256
	s_wait_dscnt 0x0
	v_mul_f64_e32 v[80:81], v[40:41], v[44:45]
	v_mul_f64_e32 v[44:45], v[38:39], v[44:45]
	s_delay_alu instid0(VALU_DEP_2) | instskip(NEXT) | instid1(VALU_DEP_2)
	v_fma_f64 v[80:81], v[38:39], v[42:43], -v[80:81]
	v_fma_f64 v[42:43], v[40:41], v[42:43], v[44:45]
	s_delay_alu instid0(VALU_DEP_2) | instskip(NEXT) | instid1(VALU_DEP_2)
	v_add_f64_e32 v[74:75], v[74:75], v[80:81]
	v_add_f64_e32 v[76:77], v[42:43], v[76:77]
	v_mul_f64_e32 v[42:43], v[40:41], v[48:49]
	s_delay_alu instid0(VALU_DEP_1) | instskip(SKIP_1) | instid1(VALU_DEP_2)
	v_fma_f64 v[42:43], v[38:39], v[46:47], -v[42:43]
	v_mul_f64_e32 v[38:39], v[38:39], v[48:49]
	v_add_f64_e32 v[52:53], v[52:53], v[42:43]
	s_delay_alu instid0(VALU_DEP_2) | instskip(NEXT) | instid1(VALU_DEP_1)
	v_fma_f64 v[38:39], v[40:41], v[46:47], v[38:39]
	v_add_f64_e32 v[50:51], v[38:39], v[50:51]
	ds_load_b128 v[38:41], v61 offset:80
	ds_load_b128 v[42:45], v62 offset:2560
	s_wait_dscnt 0x0
	v_mul_f64_e32 v[46:47], v[40:41], v[44:45]
	v_mul_f64_e32 v[48:49], v[38:39], v[44:45]
	s_delay_alu instid0(VALU_DEP_2) | instskip(NEXT) | instid1(VALU_DEP_2)
	v_fma_f64 v[46:47], v[38:39], v[42:43], -v[46:47]
	v_fma_f64 v[48:49], v[40:41], v[42:43], v[48:49]
	s_delay_alu instid0(VALU_DEP_2) | instskip(NEXT) | instid1(VALU_DEP_2)
	v_add_f64_e32 v[2:3], v[2:3], v[46:47]
	v_add_f64_e32 v[78:79], v[48:49], v[78:79]
	ds_load_b128 v[46:49], v62 offset:2816
	s_wait_dscnt 0x0
	v_mul_f64_e32 v[80:81], v[40:41], v[48:49]
	s_delay_alu instid0(VALU_DEP_1) | instskip(SKIP_1) | instid1(VALU_DEP_2)
	v_fma_f64 v[80:81], v[38:39], v[46:47], -v[80:81]
	v_mul_f64_e32 v[38:39], v[38:39], v[48:49]
	v_add_f64_e32 v[56:57], v[56:57], v[80:81]
	s_delay_alu instid0(VALU_DEP_2) | instskip(NEXT) | instid1(VALU_DEP_1)
	v_fma_f64 v[38:39], v[40:41], v[46:47], v[38:39]
	v_add_f64_e32 v[54:55], v[38:39], v[54:55]
	ds_load_b128 v[38:41], v61 offset:8272
	s_wait_dscnt 0x0
	v_mul_f64_e32 v[80:81], v[40:41], v[44:45]
	v_mul_f64_e32 v[44:45], v[38:39], v[44:45]
	s_delay_alu instid0(VALU_DEP_2) | instskip(NEXT) | instid1(VALU_DEP_2)
	v_fma_f64 v[80:81], v[38:39], v[42:43], -v[80:81]
	v_fma_f64 v[42:43], v[40:41], v[42:43], v[44:45]
	s_delay_alu instid0(VALU_DEP_2) | instskip(NEXT) | instid1(VALU_DEP_2)
	v_add_f64_e32 v[74:75], v[74:75], v[80:81]
	v_add_f64_e32 v[76:77], v[42:43], v[76:77]
	v_mul_f64_e32 v[42:43], v[40:41], v[48:49]
	s_delay_alu instid0(VALU_DEP_1) | instskip(SKIP_1) | instid1(VALU_DEP_2)
	v_fma_f64 v[42:43], v[38:39], v[46:47], -v[42:43]
	v_mul_f64_e32 v[38:39], v[38:39], v[48:49]
	v_add_f64_e32 v[52:53], v[52:53], v[42:43]
	s_delay_alu instid0(VALU_DEP_2) | instskip(NEXT) | instid1(VALU_DEP_1)
	v_fma_f64 v[38:39], v[40:41], v[46:47], v[38:39]
	;; [unrolled: 39-line block ×26, first 2 shown]
	v_add_f64_e32 v[50:51], v[38:39], v[50:51]
	ds_load_b128 v[38:41], v61 offset:480
	ds_load_b128 v[42:45], v62 offset:15360
	s_wait_dscnt 0x0
	v_mul_f64_e32 v[46:47], v[40:41], v[44:45]
	v_mul_f64_e32 v[48:49], v[38:39], v[44:45]
	s_delay_alu instid0(VALU_DEP_2) | instskip(NEXT) | instid1(VALU_DEP_2)
	v_fma_f64 v[46:47], v[38:39], v[42:43], -v[46:47]
	v_fma_f64 v[48:49], v[40:41], v[42:43], v[48:49]
	s_delay_alu instid0(VALU_DEP_2) | instskip(NEXT) | instid1(VALU_DEP_2)
	v_add_f64_e32 v[80:81], v[2:3], v[46:47]
	v_add_f64_e32 v[78:79], v[48:49], v[78:79]
	ds_load_b128 v[46:49], v62 offset:15616
	s_wait_dscnt 0x0
	v_mul_f64_e32 v[2:3], v[40:41], v[48:49]
	s_delay_alu instid0(VALU_DEP_1) | instskip(SKIP_1) | instid1(VALU_DEP_2)
	v_fma_f64 v[2:3], v[38:39], v[46:47], -v[2:3]
	v_mul_f64_e32 v[38:39], v[38:39], v[48:49]
	v_add_f64_e32 v[56:57], v[56:57], v[2:3]
	s_delay_alu instid0(VALU_DEP_2) | instskip(NEXT) | instid1(VALU_DEP_1)
	v_fma_f64 v[38:39], v[40:41], v[46:47], v[38:39]
	v_add_f64_e32 v[82:83], v[38:39], v[54:55]
	ds_load_b128 v[38:41], v61 offset:8672
	s_wait_dscnt 0x0
	v_mul_f64_e32 v[2:3], v[40:41], v[44:45]
	v_mul_f64_e32 v[44:45], v[38:39], v[44:45]
	s_delay_alu instid0(VALU_DEP_2) | instskip(NEXT) | instid1(VALU_DEP_2)
	v_fma_f64 v[2:3], v[38:39], v[42:43], -v[2:3]
	v_fma_f64 v[42:43], v[40:41], v[42:43], v[44:45]
	s_delay_alu instid0(VALU_DEP_2) | instskip(SKIP_1) | instid1(VALU_DEP_3)
	v_add_f64_e32 v[84:85], v[74:75], v[2:3]
	v_mul_f64_e32 v[2:3], v[40:41], v[48:49]
	v_add_f64_e32 v[86:87], v[42:43], v[76:77]
	s_delay_alu instid0(VALU_DEP_2) | instskip(SKIP_1) | instid1(VALU_DEP_2)
	v_fma_f64 v[2:3], v[38:39], v[46:47], -v[2:3]
	v_mul_f64_e32 v[38:39], v[38:39], v[48:49]
	v_add_f64_e32 v[2:3], v[52:53], v[2:3]
	s_delay_alu instid0(VALU_DEP_2) | instskip(NEXT) | instid1(VALU_DEP_1)
	v_fma_f64 v[38:39], v[40:41], v[46:47], v[38:39]
	v_add_f64_e32 v[50:51], v[38:39], v[50:51]
	ds_load_b128 v[38:41], v61 offset:496
	ds_load_b128 v[42:45], v62 offset:15872
	;; [unrolled: 1-line block ×3, first 2 shown]
	s_wait_dscnt 0x1
	v_mul_f64_e32 v[46:47], v[40:41], v[44:45]
	s_wait_dscnt 0x0
	v_mul_f64_e32 v[74:75], v[40:41], v[54:55]
	v_mul_f64_e32 v[48:49], v[38:39], v[44:45]
	s_delay_alu instid0(VALU_DEP_3) | instskip(NEXT) | instid1(VALU_DEP_3)
	v_fma_f64 v[46:47], v[38:39], v[42:43], -v[46:47]
	v_fma_f64 v[74:75], v[38:39], v[52:53], -v[74:75]
	v_mul_f64_e32 v[38:39], v[38:39], v[54:55]
	s_delay_alu instid0(VALU_DEP_4) | instskip(NEXT) | instid1(VALU_DEP_4)
	v_fma_f64 v[48:49], v[40:41], v[42:43], v[48:49]
	v_add_f64_e32 v[46:47], v[80:81], v[46:47]
	s_delay_alu instid0(VALU_DEP_3)
	v_fma_f64 v[40:41], v[40:41], v[52:53], v[38:39]
	v_add_f64_e32 v[38:39], v[56:57], v[74:75]
	ds_load_b128 v[74:77], v61 offset:8688
	v_add_f64_e32 v[48:49], v[48:49], v[78:79]
	s_wait_loadcnt_dscnt 0x0
	s_barrier_signal -1
	s_barrier_wait -1
	global_inv scope:SCOPE_SE
	v_mul_f64_e32 v[56:57], v[76:77], v[44:45]
	v_mul_f64_e32 v[44:45], v[74:75], v[44:45]
	v_add_f64_e32 v[40:41], v[40:41], v[82:83]
	s_delay_alu instid0(VALU_DEP_3) | instskip(NEXT) | instid1(VALU_DEP_3)
	v_fma_f64 v[56:57], v[74:75], v[42:43], -v[56:57]
	v_fma_f64 v[44:45], v[76:77], v[42:43], v[44:45]
	s_delay_alu instid0(VALU_DEP_2) | instskip(SKIP_2) | instid1(VALU_DEP_4)
	v_add_f64_e32 v[42:43], v[84:85], v[56:57]
	v_mul_f64_e32 v[56:57], v[76:77], v[54:55]
	v_mul_f64_e32 v[54:55], v[74:75], v[54:55]
	v_add_f64_e32 v[44:45], v[44:45], v[86:87]
	s_delay_alu instid0(VALU_DEP_3) | instskip(NEXT) | instid1(VALU_DEP_3)
	v_fma_f64 v[56:57], v[74:75], v[52:53], -v[56:57]
	v_fma_f64 v[54:55], v[76:77], v[52:53], v[54:55]
	s_delay_alu instid0(VALU_DEP_2) | instskip(NEXT) | instid1(VALU_DEP_2)
	v_add_f64_e32 v[52:53], v[2:3], v[56:57]
	v_add_f64_e32 v[50:51], v[54:55], v[50:51]
	s_cbranch_scc1 .LBB122_59
.LBB122_11:                             ;   Parent Loop BB122_4 Depth=1
                                        ;     Parent Loop BB122_8 Depth=2
                                        ; =>    This Inner Loop Header: Depth=3
	s_wait_alu 0xfffe
	v_add_co_u32 v54, s5, v58, s48
	s_wait_alu 0xf1ff
	v_add_co_ci_u32_e64 v55, null, 0, s49, s5
	v_cmp_eq_u64_e64 s7, s[48:49], v[30:31]
	s_delay_alu instid0(VALU_DEP_2)
	v_cmp_gt_i64_e64 s5, v[54:55], v[22:23]
	v_cmp_le_i64_e64 s6, s[10:11], v[54:55]
	s_and_b32 s58, s52, s7
	v_add_co_u32 v56, s7, v24, v60
	s_or_b32 s8, vcc_lo, s5
	v_add_co_ci_u32_e64 v57, null, 0, v25, s7
	s_wait_alu 0xfffe
	s_or_b32 s7, s8, s58
	s_wait_alu 0xfffe
	s_nor_b32 s7, s6, s7
	s_wait_alu 0xfffe
	s_and_saveexec_b32 s8, s7
	s_wait_alu 0xfffe
	s_xor_b32 s7, exec_lo, s8
	s_cbranch_execz .LBB122_13
; %bb.12:                               ;   in Loop: Header=BB122_11 Depth=3
	global_load_b128 v[74:77], v[56:57], off offset:-256
	s_wait_loadcnt 0x0
	ds_store_2addr_b64 v63, v[74:75], v[76:77] offset1:1
.LBB122_13:                             ;   in Loop: Header=BB122_11 Depth=3
	s_wait_alu 0xfffe
	s_or_saveexec_b32 s7, s7
	s_xor_b32 s57, s58, -1
	s_wait_alu 0xfffe
	s_xor_b32 exec_lo, exec_lo, s7
	s_cbranch_execz .LBB122_19
; %bb.14:                               ;   in Loop: Header=BB122_11 Depth=3
	s_and_saveexec_b32 s8, s57
	s_wait_alu 0xfffe
	s_xor_b32 s8, exec_lo, s8
; %bb.15:                               ;   in Loop: Header=BB122_11 Depth=3
	v_dual_mov_b32 v74, v0 :: v_dual_mov_b32 v75, v0
	v_dual_mov_b32 v76, v0 :: v_dual_mov_b32 v77, v0
	ds_store_b128 v63, v[74:77]
; %bb.16:                               ;   in Loop: Header=BB122_11 Depth=3
	s_wait_alu 0xfffe
	s_and_not1_saveexec_b32 s8, s8
; %bb.17:                               ;   in Loop: Header=BB122_11 Depth=3
	v_dual_mov_b32 v2, v0 :: v_dual_mov_b32 v3, v0
	ds_store_b128 v63, v[0:3]
; %bb.18:                               ;   in Loop: Header=BB122_11 Depth=3
	s_wait_alu 0xfffe
	s_or_b32 exec_lo, exec_lo, s8
.LBB122_19:                             ;   in Loop: Header=BB122_11 Depth=3
	s_delay_alu instid0(SALU_CYCLE_1) | instskip(SKIP_4) | instid1(VALU_DEP_2)
	s_or_b32 exec_lo, exec_lo, s7
	v_add_co_u32 v2, s7, v54, 16
	s_wait_alu 0xf1ff
	v_add_co_ci_u32_e64 v3, null, 0, v55, s7
	v_cmp_eq_u64_e64 s8, s[48:49], v[34:35]
	v_cmp_gt_i64_e64 s9, v[2:3], v[22:23]
	v_cmp_le_i64_e64 s7, s[10:11], v[2:3]
	s_and_b32 s59, s52, s8
	s_or_b32 s8, vcc_lo, s9
	s_wait_alu 0xfffe
	s_or_b32 s8, s8, s59
	s_wait_alu 0xfffe
	s_nor_b32 s8, s7, s8
	s_wait_alu 0xfffe
	s_and_saveexec_b32 s9, s8
	s_wait_alu 0xfffe
	s_xor_b32 s8, exec_lo, s9
	s_cbranch_execz .LBB122_21
; %bb.20:                               ;   in Loop: Header=BB122_11 Depth=3
	global_load_b128 v[74:77], v[56:57], off
	s_wait_loadcnt 0x0
	ds_store_2addr_b64 v65, v[74:75], v[76:77] offset1:1
.LBB122_21:                             ;   in Loop: Header=BB122_11 Depth=3
	s_wait_alu 0xfffe
	s_and_not1_saveexec_b32 s8, s8
	s_cbranch_execz .LBB122_27
; %bb.22:                               ;   in Loop: Header=BB122_11 Depth=3
	s_xor_b32 s9, s59, -1
	s_wait_alu 0xfffe
	s_and_saveexec_b32 s59, s9
	s_delay_alu instid0(SALU_CYCLE_1)
	s_xor_b32 s9, exec_lo, s59
; %bb.23:                               ;   in Loop: Header=BB122_11 Depth=3
	v_dual_mov_b32 v74, v0 :: v_dual_mov_b32 v75, v0
	v_dual_mov_b32 v76, v0 :: v_dual_mov_b32 v77, v0
	ds_store_b128 v63, v[74:77] offset:256
; %bb.24:                               ;   in Loop: Header=BB122_11 Depth=3
	s_wait_alu 0xfffe
	s_and_not1_saveexec_b32 s9, s9
; %bb.25:                               ;   in Loop: Header=BB122_11 Depth=3
	v_dual_mov_b32 v2, v0 :: v_dual_mov_b32 v3, v0
	ds_store_b128 v63, v[0:3] offset:256
; %bb.26:                               ;   in Loop: Header=BB122_11 Depth=3
	s_wait_alu 0xfffe
	s_or_b32 exec_lo, exec_lo, s9
.LBB122_27:                             ;   in Loop: Header=BB122_11 Depth=3
	s_wait_alu 0xfffe
	s_or_b32 exec_lo, exec_lo, s8
	v_cmp_eq_u64_e64 s8, s[48:49], v[32:33]
	v_cmp_gt_i64_e64 s9, v[54:55], v[28:29]
	s_and_b32 s59, s52, s8
	v_add_co_u32 v54, s8, v26, v60
	s_or_b32 s9, s4, s9
	v_add_co_ci_u32_e64 v55, null, 0, v27, s8
	s_wait_alu 0xfffe
	s_or_b32 s8, s9, s59
	s_wait_alu 0xfffe
	s_nor_b32 s6, s6, s8
	s_wait_alu 0xfffe
	s_and_saveexec_b32 s8, s6
	s_wait_alu 0xfffe
	s_xor_b32 s6, exec_lo, s8
	s_cbranch_execz .LBB122_29
; %bb.28:                               ;   in Loop: Header=BB122_11 Depth=3
	global_load_b128 v[74:77], v[54:55], off offset:-256
	s_wait_loadcnt 0x0
	ds_store_2addr_b64 v66, v[74:75], v[76:77] offset1:1
.LBB122_29:                             ;   in Loop: Header=BB122_11 Depth=3
	s_wait_alu 0xfffe
	s_and_not1_saveexec_b32 s6, s6
	s_cbranch_execz .LBB122_35
; %bb.30:                               ;   in Loop: Header=BB122_11 Depth=3
	s_xor_b32 s8, s59, -1
	s_wait_alu 0xfffe
	s_and_saveexec_b32 s9, s8
	s_wait_alu 0xfffe
	s_xor_b32 s8, exec_lo, s9
; %bb.31:                               ;   in Loop: Header=BB122_11 Depth=3
	v_dual_mov_b32 v74, v0 :: v_dual_mov_b32 v75, v0
	v_dual_mov_b32 v76, v0 :: v_dual_mov_b32 v77, v0
	ds_store_b128 v63, v[74:77] offset:8192
; %bb.32:                               ;   in Loop: Header=BB122_11 Depth=3
	s_wait_alu 0xfffe
	s_and_not1_saveexec_b32 s8, s8
; %bb.33:                               ;   in Loop: Header=BB122_11 Depth=3
	v_dual_mov_b32 v2, v0 :: v_dual_mov_b32 v3, v0
	ds_store_b128 v63, v[0:3] offset:8192
; %bb.34:                               ;   in Loop: Header=BB122_11 Depth=3
	s_wait_alu 0xfffe
	s_or_b32 exec_lo, exec_lo, s8
.LBB122_35:                             ;   in Loop: Header=BB122_11 Depth=3
	s_wait_alu 0xfffe
	s_or_b32 exec_lo, exec_lo, s6
	s_or_b32 s5, s4, s5
	s_wait_alu 0xfffe
	s_or_b32 s5, s5, s58
	s_wait_alu 0xfffe
	s_nor_b32 s5, s7, s5
	s_wait_alu 0xfffe
	s_and_saveexec_b32 s6, s5
	s_wait_alu 0xfffe
	s_xor_b32 s5, exec_lo, s6
	s_cbranch_execz .LBB122_37
; %bb.36:                               ;   in Loop: Header=BB122_11 Depth=3
	global_load_b128 v[54:57], v[54:55], off
	s_wait_loadcnt 0x0
	ds_store_2addr_b64 v67, v[54:55], v[56:57] offset1:1
.LBB122_37:                             ;   in Loop: Header=BB122_11 Depth=3
	s_wait_alu 0xfffe
	s_and_not1_saveexec_b32 s5, s5
	s_cbranch_execz .LBB122_43
; %bb.38:                               ;   in Loop: Header=BB122_11 Depth=3
	s_and_saveexec_b32 s6, s57
	s_wait_alu 0xfffe
	s_xor_b32 s6, exec_lo, s6
; %bb.39:                               ;   in Loop: Header=BB122_11 Depth=3
	v_dual_mov_b32 v54, v0 :: v_dual_mov_b32 v55, v0
	v_dual_mov_b32 v56, v0 :: v_dual_mov_b32 v57, v0
	ds_store_b128 v63, v[54:57] offset:8448
; %bb.40:                               ;   in Loop: Header=BB122_11 Depth=3
	s_wait_alu 0xfffe
	s_and_not1_saveexec_b32 s6, s6
; %bb.41:                               ;   in Loop: Header=BB122_11 Depth=3
	v_dual_mov_b32 v2, v0 :: v_dual_mov_b32 v3, v0
	ds_store_b128 v63, v[0:3] offset:8448
; %bb.42:                               ;   in Loop: Header=BB122_11 Depth=3
	s_wait_alu 0xfffe
	s_or_b32 exec_lo, exec_lo, s6
.LBB122_43:                             ;   in Loop: Header=BB122_11 Depth=3
	s_wait_alu 0xfffe
	s_or_b32 exec_lo, exec_lo, s5
	v_add_co_u32 v2, s5, v59, s48
	s_wait_alu 0xf1ff
	v_add_co_ci_u32_e64 v3, null, 0, s49, s5
	v_add_co_u32 v54, s6, v36, v12
	s_wait_alu 0xf1ff
	v_add_co_ci_u32_e64 v55, null, v37, v13, s6
	s_delay_alu instid0(VALU_DEP_3)
	v_cmp_le_i64_e64 s5, s[10:11], v[2:3]
	s_nor_b32 s6, s5, s0
	s_wait_alu 0xfffe
	s_and_saveexec_b32 s7, s6
	s_wait_alu 0xfffe
	s_xor_b32 s6, exec_lo, s7
	s_cbranch_execz .LBB122_45
; %bb.44:                               ;   in Loop: Header=BB122_11 Depth=3
	global_load_b128 v[74:77], v[54:55], off offset:-256
	s_wait_loadcnt 0x0
	ds_store_2addr_b64 v64, v[74:75], v[76:77] offset1:1
.LBB122_45:                             ;   in Loop: Header=BB122_11 Depth=3
	s_wait_alu 0xfffe
	s_and_not1_saveexec_b32 s6, s6
; %bb.46:                               ;   in Loop: Header=BB122_11 Depth=3
	v_dual_mov_b32 v74, v0 :: v_dual_mov_b32 v75, v0
	v_dual_mov_b32 v76, v0 :: v_dual_mov_b32 v77, v0
	ds_store_b128 v64, v[74:77]
; %bb.47:                               ;   in Loop: Header=BB122_11 Depth=3
	s_wait_alu 0xfffe
	s_or_b32 exec_lo, exec_lo, s6
	s_nor_b32 s5, s5, s1
	s_wait_alu 0xfffe
	s_and_saveexec_b32 s6, s5
	s_wait_alu 0xfffe
	s_xor_b32 s5, exec_lo, s6
	s_cbranch_execz .LBB122_49
; %bb.48:                               ;   in Loop: Header=BB122_11 Depth=3
	global_load_b128 v[54:57], v[54:55], off
	s_wait_loadcnt 0x0
	ds_store_2addr_b64 v68, v[54:55], v[56:57] offset1:1
.LBB122_49:                             ;   in Loop: Header=BB122_11 Depth=3
	s_wait_alu 0xfffe
	s_and_not1_saveexec_b32 s5, s5
; %bb.50:                               ;   in Loop: Header=BB122_11 Depth=3
	v_dual_mov_b32 v54, v0 :: v_dual_mov_b32 v55, v0
	v_dual_mov_b32 v56, v0 :: v_dual_mov_b32 v57, v0
	ds_store_b128 v64, v[54:57] offset:256
; %bb.51:                               ;   in Loop: Header=BB122_11 Depth=3
	s_wait_alu 0xfffe
	s_or_b32 exec_lo, exec_lo, s5
	v_cmp_le_i64_e64 s5, s[46:47], v[2:3]
	v_add_co_u32 v2, s6, v36, v8
	s_wait_alu 0xf1ff
	v_add_co_ci_u32_e64 v3, null, v37, v9, s6
	s_nor_b32 s6, s5, s0
	s_wait_alu 0xfffe
	s_and_saveexec_b32 s7, s6
	s_wait_alu 0xfffe
	s_xor_b32 s6, exec_lo, s7
	s_cbranch_execz .LBB122_53
; %bb.52:                               ;   in Loop: Header=BB122_11 Depth=3
	global_load_b128 v[54:57], v[2:3], off offset:-256
	s_wait_loadcnt 0x0
	ds_store_2addr_b64 v69, v[54:55], v[56:57] offset1:1
.LBB122_53:                             ;   in Loop: Header=BB122_11 Depth=3
	s_wait_alu 0xfffe
	s_and_not1_saveexec_b32 s6, s6
; %bb.54:                               ;   in Loop: Header=BB122_11 Depth=3
	v_dual_mov_b32 v54, v0 :: v_dual_mov_b32 v55, v0
	v_dual_mov_b32 v56, v0 :: v_dual_mov_b32 v57, v0
	ds_store_b128 v64, v[54:57] offset:8192
; %bb.55:                               ;   in Loop: Header=BB122_11 Depth=3
	s_wait_alu 0xfffe
	s_or_b32 exec_lo, exec_lo, s6
	s_nor_b32 s5, s5, s1
	s_wait_alu 0xfffe
	s_and_saveexec_b32 s6, s5
	s_wait_alu 0xfffe
	s_xor_b32 s5, exec_lo, s6
	s_cbranch_execz .LBB122_57
; %bb.56:                               ;   in Loop: Header=BB122_11 Depth=3
	global_load_b128 v[54:57], v[2:3], off
	s_wait_loadcnt 0x0
	ds_store_2addr_b64 v70, v[54:55], v[56:57] offset1:1
.LBB122_57:                             ;   in Loop: Header=BB122_11 Depth=3
	s_wait_alu 0xfffe
	s_and_not1_saveexec_b32 s5, s5
	s_cbranch_execz .LBB122_10
; %bb.58:                               ;   in Loop: Header=BB122_11 Depth=3
	v_dual_mov_b32 v54, v0 :: v_dual_mov_b32 v55, v0
	v_dual_mov_b32 v56, v0 :: v_dual_mov_b32 v57, v0
	ds_store_b128 v64, v[54:57] offset:8448
	s_branch .LBB122_10
.LBB122_59:                             ;   in Loop: Header=BB122_8 Depth=2
	v_mul_lo_u32 v21, s29, v22
	s_delay_alu instid0(VALU_DEP_2) | instskip(SKIP_2) | instid1(VALU_DEP_2)
	v_mul_lo_u32 v23, s28, v23
	v_mad_co_u64_u32 v[2:3], null, s28, v22, 0
	v_cmp_gt_i32_e32 vcc_lo, s38, v22
	v_add3_u32 v3, v3, v23, v21
	s_delay_alu instid0(VALU_DEP_1) | instskip(NEXT) | instid1(VALU_DEP_1)
	v_lshlrev_b64_e32 v[2:3], 4, v[2:3]
	v_add_co_u32 v2, s4, s26, v2
	s_wait_alu 0xf1ff
	s_delay_alu instid0(VALU_DEP_2)
	v_add_co_ci_u32_e64 v3, null, s27, v3, s4
	s_and_b32 s4, s2, vcc_lo
	s_wait_alu 0xfffe
	s_and_saveexec_b32 s5, s4
	s_cbranch_execz .LBB122_61
; %bb.60:                               ;   in Loop: Header=BB122_8 Depth=2
	v_add_co_u32 v27, s4, v2, v10
	s_wait_alu 0xf1ff
	v_add_co_ci_u32_e64 v28, null, v3, v11, s4
	v_mul_f64_e32 v[29:30], v[6:7], v[48:49]
	v_mul_f64_e32 v[31:32], v[4:5], v[48:49]
	global_load_b128 v[23:26], v[27:28], off
	v_fma_f64 v[29:30], v[4:5], v[46:47], -v[29:30]
	v_fma_f64 v[31:32], v[6:7], v[46:47], v[31:32]
	s_wait_loadcnt 0x0
	s_delay_alu instid0(VALU_DEP_2) | instskip(NEXT) | instid1(VALU_DEP_2)
	v_add_f64_e32 v[23:24], v[23:24], v[29:30]
	v_add_f64_e32 v[25:26], v[31:32], v[25:26]
	global_store_b128 v[27:28], v[23:26], off
.LBB122_61:                             ;   in Loop: Header=BB122_8 Depth=2
	s_wait_alu 0xfffe
	s_or_b32 exec_lo, exec_lo, s5
	s_and_b32 s5, s3, vcc_lo
	s_wait_alu 0xfffe
	s_and_saveexec_b32 s4, s5
	s_cbranch_execz .LBB122_63
; %bb.62:                               ;   in Loop: Header=BB122_8 Depth=2
	v_add_co_u32 v2, vcc_lo, v2, v16
	s_wait_alu 0xfffd
	v_add_co_ci_u32_e64 v3, null, v3, v17, vcc_lo
	v_mul_f64_e32 v[27:28], v[6:7], v[40:41]
	v_mul_f64_e32 v[29:30], v[4:5], v[40:41]
	global_load_b128 v[23:26], v[2:3], off
	v_fma_f64 v[27:28], v[4:5], v[38:39], -v[27:28]
	v_fma_f64 v[29:30], v[6:7], v[38:39], v[29:30]
	s_wait_loadcnt 0x0
	s_delay_alu instid0(VALU_DEP_2) | instskip(NEXT) | instid1(VALU_DEP_2)
	v_add_f64_e32 v[23:24], v[23:24], v[27:28]
	v_add_f64_e32 v[25:26], v[29:30], v[25:26]
	global_store_b128 v[2:3], v[23:26], off
.LBB122_63:                             ;   in Loop: Header=BB122_8 Depth=2
	s_wait_alu 0xfffe
	s_or_b32 exec_lo, exec_lo, s4
	v_add_nc_u32_e32 v21, 16, v22
	s_delay_alu instid0(VALU_DEP_1) | instskip(SKIP_3) | instid1(VALU_DEP_4)
	v_ashrrev_i32_e32 v22, 31, v21
	v_mul_lo_u32 v23, s29, v21
	v_mad_co_u64_u32 v[2:3], null, s28, v21, 0
	v_cmp_gt_i32_e32 vcc_lo, s38, v21
	v_mul_lo_u32 v22, s28, v22
	s_delay_alu instid0(VALU_DEP_1) | instskip(NEXT) | instid1(VALU_DEP_1)
	v_add3_u32 v3, v3, v22, v23
	v_lshlrev_b64_e32 v[2:3], 4, v[2:3]
	s_delay_alu instid0(VALU_DEP_1) | instskip(SKIP_1) | instid1(VALU_DEP_2)
	v_add_co_u32 v2, s4, s26, v2
	s_wait_alu 0xf1ff
	v_add_co_ci_u32_e64 v3, null, s27, v3, s4
	s_and_b32 s4, s2, vcc_lo
	s_wait_alu 0xfffe
	s_and_saveexec_b32 s5, s4
	s_cbranch_execz .LBB122_65
; %bb.64:                               ;   in Loop: Header=BB122_8 Depth=2
	v_add_co_u32 v25, s4, v2, v10
	s_wait_alu 0xf1ff
	v_add_co_ci_u32_e64 v26, null, v3, v11, s4
	v_mul_f64_e32 v[27:28], v[6:7], v[44:45]
	v_mul_f64_e32 v[29:30], v[4:5], v[44:45]
	global_load_b128 v[21:24], v[25:26], off
	v_fma_f64 v[27:28], v[4:5], v[42:43], -v[27:28]
	v_fma_f64 v[29:30], v[6:7], v[42:43], v[29:30]
	s_wait_loadcnt 0x0
	s_delay_alu instid0(VALU_DEP_2) | instskip(NEXT) | instid1(VALU_DEP_2)
	v_add_f64_e32 v[21:22], v[21:22], v[27:28]
	v_add_f64_e32 v[23:24], v[29:30], v[23:24]
	global_store_b128 v[25:26], v[21:24], off
.LBB122_65:                             ;   in Loop: Header=BB122_8 Depth=2
	s_wait_alu 0xfffe
	s_or_b32 exec_lo, exec_lo, s5
	s_and_b32 s5, s3, vcc_lo
	s_wait_alu 0xfffe
	s_and_saveexec_b32 s4, s5
	s_cbranch_execz .LBB122_7
; %bb.66:                               ;   in Loop: Header=BB122_8 Depth=2
	v_add_co_u32 v2, vcc_lo, v2, v16
	s_wait_alu 0xfffd
	v_add_co_ci_u32_e64 v3, null, v3, v17, vcc_lo
	v_mul_f64_e32 v[25:26], v[6:7], v[50:51]
	v_mul_f64_e32 v[27:28], v[4:5], v[50:51]
	global_load_b128 v[21:24], v[2:3], off
	v_fma_f64 v[25:26], v[4:5], v[52:53], -v[25:26]
	v_fma_f64 v[27:28], v[6:7], v[52:53], v[27:28]
	s_wait_loadcnt 0x0
	s_delay_alu instid0(VALU_DEP_2) | instskip(NEXT) | instid1(VALU_DEP_2)
	v_add_f64_e32 v[21:22], v[21:22], v[25:26]
	v_add_f64_e32 v[23:24], v[27:28], v[23:24]
	global_store_b128 v[2:3], v[21:24], off
	s_branch .LBB122_7
.LBB122_67:
	s_endpgm
	.section	.rodata,"a",@progbits
	.p2align	6, 0x0
	.amdhsa_kernel _ZL30rocblas_trmm_outofplace_kernelI19rocblas_complex_numIdELi32ELi2ELb0ELb1ELb0ELb0EPKS1_S2_S1_Ev17rocblas_diagonal_iiT6_lPT7_lllS7_lllPT8_llli
		.amdhsa_group_segment_fixed_size 32768
		.amdhsa_private_segment_fixed_size 0
		.amdhsa_kernarg_size 392
		.amdhsa_user_sgpr_count 2
		.amdhsa_user_sgpr_dispatch_ptr 0
		.amdhsa_user_sgpr_queue_ptr 0
		.amdhsa_user_sgpr_kernarg_segment_ptr 1
		.amdhsa_user_sgpr_dispatch_id 0
		.amdhsa_user_sgpr_private_segment_size 0
		.amdhsa_wavefront_size32 1
		.amdhsa_uses_dynamic_stack 0
		.amdhsa_enable_private_segment 0
		.amdhsa_system_sgpr_workgroup_id_x 1
		.amdhsa_system_sgpr_workgroup_id_y 1
		.amdhsa_system_sgpr_workgroup_id_z 1
		.amdhsa_system_sgpr_workgroup_info 0
		.amdhsa_system_vgpr_workitem_id 1
		.amdhsa_next_free_vgpr 94
		.amdhsa_next_free_sgpr 60
		.amdhsa_reserve_vcc 1
		.amdhsa_float_round_mode_32 0
		.amdhsa_float_round_mode_16_64 0
		.amdhsa_float_denorm_mode_32 3
		.amdhsa_float_denorm_mode_16_64 3
		.amdhsa_fp16_overflow 0
		.amdhsa_workgroup_processor_mode 1
		.amdhsa_memory_ordered 1
		.amdhsa_forward_progress 1
		.amdhsa_inst_pref_size 75
		.amdhsa_round_robin_scheduling 0
		.amdhsa_exception_fp_ieee_invalid_op 0
		.amdhsa_exception_fp_denorm_src 0
		.amdhsa_exception_fp_ieee_div_zero 0
		.amdhsa_exception_fp_ieee_overflow 0
		.amdhsa_exception_fp_ieee_underflow 0
		.amdhsa_exception_fp_ieee_inexact 0
		.amdhsa_exception_int_div_zero 0
	.end_amdhsa_kernel
	.section	.text._ZL30rocblas_trmm_outofplace_kernelI19rocblas_complex_numIdELi32ELi2ELb0ELb1ELb0ELb0EPKS1_S2_S1_Ev17rocblas_diagonal_iiT6_lPT7_lllS7_lllPT8_llli,"axG",@progbits,_ZL30rocblas_trmm_outofplace_kernelI19rocblas_complex_numIdELi32ELi2ELb0ELb1ELb0ELb0EPKS1_S2_S1_Ev17rocblas_diagonal_iiT6_lPT7_lllS7_lllPT8_llli,comdat
.Lfunc_end122:
	.size	_ZL30rocblas_trmm_outofplace_kernelI19rocblas_complex_numIdELi32ELi2ELb0ELb1ELb0ELb0EPKS1_S2_S1_Ev17rocblas_diagonal_iiT6_lPT7_lllS7_lllPT8_llli, .Lfunc_end122-_ZL30rocblas_trmm_outofplace_kernelI19rocblas_complex_numIdELi32ELi2ELb0ELb1ELb0ELb0EPKS1_S2_S1_Ev17rocblas_diagonal_iiT6_lPT7_lllS7_lllPT8_llli
                                        ; -- End function
	.set _ZL30rocblas_trmm_outofplace_kernelI19rocblas_complex_numIdELi32ELi2ELb0ELb1ELb0ELb0EPKS1_S2_S1_Ev17rocblas_diagonal_iiT6_lPT7_lllS7_lllPT8_llli.num_vgpr, 94
	.set _ZL30rocblas_trmm_outofplace_kernelI19rocblas_complex_numIdELi32ELi2ELb0ELb1ELb0ELb0EPKS1_S2_S1_Ev17rocblas_diagonal_iiT6_lPT7_lllS7_lllPT8_llli.num_agpr, 0
	.set _ZL30rocblas_trmm_outofplace_kernelI19rocblas_complex_numIdELi32ELi2ELb0ELb1ELb0ELb0EPKS1_S2_S1_Ev17rocblas_diagonal_iiT6_lPT7_lllS7_lllPT8_llli.numbered_sgpr, 60
	.set _ZL30rocblas_trmm_outofplace_kernelI19rocblas_complex_numIdELi32ELi2ELb0ELb1ELb0ELb0EPKS1_S2_S1_Ev17rocblas_diagonal_iiT6_lPT7_lllS7_lllPT8_llli.num_named_barrier, 0
	.set _ZL30rocblas_trmm_outofplace_kernelI19rocblas_complex_numIdELi32ELi2ELb0ELb1ELb0ELb0EPKS1_S2_S1_Ev17rocblas_diagonal_iiT6_lPT7_lllS7_lllPT8_llli.private_seg_size, 0
	.set _ZL30rocblas_trmm_outofplace_kernelI19rocblas_complex_numIdELi32ELi2ELb0ELb1ELb0ELb0EPKS1_S2_S1_Ev17rocblas_diagonal_iiT6_lPT7_lllS7_lllPT8_llli.uses_vcc, 1
	.set _ZL30rocblas_trmm_outofplace_kernelI19rocblas_complex_numIdELi32ELi2ELb0ELb1ELb0ELb0EPKS1_S2_S1_Ev17rocblas_diagonal_iiT6_lPT7_lllS7_lllPT8_llli.uses_flat_scratch, 0
	.set _ZL30rocblas_trmm_outofplace_kernelI19rocblas_complex_numIdELi32ELi2ELb0ELb1ELb0ELb0EPKS1_S2_S1_Ev17rocblas_diagonal_iiT6_lPT7_lllS7_lllPT8_llli.has_dyn_sized_stack, 0
	.set _ZL30rocblas_trmm_outofplace_kernelI19rocblas_complex_numIdELi32ELi2ELb0ELb1ELb0ELb0EPKS1_S2_S1_Ev17rocblas_diagonal_iiT6_lPT7_lllS7_lllPT8_llli.has_recursion, 0
	.set _ZL30rocblas_trmm_outofplace_kernelI19rocblas_complex_numIdELi32ELi2ELb0ELb1ELb0ELb0EPKS1_S2_S1_Ev17rocblas_diagonal_iiT6_lPT7_lllS7_lllPT8_llli.has_indirect_call, 0
	.section	.AMDGPU.csdata,"",@progbits
; Kernel info:
; codeLenInByte = 9596
; TotalNumSgprs: 62
; NumVgprs: 94
; ScratchSize: 0
; MemoryBound: 0
; FloatMode: 240
; IeeeMode: 1
; LDSByteSize: 32768 bytes/workgroup (compile time only)
; SGPRBlocks: 0
; VGPRBlocks: 11
; NumSGPRsForWavesPerEU: 62
; NumVGPRsForWavesPerEU: 94
; Occupancy: 16
; WaveLimiterHint : 0
; COMPUTE_PGM_RSRC2:SCRATCH_EN: 0
; COMPUTE_PGM_RSRC2:USER_SGPR: 2
; COMPUTE_PGM_RSRC2:TRAP_HANDLER: 0
; COMPUTE_PGM_RSRC2:TGID_X_EN: 1
; COMPUTE_PGM_RSRC2:TGID_Y_EN: 1
; COMPUTE_PGM_RSRC2:TGID_Z_EN: 1
; COMPUTE_PGM_RSRC2:TIDIG_COMP_CNT: 1
	.section	.text._ZL30rocblas_trmm_outofplace_kernelI19rocblas_complex_numIdELi32ELi2ELb0ELb1ELb0ELb0ES1_KS1_S1_Ev17rocblas_diagonal_iiT6_lPT7_lllS6_lllPT8_llli,"axG",@progbits,_ZL30rocblas_trmm_outofplace_kernelI19rocblas_complex_numIdELi32ELi2ELb0ELb1ELb0ELb0ES1_KS1_S1_Ev17rocblas_diagonal_iiT6_lPT7_lllS6_lllPT8_llli,comdat
	.globl	_ZL30rocblas_trmm_outofplace_kernelI19rocblas_complex_numIdELi32ELi2ELb0ELb1ELb0ELb0ES1_KS1_S1_Ev17rocblas_diagonal_iiT6_lPT7_lllS6_lllPT8_llli ; -- Begin function _ZL30rocblas_trmm_outofplace_kernelI19rocblas_complex_numIdELi32ELi2ELb0ELb1ELb0ELb0ES1_KS1_S1_Ev17rocblas_diagonal_iiT6_lPT7_lllS6_lllPT8_llli
	.p2align	8
	.type	_ZL30rocblas_trmm_outofplace_kernelI19rocblas_complex_numIdELi32ELi2ELb0ELb1ELb0ELb0ES1_KS1_S1_Ev17rocblas_diagonal_iiT6_lPT7_lllS6_lllPT8_llli,@function
_ZL30rocblas_trmm_outofplace_kernelI19rocblas_complex_numIdELi32ELi2ELb0ELb1ELb0ELb0ES1_KS1_S1_Ev17rocblas_diagonal_iiT6_lPT7_lllS6_lllPT8_llli: ; @_ZL30rocblas_trmm_outofplace_kernelI19rocblas_complex_numIdELi32ELi2ELb0ELb1ELb0ELb0ES1_KS1_S1_Ev17rocblas_diagonal_iiT6_lPT7_lllS6_lllPT8_llli
; %bb.0:
	s_load_b32 s33, s[0:1], 0x88
	s_lshr_b32 s34, ttmp7, 16
	s_wait_kmcnt 0x0
	s_cmp_ge_u32 s34, s33
	s_cbranch_scc1 .LBB123_66
; %bb.1:
	s_load_b128 s[36:39], s[0:1], 0x10
	s_wait_kmcnt 0x0
	v_cmp_eq_f64_e64 s2, s[36:37], 0
	v_cmp_eq_f64_e64 s3, s[38:39], 0
	s_and_b32 s2, s2, s3
	s_delay_alu instid0(SALU_CYCLE_1)
	s_and_b32 vcc_lo, exec_lo, s2
	s_cbranch_vccnz .LBB123_66
; %bb.2:
	s_clause 0x1
	s_load_b96 s[40:42], s[0:1], 0x0
	s_load_b512 s[8:23], s[0:1], 0x28
	v_bfe_u32 v55, v0, 10, 10
	s_load_b256 s[24:31], s[0:1], 0x68
	s_add_nc_u64 s[44:45], s[0:1], 0x90
	s_and_b32 s43, ttmp7, 0xffff
	s_mov_b32 s35, 0
	v_lshl_add_u32 v10, v55, 4, 0x100
	v_lshl_add_u32 v69, s43, 5, v55
	v_lshlrev_b32_e32 v57, 9, v55
	s_wait_kmcnt 0x0
	s_add_co_i32 s0, s42, -1
	v_mad_co_u64_u32 v[8:9], null, s20, v55, 0
	v_and_b32_e32 v54, 0x3ff, v0
	s_ashr_i32 s1, s0, 31
	v_mov_b32_e32 v0, 0
	s_lshr_b32 s1, s1, 27
	s_mov_b32 s46, s42
	s_add_co_i32 s0, s0, s1
	s_delay_alu instid0(VALU_DEP_3)
	v_mov_b32_e32 v3, v9
	v_lshl_add_u32 v1, ttmp9, 5, v54
	s_ashr_i32 s50, s0, 5
	v_sub_co_u32 v67, s4, 0, v54
	s_cmp_le_i32 s43, s50
	v_ashrrev_i32_e32 v2, 31, v1
	s_cselect_b32 s51, -1, 0
	s_cmp_eq_u32 s40, 0x84
	v_sub_co_u32 v4, vcc_lo, s41, v1
	s_cselect_b32 s52, -1, 0
	s_ashr_i32 s0, s41, 31
	v_add_nc_u32_e32 v12, 16, v1
	s_wait_alu 0xfffe
	v_sub_co_ci_u32_e64 v5, null, s0, v2, vcc_lo
	s_lshl_b64 s[0:1], s[26:27], 4
	v_cmp_gt_i32_e64 s2, s41, v1
	s_wait_alu 0xfffe
	s_add_nc_u64 s[24:25], s[24:25], s[0:1]
	v_cmp_gt_i64_e64 s0, 1, v[4:5]
	v_cmp_gt_i64_e64 s1, 17, v[4:5]
	v_mad_co_u64_u32 v[3:4], null, s21, v55, v[3:4]
	v_lshlrev_b32_e32 v56, 4, v54
	v_mad_co_u64_u32 v[4:5], null, s20, v10, 0
	v_lshlrev_b64_e32 v[6:7], 4, v[1:2]
	v_sub_co_ci_u32_e64 v68, null, 0, 0, s4
	v_mov_b32_e32 v9, v3
	v_or_b32_e32 v58, 0x4000, v56
	s_lshl_b64 s[4:5], s[18:19], 4
	v_mov_b32_e32 v1, v5
	s_wait_alu 0xfffe
	s_add_nc_u64 s[4:5], s[16:17], s[4:5]
	v_add_nc_u32_e32 v59, v57, v56
	v_add_nc_u32_e32 v60, v58, v57
	s_wait_alu 0xfffe
	v_add_co_u32 v3, vcc_lo, s4, v6
	v_mad_co_u64_u32 v[1:2], null, s21, v10, v[1:2]
	s_wait_alu 0xfffd
	v_add_co_ci_u32_e64 v5, null, s5, v7, vcc_lo
	s_delay_alu instid0(VALU_DEP_3) | instskip(SKIP_2) | instid1(VALU_DEP_3)
	v_add_co_u32 v10, vcc_lo, 0x100, v3
	v_add_nc_u32_e32 v62, 0x2000, v59
	s_wait_alu 0xfffd
	v_add_co_ci_u32_e64 v11, null, 0, v5, vcc_lo
	v_mov_b32_e32 v5, v1
	v_mov_b32_e32 v1, 0x3ff00000
	v_ashrrev_i32_e32 v13, 31, v12
	v_cmp_gt_i32_e64 s3, s41, v12
	v_lshlrev_b64_e32 v[8:9], 4, v[8:9]
	s_lshl_b64 s[4:5], s[10:11], 4
	v_add_nc_u32_e32 v61, 0x100, v59
	v_lshlrev_b64_e32 v[12:13], 4, v[12:13]
	v_add_nc_u32_e32 v63, 0x2100, v59
	v_add_nc_u32_e32 v64, 0x100, v60
	;; [unrolled: 1-line block ×4, first 2 shown]
	s_ashr_i32 s47, s42, 31
	s_wait_alu 0xfffe
	s_add_nc_u64 s[4:5], s[8:9], s[4:5]
	s_lshl_b64 s[26:27], s[20:21], 9
	s_add_nc_u64 s[48:49], s[46:47], -16
	s_lshl_b64 s[10:11], s[22:23], 4
	s_wait_alu 0xfffe
	s_add_nc_u64 s[16:17], s[4:5], 0x100
	s_lshl_b64 s[14:15], s[14:15], 4
	s_lshl_b64 s[18:19], s[12:13], 4
	s_branch .LBB123_4
.LBB123_3:                              ;   in Loop: Header=BB123_4 Depth=1
	s_add_co_i32 s34, s34, 0x10000
	s_wait_alu 0xfffe
	s_cmp_ge_u32 s34, s33
	s_cbranch_scc1 .LBB123_66
.LBB123_4:                              ; =>This Loop Header: Depth=1
                                        ;     Child Loop BB123_7 Depth 2
                                        ;       Child Loop BB123_10 Depth 3
	s_and_not1_b32 vcc_lo, exec_lo, s51
	s_wait_alu 0xfffe
	s_cbranch_vccnz .LBB123_3
; %bb.5:                                ;   in Loop: Header=BB123_4 Depth=1
	v_mad_co_u64_u32 v[14:15], null, s10, s34, v[10:11]
	s_load_b32 s53, s[44:45], 0x4
	s_mul_u64 s[4:5], s[30:31], s[34:35]
	s_mul_u64 s[6:7], s[14:15], s[34:35]
	s_wait_alu 0xfffe
	s_lshl_b64 s[4:5], s[4:5], 4
	s_add_nc_u64 s[22:23], s[16:17], s[6:7]
	s_wait_alu 0xfffe
	s_add_nc_u64 s[20:21], s[24:25], s[4:5]
	v_mov_b32_e32 v2, v15
	s_mov_b32 s55, s43
	v_mov_b32_e32 v16, v69
	s_delay_alu instid0(VALU_DEP_2) | instskip(NEXT) | instid1(VALU_DEP_1)
	v_mad_co_u64_u32 v[2:3], null, s11, s34, v[2:3]
	v_mov_b32_e32 v15, v2
	s_wait_kmcnt 0x0
	s_lshl_b32 s54, s53, 5
	s_branch .LBB123_7
.LBB123_6:                              ;   in Loop: Header=BB123_7 Depth=2
	s_wait_alu 0xfffe
	s_or_b32 exec_lo, exec_lo, s4
	v_add_nc_u32_e32 v16, s54, v16
	s_add_co_i32 s55, s53, s55
	s_wait_alu 0xfffe
	s_cmp_gt_i32 s55, s50
	s_cbranch_scc1 .LBB123_3
.LBB123_7:                              ;   Parent Loop BB123_4 Depth=1
                                        ; =>  This Loop Header: Depth=2
                                        ;       Child Loop BB123_10 Depth 3
	s_wait_alu 0xfffe
	s_lshl_b32 s56, s55, 5
	v_mov_b32_e32 v42, 0
	s_wait_alu 0xfffe
	v_dual_mov_b32 v43, 0 :: v_dual_add_nc_u32 v18, s56, v55
	v_mov_b32_e32 v44, 0
	v_mov_b32_e32 v34, 0
	v_mov_b32_e32 v36, 0
	v_mov_b32_e32 v38, 0
	v_mov_b32_e32 v40, 0
	v_mov_b32_e32 v48, 0
	v_dual_mov_b32 v46, 0 :: v_dual_mov_b32 v45, 0
	v_mov_b32_e32 v35, 0
	v_mov_b32_e32 v37, 0
	;; [unrolled: 1-line block ×6, first 2 shown]
	v_ashrrev_i32_e32 v19, 31, v18
	s_cmp_lt_i32 s55, 0
	s_cbranch_scc1 .LBB123_58
; %bb.8:                                ;   in Loop: Header=BB123_7 Depth=2
	v_ashrrev_i32_e32 v17, 31, v16
	v_mad_co_u64_u32 v[20:21], null, s18, v16, s[22:23]
	v_mul_lo_u32 v28, s19, v16
	v_add_co_u32 v24, s4, v18, 16
	s_delay_alu instid0(VALU_DEP_4) | instskip(SKIP_4) | instid1(VALU_DEP_4)
	v_lshlrev_b64_e32 v[2:3], 4, v[16:17]
	v_mul_lo_u32 v29, s18, v17
	s_wait_alu 0xf1ff
	v_add_co_ci_u32_e64 v25, null, 0, v19, s4
	v_add_co_u32 v26, s4, v67, v16
	v_add_co_u32 v2, vcc_lo, 0x100, v2
	s_wait_alu 0xfffd
	v_add_co_ci_u32_e64 v3, null, 0, v3, vcc_lo
	s_wait_alu 0xf1ff
	v_add_co_ci_u32_e64 v27, null, v68, v17, s4
	v_mul_lo_u32 v30, s13, v2
	s_delay_alu instid0(VALU_DEP_3)
	v_mul_lo_u32 v3, s12, v3
	v_mad_co_u64_u32 v[22:23], null, s12, v2, s[22:23]
	v_add3_u32 v21, v28, v21, v29
	v_add_co_u32 v28, s5, v26, 16
	s_wait_alu 0xf1ff
	v_add_co_ci_u32_e64 v29, null, 0, v27, s5
	v_mov_b32_e32 v46, 0
	v_add3_u32 v23, v30, v23, v3
	v_add_co_u32 v30, s5, v26, -16
	v_mov_b32_e32 v40, 0
	v_mov_b32_e32 v36, 0
	;; [unrolled: 1-line block ×3, first 2 shown]
	v_cmp_le_i64_e64 s4, s[46:47], v[24:25]
	v_dual_mov_b32 v47, 0 :: v_dual_mov_b32 v48, 0
	v_dual_mov_b32 v41, 0 :: v_dual_mov_b32 v38, 0
	v_dual_mov_b32 v37, 0 :: v_dual_mov_b32 v34, 0
	v_dual_mov_b32 v45, 0 :: v_dual_mov_b32 v42, 0
	s_wait_alu 0xf1ff
	v_add_co_ci_u32_e64 v31, null, -1, v27, s5
	v_mov_b32_e32 v49, 0
	v_mov_b32_e32 v39, 0
	;; [unrolled: 1-line block ×4, first 2 shown]
	v_dual_mov_b32 v33, v15 :: v_dual_mov_b32 v32, v14
	s_mov_b64 s[40:41], 0
	v_cmp_le_i32_e32 vcc_lo, s42, v18
	s_branch .LBB123_10
.LBB123_9:                              ;   in Loop: Header=BB123_10 Depth=3
	s_wait_alu 0xfffe
	s_or_b32 exec_lo, exec_lo, s5
	s_wait_dscnt 0x0
	s_barrier_signal -1
	s_barrier_wait -1
	global_inv scope:SCOPE_SE
	ds_load_b128 v[50:53], v57
	ds_load_b128 v[70:73], v57 offset:16
	ds_load_b128 v[74:77], v57 offset:32
	;; [unrolled: 1-line block ×3, first 2 shown]
	ds_load_b128 v[82:85], v58
	v_add_co_u32 v32, s5, v32, s26
	s_wait_alu 0xf1ff
	v_add_co_ci_u32_e64 v33, null, s27, v33, s5
	v_add_co_u32 v22, s5, 0x200, v22
	s_wait_alu 0xf1ff
	v_add_co_ci_u32_e64 v23, null, 0, v23, s5
	v_add_co_u32 v20, s5, 0x200, v20
	s_add_nc_u64 s[40:41], s[40:41], 32
	v_add_co_ci_u32_e64 v21, null, 0, v21, s5
	s_wait_alu 0xfffe
	s_sub_co_i32 s5, s40, 32
	s_wait_alu 0xfffe
	s_cmp_ge_i32 s5, s56
	s_wait_dscnt 0x0
	v_mul_f64_e32 v[2:3], v[52:53], v[84:85]
	v_mul_f64_e32 v[86:87], v[50:51], v[84:85]
	s_delay_alu instid0(VALU_DEP_2) | instskip(NEXT) | instid1(VALU_DEP_2)
	v_fma_f64 v[2:3], v[50:51], v[82:83], -v[2:3]
	v_fma_f64 v[86:87], v[52:53], v[82:83], v[86:87]
	s_delay_alu instid0(VALU_DEP_2) | instskip(NEXT) | instid1(VALU_DEP_2)
	v_add_f64_e32 v[2:3], v[42:43], v[2:3]
	v_add_f64_e32 v[86:87], v[86:87], v[44:45]
	ds_load_b128 v[42:45], v58 offset:256
	s_wait_dscnt 0x0
	v_mul_f64_e32 v[88:89], v[52:53], v[44:45]
	s_delay_alu instid0(VALU_DEP_1) | instskip(SKIP_1) | instid1(VALU_DEP_1)
	v_fma_f64 v[88:89], v[50:51], v[42:43], -v[88:89]
	v_mul_f64_e32 v[50:51], v[50:51], v[44:45]
	v_fma_f64 v[50:51], v[52:53], v[42:43], v[50:51]
	s_delay_alu instid0(VALU_DEP_3) | instskip(NEXT) | instid1(VALU_DEP_2)
	v_add_f64_e32 v[52:53], v[34:35], v[88:89]
	v_add_f64_e32 v[50:51], v[50:51], v[36:37]
	ds_load_b128 v[34:37], v57 offset:8192
	s_wait_dscnt 0x0
	v_mul_f64_e32 v[88:89], v[36:37], v[84:85]
	v_mul_f64_e32 v[84:85], v[34:35], v[84:85]
	s_delay_alu instid0(VALU_DEP_2) | instskip(NEXT) | instid1(VALU_DEP_2)
	v_fma_f64 v[88:89], v[34:35], v[82:83], -v[88:89]
	v_fma_f64 v[82:83], v[36:37], v[82:83], v[84:85]
	s_delay_alu instid0(VALU_DEP_2) | instskip(SKIP_1) | instid1(VALU_DEP_3)
	v_add_f64_e32 v[84:85], v[38:39], v[88:89]
	v_mul_f64_e32 v[38:39], v[36:37], v[44:45]
	v_add_f64_e32 v[82:83], v[82:83], v[40:41]
	s_delay_alu instid0(VALU_DEP_2) | instskip(SKIP_1) | instid1(VALU_DEP_2)
	v_fma_f64 v[38:39], v[34:35], v[42:43], -v[38:39]
	v_mul_f64_e32 v[34:35], v[34:35], v[44:45]
	v_add_f64_e32 v[48:49], v[48:49], v[38:39]
	s_delay_alu instid0(VALU_DEP_2) | instskip(NEXT) | instid1(VALU_DEP_1)
	v_fma_f64 v[34:35], v[36:37], v[42:43], v[34:35]
	v_add_f64_e32 v[46:47], v[34:35], v[46:47]
	ds_load_b128 v[34:37], v58 offset:512
	s_wait_dscnt 0x0
	v_mul_f64_e32 v[38:39], v[72:73], v[36:37]
	v_mul_f64_e32 v[40:41], v[70:71], v[36:37]
	s_delay_alu instid0(VALU_DEP_2) | instskip(NEXT) | instid1(VALU_DEP_2)
	v_fma_f64 v[38:39], v[70:71], v[34:35], -v[38:39]
	v_fma_f64 v[40:41], v[72:73], v[34:35], v[40:41]
	s_delay_alu instid0(VALU_DEP_2) | instskip(NEXT) | instid1(VALU_DEP_2)
	v_add_f64_e32 v[2:3], v[2:3], v[38:39]
	v_add_f64_e32 v[86:87], v[40:41], v[86:87]
	ds_load_b128 v[38:41], v58 offset:768
	s_wait_dscnt 0x0
	v_mul_f64_e32 v[42:43], v[72:73], v[40:41]
	v_mul_f64_e32 v[44:45], v[70:71], v[40:41]
	s_delay_alu instid0(VALU_DEP_2) | instskip(NEXT) | instid1(VALU_DEP_2)
	v_fma_f64 v[42:43], v[70:71], v[38:39], -v[42:43]
	v_fma_f64 v[44:45], v[72:73], v[38:39], v[44:45]
	s_delay_alu instid0(VALU_DEP_2) | instskip(NEXT) | instid1(VALU_DEP_2)
	v_add_f64_e32 v[52:53], v[52:53], v[42:43]
	v_add_f64_e32 v[50:51], v[44:45], v[50:51]
	ds_load_b128 v[42:45], v57 offset:8208
	s_wait_dscnt 0x0
	v_mul_f64_e32 v[70:71], v[44:45], v[36:37]
	v_mul_f64_e32 v[36:37], v[42:43], v[36:37]
	s_delay_alu instid0(VALU_DEP_2) | instskip(NEXT) | instid1(VALU_DEP_2)
	v_fma_f64 v[70:71], v[42:43], v[34:35], -v[70:71]
	v_fma_f64 v[34:35], v[44:45], v[34:35], v[36:37]
	v_mul_f64_e32 v[36:37], v[42:43], v[40:41]
	s_delay_alu instid0(VALU_DEP_3) | instskip(NEXT) | instid1(VALU_DEP_3)
	v_add_f64_e32 v[70:71], v[84:85], v[70:71]
	v_add_f64_e32 v[72:73], v[34:35], v[82:83]
	v_mul_f64_e32 v[34:35], v[44:45], v[40:41]
	s_delay_alu instid0(VALU_DEP_4) | instskip(NEXT) | instid1(VALU_DEP_2)
	v_fma_f64 v[36:37], v[44:45], v[38:39], v[36:37]
	v_fma_f64 v[34:35], v[42:43], v[38:39], -v[34:35]
	s_delay_alu instid0(VALU_DEP_2) | instskip(NEXT) | instid1(VALU_DEP_2)
	v_add_f64_e32 v[46:47], v[36:37], v[46:47]
	v_add_f64_e32 v[48:49], v[48:49], v[34:35]
	ds_load_b128 v[34:37], v58 offset:1024
	s_wait_dscnt 0x0
	v_mul_f64_e32 v[38:39], v[76:77], v[36:37]
	v_mul_f64_e32 v[40:41], v[74:75], v[36:37]
	s_delay_alu instid0(VALU_DEP_2) | instskip(NEXT) | instid1(VALU_DEP_2)
	v_fma_f64 v[38:39], v[74:75], v[34:35], -v[38:39]
	v_fma_f64 v[40:41], v[76:77], v[34:35], v[40:41]
	s_delay_alu instid0(VALU_DEP_2) | instskip(NEXT) | instid1(VALU_DEP_2)
	v_add_f64_e32 v[2:3], v[2:3], v[38:39]
	v_add_f64_e32 v[82:83], v[40:41], v[86:87]
	ds_load_b128 v[38:41], v58 offset:1280
	s_wait_dscnt 0x0
	v_mul_f64_e32 v[42:43], v[76:77], v[40:41]
	v_mul_f64_e32 v[44:45], v[74:75], v[40:41]
	s_delay_alu instid0(VALU_DEP_2) | instskip(NEXT) | instid1(VALU_DEP_2)
	v_fma_f64 v[42:43], v[74:75], v[38:39], -v[42:43]
	v_fma_f64 v[44:45], v[76:77], v[38:39], v[44:45]
	s_delay_alu instid0(VALU_DEP_2) | instskip(NEXT) | instid1(VALU_DEP_2)
	v_add_f64_e32 v[52:53], v[52:53], v[42:43]
	v_add_f64_e32 v[50:51], v[44:45], v[50:51]
	ds_load_b128 v[42:45], v57 offset:8224
	s_wait_dscnt 0x0
	v_mul_f64_e32 v[74:75], v[44:45], v[36:37]
	v_mul_f64_e32 v[36:37], v[42:43], v[36:37]
	s_delay_alu instid0(VALU_DEP_2) | instskip(NEXT) | instid1(VALU_DEP_2)
	v_fma_f64 v[74:75], v[42:43], v[34:35], -v[74:75]
	v_fma_f64 v[34:35], v[44:45], v[34:35], v[36:37]
	v_mul_f64_e32 v[36:37], v[42:43], v[40:41]
	s_delay_alu instid0(VALU_DEP_3) | instskip(NEXT) | instid1(VALU_DEP_3)
	v_add_f64_e32 v[70:71], v[70:71], v[74:75]
	v_add_f64_e32 v[72:73], v[34:35], v[72:73]
	v_mul_f64_e32 v[34:35], v[44:45], v[40:41]
	s_delay_alu instid0(VALU_DEP_4) | instskip(NEXT) | instid1(VALU_DEP_2)
	v_fma_f64 v[36:37], v[44:45], v[38:39], v[36:37]
	v_fma_f64 v[34:35], v[42:43], v[38:39], -v[34:35]
	s_delay_alu instid0(VALU_DEP_2) | instskip(NEXT) | instid1(VALU_DEP_2)
	v_add_f64_e32 v[46:47], v[36:37], v[46:47]
	v_add_f64_e32 v[48:49], v[48:49], v[34:35]
	ds_load_b128 v[34:37], v58 offset:1536
	s_wait_dscnt 0x0
	v_mul_f64_e32 v[38:39], v[80:81], v[36:37]
	v_mul_f64_e32 v[40:41], v[78:79], v[36:37]
	s_delay_alu instid0(VALU_DEP_2) | instskip(NEXT) | instid1(VALU_DEP_2)
	v_fma_f64 v[38:39], v[78:79], v[34:35], -v[38:39]
	v_fma_f64 v[40:41], v[80:81], v[34:35], v[40:41]
	s_delay_alu instid0(VALU_DEP_2) | instskip(NEXT) | instid1(VALU_DEP_2)
	v_add_f64_e32 v[2:3], v[2:3], v[38:39]
	v_add_f64_e32 v[74:75], v[40:41], v[82:83]
	ds_load_b128 v[38:41], v58 offset:1792
	s_wait_dscnt 0x0
	v_mul_f64_e32 v[42:43], v[80:81], v[40:41]
	v_mul_f64_e32 v[44:45], v[78:79], v[40:41]
	s_delay_alu instid0(VALU_DEP_2) | instskip(NEXT) | instid1(VALU_DEP_2)
	v_fma_f64 v[42:43], v[78:79], v[38:39], -v[42:43]
	v_fma_f64 v[44:45], v[80:81], v[38:39], v[44:45]
	s_delay_alu instid0(VALU_DEP_2) | instskip(NEXT) | instid1(VALU_DEP_2)
	v_add_f64_e32 v[52:53], v[52:53], v[42:43]
	v_add_f64_e32 v[50:51], v[44:45], v[50:51]
	ds_load_b128 v[42:45], v57 offset:8240
	s_wait_dscnt 0x0
	v_mul_f64_e32 v[76:77], v[44:45], v[36:37]
	v_mul_f64_e32 v[36:37], v[42:43], v[36:37]
	s_delay_alu instid0(VALU_DEP_2) | instskip(NEXT) | instid1(VALU_DEP_2)
	v_fma_f64 v[76:77], v[42:43], v[34:35], -v[76:77]
	v_fma_f64 v[34:35], v[44:45], v[34:35], v[36:37]
	v_mul_f64_e32 v[36:37], v[42:43], v[40:41]
	s_delay_alu instid0(VALU_DEP_3) | instskip(NEXT) | instid1(VALU_DEP_3)
	v_add_f64_e32 v[70:71], v[70:71], v[76:77]
	v_add_f64_e32 v[72:73], v[34:35], v[72:73]
	v_mul_f64_e32 v[34:35], v[44:45], v[40:41]
	s_delay_alu instid0(VALU_DEP_4) | instskip(NEXT) | instid1(VALU_DEP_2)
	v_fma_f64 v[36:37], v[44:45], v[38:39], v[36:37]
	v_fma_f64 v[34:35], v[42:43], v[38:39], -v[34:35]
	s_delay_alu instid0(VALU_DEP_2) | instskip(NEXT) | instid1(VALU_DEP_2)
	v_add_f64_e32 v[46:47], v[36:37], v[46:47]
	v_add_f64_e32 v[48:49], v[48:49], v[34:35]
	ds_load_b128 v[34:37], v57 offset:64
	ds_load_b128 v[38:41], v58 offset:2048
	s_wait_dscnt 0x0
	v_mul_f64_e32 v[42:43], v[36:37], v[40:41]
	v_mul_f64_e32 v[44:45], v[34:35], v[40:41]
	s_delay_alu instid0(VALU_DEP_2) | instskip(NEXT) | instid1(VALU_DEP_2)
	v_fma_f64 v[42:43], v[34:35], v[38:39], -v[42:43]
	v_fma_f64 v[44:45], v[36:37], v[38:39], v[44:45]
	s_delay_alu instid0(VALU_DEP_2) | instskip(NEXT) | instid1(VALU_DEP_2)
	v_add_f64_e32 v[2:3], v[2:3], v[42:43]
	v_add_f64_e32 v[74:75], v[44:45], v[74:75]
	ds_load_b128 v[42:45], v58 offset:2304
	s_wait_dscnt 0x0
	v_mul_f64_e32 v[76:77], v[36:37], v[44:45]
	s_delay_alu instid0(VALU_DEP_1) | instskip(SKIP_1) | instid1(VALU_DEP_2)
	v_fma_f64 v[76:77], v[34:35], v[42:43], -v[76:77]
	v_mul_f64_e32 v[34:35], v[34:35], v[44:45]
	v_add_f64_e32 v[52:53], v[52:53], v[76:77]
	s_delay_alu instid0(VALU_DEP_2) | instskip(NEXT) | instid1(VALU_DEP_1)
	v_fma_f64 v[34:35], v[36:37], v[42:43], v[34:35]
	v_add_f64_e32 v[50:51], v[34:35], v[50:51]
	ds_load_b128 v[34:37], v57 offset:8256
	s_wait_dscnt 0x0
	v_mul_f64_e32 v[76:77], v[36:37], v[40:41]
	v_mul_f64_e32 v[40:41], v[34:35], v[40:41]
	s_delay_alu instid0(VALU_DEP_2) | instskip(NEXT) | instid1(VALU_DEP_2)
	v_fma_f64 v[76:77], v[34:35], v[38:39], -v[76:77]
	v_fma_f64 v[38:39], v[36:37], v[38:39], v[40:41]
	s_delay_alu instid0(VALU_DEP_2) | instskip(NEXT) | instid1(VALU_DEP_2)
	v_add_f64_e32 v[70:71], v[70:71], v[76:77]
	v_add_f64_e32 v[72:73], v[38:39], v[72:73]
	v_mul_f64_e32 v[38:39], v[36:37], v[44:45]
	s_delay_alu instid0(VALU_DEP_1) | instskip(SKIP_1) | instid1(VALU_DEP_2)
	v_fma_f64 v[38:39], v[34:35], v[42:43], -v[38:39]
	v_mul_f64_e32 v[34:35], v[34:35], v[44:45]
	v_add_f64_e32 v[48:49], v[48:49], v[38:39]
	s_delay_alu instid0(VALU_DEP_2) | instskip(NEXT) | instid1(VALU_DEP_1)
	v_fma_f64 v[34:35], v[36:37], v[42:43], v[34:35]
	v_add_f64_e32 v[46:47], v[34:35], v[46:47]
	ds_load_b128 v[34:37], v57 offset:80
	ds_load_b128 v[38:41], v58 offset:2560
	s_wait_dscnt 0x0
	v_mul_f64_e32 v[42:43], v[36:37], v[40:41]
	v_mul_f64_e32 v[44:45], v[34:35], v[40:41]
	s_delay_alu instid0(VALU_DEP_2) | instskip(NEXT) | instid1(VALU_DEP_2)
	v_fma_f64 v[42:43], v[34:35], v[38:39], -v[42:43]
	v_fma_f64 v[44:45], v[36:37], v[38:39], v[44:45]
	s_delay_alu instid0(VALU_DEP_2) | instskip(NEXT) | instid1(VALU_DEP_2)
	v_add_f64_e32 v[2:3], v[2:3], v[42:43]
	v_add_f64_e32 v[74:75], v[44:45], v[74:75]
	ds_load_b128 v[42:45], v58 offset:2816
	s_wait_dscnt 0x0
	v_mul_f64_e32 v[76:77], v[36:37], v[44:45]
	s_delay_alu instid0(VALU_DEP_1) | instskip(SKIP_1) | instid1(VALU_DEP_2)
	v_fma_f64 v[76:77], v[34:35], v[42:43], -v[76:77]
	v_mul_f64_e32 v[34:35], v[34:35], v[44:45]
	v_add_f64_e32 v[52:53], v[52:53], v[76:77]
	s_delay_alu instid0(VALU_DEP_2) | instskip(NEXT) | instid1(VALU_DEP_1)
	v_fma_f64 v[34:35], v[36:37], v[42:43], v[34:35]
	v_add_f64_e32 v[50:51], v[34:35], v[50:51]
	ds_load_b128 v[34:37], v57 offset:8272
	s_wait_dscnt 0x0
	v_mul_f64_e32 v[76:77], v[36:37], v[40:41]
	v_mul_f64_e32 v[40:41], v[34:35], v[40:41]
	s_delay_alu instid0(VALU_DEP_2) | instskip(NEXT) | instid1(VALU_DEP_2)
	v_fma_f64 v[76:77], v[34:35], v[38:39], -v[76:77]
	v_fma_f64 v[38:39], v[36:37], v[38:39], v[40:41]
	s_delay_alu instid0(VALU_DEP_2) | instskip(NEXT) | instid1(VALU_DEP_2)
	v_add_f64_e32 v[70:71], v[70:71], v[76:77]
	v_add_f64_e32 v[72:73], v[38:39], v[72:73]
	v_mul_f64_e32 v[38:39], v[36:37], v[44:45]
	s_delay_alu instid0(VALU_DEP_1) | instskip(SKIP_1) | instid1(VALU_DEP_2)
	v_fma_f64 v[38:39], v[34:35], v[42:43], -v[38:39]
	v_mul_f64_e32 v[34:35], v[34:35], v[44:45]
	v_add_f64_e32 v[48:49], v[48:49], v[38:39]
	s_delay_alu instid0(VALU_DEP_2) | instskip(NEXT) | instid1(VALU_DEP_1)
	v_fma_f64 v[34:35], v[36:37], v[42:43], v[34:35]
	;; [unrolled: 39-line block ×26, first 2 shown]
	v_add_f64_e32 v[46:47], v[34:35], v[46:47]
	ds_load_b128 v[34:37], v57 offset:480
	ds_load_b128 v[38:41], v58 offset:15360
	s_wait_dscnt 0x0
	v_mul_f64_e32 v[42:43], v[36:37], v[40:41]
	v_mul_f64_e32 v[44:45], v[34:35], v[40:41]
	s_delay_alu instid0(VALU_DEP_2) | instskip(NEXT) | instid1(VALU_DEP_2)
	v_fma_f64 v[42:43], v[34:35], v[38:39], -v[42:43]
	v_fma_f64 v[44:45], v[36:37], v[38:39], v[44:45]
	s_delay_alu instid0(VALU_DEP_2) | instskip(NEXT) | instid1(VALU_DEP_2)
	v_add_f64_e32 v[76:77], v[2:3], v[42:43]
	v_add_f64_e32 v[74:75], v[44:45], v[74:75]
	ds_load_b128 v[42:45], v58 offset:15616
	s_wait_dscnt 0x0
	v_mul_f64_e32 v[2:3], v[36:37], v[44:45]
	s_delay_alu instid0(VALU_DEP_1) | instskip(SKIP_1) | instid1(VALU_DEP_2)
	v_fma_f64 v[2:3], v[34:35], v[42:43], -v[2:3]
	v_mul_f64_e32 v[34:35], v[34:35], v[44:45]
	v_add_f64_e32 v[52:53], v[52:53], v[2:3]
	s_delay_alu instid0(VALU_DEP_2) | instskip(NEXT) | instid1(VALU_DEP_1)
	v_fma_f64 v[34:35], v[36:37], v[42:43], v[34:35]
	v_add_f64_e32 v[78:79], v[34:35], v[50:51]
	ds_load_b128 v[34:37], v57 offset:8672
	s_wait_dscnt 0x0
	v_mul_f64_e32 v[2:3], v[36:37], v[40:41]
	v_mul_f64_e32 v[40:41], v[34:35], v[40:41]
	s_delay_alu instid0(VALU_DEP_2) | instskip(NEXT) | instid1(VALU_DEP_2)
	v_fma_f64 v[2:3], v[34:35], v[38:39], -v[2:3]
	v_fma_f64 v[38:39], v[36:37], v[38:39], v[40:41]
	s_delay_alu instid0(VALU_DEP_2) | instskip(SKIP_1) | instid1(VALU_DEP_3)
	v_add_f64_e32 v[80:81], v[70:71], v[2:3]
	v_mul_f64_e32 v[2:3], v[36:37], v[44:45]
	v_add_f64_e32 v[82:83], v[38:39], v[72:73]
	s_delay_alu instid0(VALU_DEP_2) | instskip(SKIP_1) | instid1(VALU_DEP_2)
	v_fma_f64 v[2:3], v[34:35], v[42:43], -v[2:3]
	v_mul_f64_e32 v[34:35], v[34:35], v[44:45]
	v_add_f64_e32 v[2:3], v[48:49], v[2:3]
	s_delay_alu instid0(VALU_DEP_2) | instskip(NEXT) | instid1(VALU_DEP_1)
	v_fma_f64 v[34:35], v[36:37], v[42:43], v[34:35]
	v_add_f64_e32 v[46:47], v[34:35], v[46:47]
	ds_load_b128 v[34:37], v57 offset:496
	ds_load_b128 v[38:41], v58 offset:15872
	;; [unrolled: 1-line block ×3, first 2 shown]
	s_wait_dscnt 0x1
	v_mul_f64_e32 v[42:43], v[36:37], v[40:41]
	s_wait_dscnt 0x0
	v_mul_f64_e32 v[70:71], v[36:37], v[50:51]
	v_mul_f64_e32 v[44:45], v[34:35], v[40:41]
	s_delay_alu instid0(VALU_DEP_3) | instskip(NEXT) | instid1(VALU_DEP_3)
	v_fma_f64 v[42:43], v[34:35], v[38:39], -v[42:43]
	v_fma_f64 v[70:71], v[34:35], v[48:49], -v[70:71]
	v_mul_f64_e32 v[34:35], v[34:35], v[50:51]
	s_delay_alu instid0(VALU_DEP_4) | instskip(NEXT) | instid1(VALU_DEP_4)
	v_fma_f64 v[44:45], v[36:37], v[38:39], v[44:45]
	v_add_f64_e32 v[42:43], v[76:77], v[42:43]
	s_delay_alu instid0(VALU_DEP_3)
	v_fma_f64 v[36:37], v[36:37], v[48:49], v[34:35]
	v_add_f64_e32 v[34:35], v[52:53], v[70:71]
	ds_load_b128 v[70:73], v57 offset:8688
	v_add_f64_e32 v[44:45], v[44:45], v[74:75]
	s_wait_loadcnt_dscnt 0x0
	s_barrier_signal -1
	s_barrier_wait -1
	global_inv scope:SCOPE_SE
	v_mul_f64_e32 v[52:53], v[72:73], v[40:41]
	v_mul_f64_e32 v[40:41], v[70:71], v[40:41]
	v_add_f64_e32 v[36:37], v[36:37], v[78:79]
	s_delay_alu instid0(VALU_DEP_3) | instskip(NEXT) | instid1(VALU_DEP_3)
	v_fma_f64 v[52:53], v[70:71], v[38:39], -v[52:53]
	v_fma_f64 v[40:41], v[72:73], v[38:39], v[40:41]
	s_delay_alu instid0(VALU_DEP_2) | instskip(SKIP_2) | instid1(VALU_DEP_4)
	v_add_f64_e32 v[38:39], v[80:81], v[52:53]
	v_mul_f64_e32 v[52:53], v[72:73], v[50:51]
	v_mul_f64_e32 v[50:51], v[70:71], v[50:51]
	v_add_f64_e32 v[40:41], v[40:41], v[82:83]
	s_delay_alu instid0(VALU_DEP_3) | instskip(NEXT) | instid1(VALU_DEP_3)
	v_fma_f64 v[52:53], v[70:71], v[48:49], -v[52:53]
	v_fma_f64 v[50:51], v[72:73], v[48:49], v[50:51]
	s_delay_alu instid0(VALU_DEP_2) | instskip(NEXT) | instid1(VALU_DEP_2)
	v_add_f64_e32 v[48:49], v[2:3], v[52:53]
	v_add_f64_e32 v[46:47], v[50:51], v[46:47]
	s_cbranch_scc1 .LBB123_58
.LBB123_10:                             ;   Parent Loop BB123_4 Depth=1
                                        ;     Parent Loop BB123_7 Depth=2
                                        ; =>    This Inner Loop Header: Depth=3
	s_wait_alu 0xfffe
	v_add_co_u32 v50, s5, v54, s40
	s_wait_alu 0xf1ff
	v_add_co_ci_u32_e64 v51, null, 0, s41, s5
	v_cmp_eq_u64_e64 s7, s[40:41], v[26:27]
	s_delay_alu instid0(VALU_DEP_2)
	v_cmp_gt_i64_e64 s5, v[50:51], v[18:19]
	v_cmp_le_i64_e64 s6, s[46:47], v[50:51]
	s_and_b32 s58, s52, s7
	v_add_co_u32 v52, s7, v20, v56
	s_or_b32 s8, vcc_lo, s5
	v_add_co_ci_u32_e64 v53, null, 0, v21, s7
	s_wait_alu 0xfffe
	s_or_b32 s7, s8, s58
	s_wait_alu 0xfffe
	s_nor_b32 s7, s6, s7
	s_wait_alu 0xfffe
	s_and_saveexec_b32 s8, s7
	s_wait_alu 0xfffe
	s_xor_b32 s7, exec_lo, s8
	s_cbranch_execz .LBB123_12
; %bb.11:                               ;   in Loop: Header=BB123_10 Depth=3
	global_load_b128 v[70:73], v[52:53], off offset:-256
	s_wait_loadcnt 0x0
	ds_store_2addr_b64 v59, v[70:71], v[72:73] offset1:1
.LBB123_12:                             ;   in Loop: Header=BB123_10 Depth=3
	s_wait_alu 0xfffe
	s_or_saveexec_b32 s7, s7
	s_xor_b32 s57, s58, -1
	s_wait_alu 0xfffe
	s_xor_b32 exec_lo, exec_lo, s7
	s_cbranch_execz .LBB123_18
; %bb.13:                               ;   in Loop: Header=BB123_10 Depth=3
	s_and_saveexec_b32 s8, s57
	s_wait_alu 0xfffe
	s_xor_b32 s8, exec_lo, s8
; %bb.14:                               ;   in Loop: Header=BB123_10 Depth=3
	v_dual_mov_b32 v70, v0 :: v_dual_mov_b32 v71, v0
	v_dual_mov_b32 v72, v0 :: v_dual_mov_b32 v73, v0
	ds_store_b128 v59, v[70:73]
; %bb.15:                               ;   in Loop: Header=BB123_10 Depth=3
	s_wait_alu 0xfffe
	s_and_not1_saveexec_b32 s8, s8
; %bb.16:                               ;   in Loop: Header=BB123_10 Depth=3
	v_dual_mov_b32 v2, v0 :: v_dual_mov_b32 v3, v0
	ds_store_b128 v59, v[0:3]
; %bb.17:                               ;   in Loop: Header=BB123_10 Depth=3
	s_wait_alu 0xfffe
	s_or_b32 exec_lo, exec_lo, s8
.LBB123_18:                             ;   in Loop: Header=BB123_10 Depth=3
	s_delay_alu instid0(SALU_CYCLE_1) | instskip(SKIP_4) | instid1(VALU_DEP_2)
	s_or_b32 exec_lo, exec_lo, s7
	v_add_co_u32 v2, s7, v50, 16
	s_wait_alu 0xf1ff
	v_add_co_ci_u32_e64 v3, null, 0, v51, s7
	v_cmp_eq_u64_e64 s8, s[40:41], v[30:31]
	v_cmp_gt_i64_e64 s9, v[2:3], v[18:19]
	v_cmp_le_i64_e64 s7, s[46:47], v[2:3]
	s_and_b32 s59, s52, s8
	s_or_b32 s8, vcc_lo, s9
	s_wait_alu 0xfffe
	s_or_b32 s8, s8, s59
	s_wait_alu 0xfffe
	s_nor_b32 s8, s7, s8
	s_wait_alu 0xfffe
	s_and_saveexec_b32 s9, s8
	s_wait_alu 0xfffe
	s_xor_b32 s8, exec_lo, s9
	s_cbranch_execz .LBB123_20
; %bb.19:                               ;   in Loop: Header=BB123_10 Depth=3
	global_load_b128 v[70:73], v[52:53], off
	s_wait_loadcnt 0x0
	ds_store_2addr_b64 v61, v[70:71], v[72:73] offset1:1
.LBB123_20:                             ;   in Loop: Header=BB123_10 Depth=3
	s_wait_alu 0xfffe
	s_and_not1_saveexec_b32 s8, s8
	s_cbranch_execz .LBB123_26
; %bb.21:                               ;   in Loop: Header=BB123_10 Depth=3
	s_xor_b32 s9, s59, -1
	s_wait_alu 0xfffe
	s_and_saveexec_b32 s59, s9
	s_delay_alu instid0(SALU_CYCLE_1)
	s_xor_b32 s9, exec_lo, s59
; %bb.22:                               ;   in Loop: Header=BB123_10 Depth=3
	v_dual_mov_b32 v70, v0 :: v_dual_mov_b32 v71, v0
	v_dual_mov_b32 v72, v0 :: v_dual_mov_b32 v73, v0
	ds_store_b128 v59, v[70:73] offset:256
; %bb.23:                               ;   in Loop: Header=BB123_10 Depth=3
	s_wait_alu 0xfffe
	s_and_not1_saveexec_b32 s9, s9
; %bb.24:                               ;   in Loop: Header=BB123_10 Depth=3
	v_dual_mov_b32 v2, v0 :: v_dual_mov_b32 v3, v0
	ds_store_b128 v59, v[0:3] offset:256
; %bb.25:                               ;   in Loop: Header=BB123_10 Depth=3
	s_wait_alu 0xfffe
	s_or_b32 exec_lo, exec_lo, s9
.LBB123_26:                             ;   in Loop: Header=BB123_10 Depth=3
	s_wait_alu 0xfffe
	s_or_b32 exec_lo, exec_lo, s8
	v_cmp_eq_u64_e64 s8, s[40:41], v[28:29]
	v_cmp_gt_i64_e64 s9, v[50:51], v[24:25]
	s_and_b32 s59, s52, s8
	v_add_co_u32 v50, s8, v22, v56
	s_or_b32 s9, s4, s9
	v_add_co_ci_u32_e64 v51, null, 0, v23, s8
	s_wait_alu 0xfffe
	s_or_b32 s8, s9, s59
	s_wait_alu 0xfffe
	s_nor_b32 s6, s6, s8
	s_wait_alu 0xfffe
	s_and_saveexec_b32 s8, s6
	s_wait_alu 0xfffe
	s_xor_b32 s6, exec_lo, s8
	s_cbranch_execz .LBB123_28
; %bb.27:                               ;   in Loop: Header=BB123_10 Depth=3
	global_load_b128 v[70:73], v[50:51], off offset:-256
	s_wait_loadcnt 0x0
	ds_store_2addr_b64 v62, v[70:71], v[72:73] offset1:1
.LBB123_28:                             ;   in Loop: Header=BB123_10 Depth=3
	s_wait_alu 0xfffe
	s_and_not1_saveexec_b32 s6, s6
	s_cbranch_execz .LBB123_34
; %bb.29:                               ;   in Loop: Header=BB123_10 Depth=3
	s_xor_b32 s8, s59, -1
	s_wait_alu 0xfffe
	s_and_saveexec_b32 s9, s8
	s_wait_alu 0xfffe
	s_xor_b32 s8, exec_lo, s9
; %bb.30:                               ;   in Loop: Header=BB123_10 Depth=3
	v_dual_mov_b32 v70, v0 :: v_dual_mov_b32 v71, v0
	v_dual_mov_b32 v72, v0 :: v_dual_mov_b32 v73, v0
	ds_store_b128 v59, v[70:73] offset:8192
; %bb.31:                               ;   in Loop: Header=BB123_10 Depth=3
	s_wait_alu 0xfffe
	s_and_not1_saveexec_b32 s8, s8
; %bb.32:                               ;   in Loop: Header=BB123_10 Depth=3
	v_dual_mov_b32 v2, v0 :: v_dual_mov_b32 v3, v0
	ds_store_b128 v59, v[0:3] offset:8192
; %bb.33:                               ;   in Loop: Header=BB123_10 Depth=3
	s_wait_alu 0xfffe
	s_or_b32 exec_lo, exec_lo, s8
.LBB123_34:                             ;   in Loop: Header=BB123_10 Depth=3
	s_wait_alu 0xfffe
	s_or_b32 exec_lo, exec_lo, s6
	s_or_b32 s5, s4, s5
	s_wait_alu 0xfffe
	s_or_b32 s5, s5, s58
	s_wait_alu 0xfffe
	s_nor_b32 s5, s7, s5
	s_wait_alu 0xfffe
	s_and_saveexec_b32 s6, s5
	s_wait_alu 0xfffe
	s_xor_b32 s5, exec_lo, s6
	s_cbranch_execz .LBB123_36
; %bb.35:                               ;   in Loop: Header=BB123_10 Depth=3
	global_load_b128 v[50:53], v[50:51], off
	s_wait_loadcnt 0x0
	ds_store_2addr_b64 v63, v[50:51], v[52:53] offset1:1
.LBB123_36:                             ;   in Loop: Header=BB123_10 Depth=3
	s_wait_alu 0xfffe
	s_and_not1_saveexec_b32 s5, s5
	s_cbranch_execz .LBB123_42
; %bb.37:                               ;   in Loop: Header=BB123_10 Depth=3
	s_and_saveexec_b32 s6, s57
	s_wait_alu 0xfffe
	s_xor_b32 s6, exec_lo, s6
; %bb.38:                               ;   in Loop: Header=BB123_10 Depth=3
	v_dual_mov_b32 v50, v0 :: v_dual_mov_b32 v51, v0
	v_dual_mov_b32 v52, v0 :: v_dual_mov_b32 v53, v0
	ds_store_b128 v59, v[50:53] offset:8448
; %bb.39:                               ;   in Loop: Header=BB123_10 Depth=3
	s_wait_alu 0xfffe
	s_and_not1_saveexec_b32 s6, s6
; %bb.40:                               ;   in Loop: Header=BB123_10 Depth=3
	v_dual_mov_b32 v2, v0 :: v_dual_mov_b32 v3, v0
	ds_store_b128 v59, v[0:3] offset:8448
; %bb.41:                               ;   in Loop: Header=BB123_10 Depth=3
	s_wait_alu 0xfffe
	s_or_b32 exec_lo, exec_lo, s6
.LBB123_42:                             ;   in Loop: Header=BB123_10 Depth=3
	s_wait_alu 0xfffe
	s_or_b32 exec_lo, exec_lo, s5
	v_add_co_u32 v2, s5, v55, s40
	s_wait_alu 0xf1ff
	v_add_co_ci_u32_e64 v3, null, 0, s41, s5
	v_add_co_u32 v50, s6, v32, v8
	s_wait_alu 0xf1ff
	v_add_co_ci_u32_e64 v51, null, v33, v9, s6
	s_delay_alu instid0(VALU_DEP_3)
	v_cmp_le_i64_e64 s5, s[46:47], v[2:3]
	s_nor_b32 s6, s5, s0
	s_wait_alu 0xfffe
	s_and_saveexec_b32 s7, s6
	s_wait_alu 0xfffe
	s_xor_b32 s6, exec_lo, s7
	s_cbranch_execz .LBB123_44
; %bb.43:                               ;   in Loop: Header=BB123_10 Depth=3
	global_load_b128 v[70:73], v[50:51], off offset:-256
	s_wait_loadcnt 0x0
	ds_store_2addr_b64 v60, v[70:71], v[72:73] offset1:1
.LBB123_44:                             ;   in Loop: Header=BB123_10 Depth=3
	s_wait_alu 0xfffe
	s_and_not1_saveexec_b32 s6, s6
; %bb.45:                               ;   in Loop: Header=BB123_10 Depth=3
	v_dual_mov_b32 v70, v0 :: v_dual_mov_b32 v71, v0
	v_dual_mov_b32 v72, v0 :: v_dual_mov_b32 v73, v0
	ds_store_b128 v60, v[70:73]
; %bb.46:                               ;   in Loop: Header=BB123_10 Depth=3
	s_wait_alu 0xfffe
	s_or_b32 exec_lo, exec_lo, s6
	s_nor_b32 s5, s5, s1
	s_wait_alu 0xfffe
	s_and_saveexec_b32 s6, s5
	s_wait_alu 0xfffe
	s_xor_b32 s5, exec_lo, s6
	s_cbranch_execz .LBB123_48
; %bb.47:                               ;   in Loop: Header=BB123_10 Depth=3
	global_load_b128 v[50:53], v[50:51], off
	s_wait_loadcnt 0x0
	ds_store_2addr_b64 v64, v[50:51], v[52:53] offset1:1
.LBB123_48:                             ;   in Loop: Header=BB123_10 Depth=3
	s_wait_alu 0xfffe
	s_and_not1_saveexec_b32 s5, s5
; %bb.49:                               ;   in Loop: Header=BB123_10 Depth=3
	v_dual_mov_b32 v50, v0 :: v_dual_mov_b32 v51, v0
	v_dual_mov_b32 v52, v0 :: v_dual_mov_b32 v53, v0
	ds_store_b128 v60, v[50:53] offset:256
; %bb.50:                               ;   in Loop: Header=BB123_10 Depth=3
	s_wait_alu 0xfffe
	s_or_b32 exec_lo, exec_lo, s5
	v_cmp_le_i64_e64 s5, s[48:49], v[2:3]
	v_add_co_u32 v2, s6, v32, v4
	s_wait_alu 0xf1ff
	v_add_co_ci_u32_e64 v3, null, v33, v5, s6
	s_nor_b32 s6, s5, s0
	s_wait_alu 0xfffe
	s_and_saveexec_b32 s7, s6
	s_wait_alu 0xfffe
	s_xor_b32 s6, exec_lo, s7
	s_cbranch_execz .LBB123_52
; %bb.51:                               ;   in Loop: Header=BB123_10 Depth=3
	global_load_b128 v[50:53], v[2:3], off offset:-256
	s_wait_loadcnt 0x0
	ds_store_2addr_b64 v65, v[50:51], v[52:53] offset1:1
.LBB123_52:                             ;   in Loop: Header=BB123_10 Depth=3
	s_wait_alu 0xfffe
	s_and_not1_saveexec_b32 s6, s6
; %bb.53:                               ;   in Loop: Header=BB123_10 Depth=3
	v_dual_mov_b32 v50, v0 :: v_dual_mov_b32 v51, v0
	v_dual_mov_b32 v52, v0 :: v_dual_mov_b32 v53, v0
	ds_store_b128 v60, v[50:53] offset:8192
; %bb.54:                               ;   in Loop: Header=BB123_10 Depth=3
	s_wait_alu 0xfffe
	s_or_b32 exec_lo, exec_lo, s6
	s_nor_b32 s5, s5, s1
	s_wait_alu 0xfffe
	s_and_saveexec_b32 s6, s5
	s_wait_alu 0xfffe
	s_xor_b32 s5, exec_lo, s6
	s_cbranch_execz .LBB123_56
; %bb.55:                               ;   in Loop: Header=BB123_10 Depth=3
	global_load_b128 v[50:53], v[2:3], off
	s_wait_loadcnt 0x0
	ds_store_2addr_b64 v66, v[50:51], v[52:53] offset1:1
.LBB123_56:                             ;   in Loop: Header=BB123_10 Depth=3
	s_wait_alu 0xfffe
	s_and_not1_saveexec_b32 s5, s5
	s_cbranch_execz .LBB123_9
; %bb.57:                               ;   in Loop: Header=BB123_10 Depth=3
	v_dual_mov_b32 v50, v0 :: v_dual_mov_b32 v51, v0
	v_dual_mov_b32 v52, v0 :: v_dual_mov_b32 v53, v0
	ds_store_b128 v60, v[50:53] offset:8448
	s_branch .LBB123_9
.LBB123_58:                             ;   in Loop: Header=BB123_7 Depth=2
	v_mul_lo_u32 v17, s29, v18
	s_delay_alu instid0(VALU_DEP_2) | instskip(SKIP_2) | instid1(VALU_DEP_2)
	v_mul_lo_u32 v19, s28, v19
	v_mad_co_u64_u32 v[2:3], null, s28, v18, 0
	v_cmp_gt_i32_e32 vcc_lo, s42, v18
	v_add3_u32 v3, v3, v19, v17
	s_delay_alu instid0(VALU_DEP_1) | instskip(NEXT) | instid1(VALU_DEP_1)
	v_lshlrev_b64_e32 v[2:3], 4, v[2:3]
	v_add_co_u32 v2, s4, s20, v2
	s_wait_alu 0xf1ff
	s_delay_alu instid0(VALU_DEP_2)
	v_add_co_ci_u32_e64 v3, null, s21, v3, s4
	s_and_b32 s4, s2, vcc_lo
	s_wait_alu 0xfffe
	s_and_saveexec_b32 s5, s4
	s_cbranch_execz .LBB123_60
; %bb.59:                               ;   in Loop: Header=BB123_7 Depth=2
	v_add_co_u32 v23, s4, v2, v6
	s_wait_alu 0xf1ff
	v_add_co_ci_u32_e64 v24, null, v3, v7, s4
	v_mul_f64_e32 v[25:26], s[38:39], v[44:45]
	v_mul_f64_e32 v[27:28], s[36:37], v[44:45]
	global_load_b128 v[19:22], v[23:24], off
	v_fma_f64 v[25:26], s[36:37], v[42:43], -v[25:26]
	v_fma_f64 v[27:28], s[38:39], v[42:43], v[27:28]
	s_wait_loadcnt 0x0
	s_delay_alu instid0(VALU_DEP_2) | instskip(NEXT) | instid1(VALU_DEP_2)
	v_add_f64_e32 v[19:20], v[19:20], v[25:26]
	v_add_f64_e32 v[21:22], v[27:28], v[21:22]
	global_store_b128 v[23:24], v[19:22], off
.LBB123_60:                             ;   in Loop: Header=BB123_7 Depth=2
	s_wait_alu 0xfffe
	s_or_b32 exec_lo, exec_lo, s5
	s_and_b32 s5, s3, vcc_lo
	s_wait_alu 0xfffe
	s_and_saveexec_b32 s4, s5
	s_cbranch_execz .LBB123_62
; %bb.61:                               ;   in Loop: Header=BB123_7 Depth=2
	v_add_co_u32 v2, vcc_lo, v2, v12
	s_wait_alu 0xfffd
	v_add_co_ci_u32_e64 v3, null, v3, v13, vcc_lo
	v_mul_f64_e32 v[23:24], s[38:39], v[36:37]
	v_mul_f64_e32 v[25:26], s[36:37], v[36:37]
	global_load_b128 v[19:22], v[2:3], off
	v_fma_f64 v[23:24], s[36:37], v[34:35], -v[23:24]
	v_fma_f64 v[25:26], s[38:39], v[34:35], v[25:26]
	s_wait_loadcnt 0x0
	s_delay_alu instid0(VALU_DEP_2) | instskip(NEXT) | instid1(VALU_DEP_2)
	v_add_f64_e32 v[19:20], v[19:20], v[23:24]
	v_add_f64_e32 v[21:22], v[25:26], v[21:22]
	global_store_b128 v[2:3], v[19:22], off
.LBB123_62:                             ;   in Loop: Header=BB123_7 Depth=2
	s_wait_alu 0xfffe
	s_or_b32 exec_lo, exec_lo, s4
	v_add_nc_u32_e32 v17, 16, v18
	s_delay_alu instid0(VALU_DEP_1) | instskip(SKIP_3) | instid1(VALU_DEP_4)
	v_ashrrev_i32_e32 v18, 31, v17
	v_mul_lo_u32 v19, s29, v17
	v_mad_co_u64_u32 v[2:3], null, s28, v17, 0
	v_cmp_gt_i32_e32 vcc_lo, s42, v17
	v_mul_lo_u32 v18, s28, v18
	s_delay_alu instid0(VALU_DEP_1) | instskip(NEXT) | instid1(VALU_DEP_1)
	v_add3_u32 v3, v3, v18, v19
	v_lshlrev_b64_e32 v[2:3], 4, v[2:3]
	s_delay_alu instid0(VALU_DEP_1) | instskip(SKIP_1) | instid1(VALU_DEP_2)
	v_add_co_u32 v2, s4, s20, v2
	s_wait_alu 0xf1ff
	v_add_co_ci_u32_e64 v3, null, s21, v3, s4
	s_and_b32 s4, s2, vcc_lo
	s_wait_alu 0xfffe
	s_and_saveexec_b32 s5, s4
	s_cbranch_execz .LBB123_64
; %bb.63:                               ;   in Loop: Header=BB123_7 Depth=2
	v_add_co_u32 v21, s4, v2, v6
	s_wait_alu 0xf1ff
	v_add_co_ci_u32_e64 v22, null, v3, v7, s4
	v_mul_f64_e32 v[23:24], s[38:39], v[40:41]
	v_mul_f64_e32 v[25:26], s[36:37], v[40:41]
	global_load_b128 v[17:20], v[21:22], off
	v_fma_f64 v[23:24], s[36:37], v[38:39], -v[23:24]
	v_fma_f64 v[25:26], s[38:39], v[38:39], v[25:26]
	s_wait_loadcnt 0x0
	s_delay_alu instid0(VALU_DEP_2) | instskip(NEXT) | instid1(VALU_DEP_2)
	v_add_f64_e32 v[17:18], v[17:18], v[23:24]
	v_add_f64_e32 v[19:20], v[25:26], v[19:20]
	global_store_b128 v[21:22], v[17:20], off
.LBB123_64:                             ;   in Loop: Header=BB123_7 Depth=2
	s_wait_alu 0xfffe
	s_or_b32 exec_lo, exec_lo, s5
	s_and_b32 s5, s3, vcc_lo
	s_wait_alu 0xfffe
	s_and_saveexec_b32 s4, s5
	s_cbranch_execz .LBB123_6
; %bb.65:                               ;   in Loop: Header=BB123_7 Depth=2
	v_add_co_u32 v2, vcc_lo, v2, v12
	s_wait_alu 0xfffd
	v_add_co_ci_u32_e64 v3, null, v3, v13, vcc_lo
	v_mul_f64_e32 v[21:22], s[38:39], v[46:47]
	v_mul_f64_e32 v[23:24], s[36:37], v[46:47]
	global_load_b128 v[17:20], v[2:3], off
	v_fma_f64 v[21:22], s[36:37], v[48:49], -v[21:22]
	v_fma_f64 v[23:24], s[38:39], v[48:49], v[23:24]
	s_wait_loadcnt 0x0
	s_delay_alu instid0(VALU_DEP_2) | instskip(NEXT) | instid1(VALU_DEP_2)
	v_add_f64_e32 v[17:18], v[17:18], v[21:22]
	v_add_f64_e32 v[19:20], v[23:24], v[19:20]
	global_store_b128 v[2:3], v[17:20], off
	s_branch .LBB123_6
.LBB123_66:
	s_endpgm
	.section	.rodata,"a",@progbits
	.p2align	6, 0x0
	.amdhsa_kernel _ZL30rocblas_trmm_outofplace_kernelI19rocblas_complex_numIdELi32ELi2ELb0ELb1ELb0ELb0ES1_KS1_S1_Ev17rocblas_diagonal_iiT6_lPT7_lllS6_lllPT8_llli
		.amdhsa_group_segment_fixed_size 32768
		.amdhsa_private_segment_fixed_size 0
		.amdhsa_kernarg_size 400
		.amdhsa_user_sgpr_count 2
		.amdhsa_user_sgpr_dispatch_ptr 0
		.amdhsa_user_sgpr_queue_ptr 0
		.amdhsa_user_sgpr_kernarg_segment_ptr 1
		.amdhsa_user_sgpr_dispatch_id 0
		.amdhsa_user_sgpr_private_segment_size 0
		.amdhsa_wavefront_size32 1
		.amdhsa_uses_dynamic_stack 0
		.amdhsa_enable_private_segment 0
		.amdhsa_system_sgpr_workgroup_id_x 1
		.amdhsa_system_sgpr_workgroup_id_y 1
		.amdhsa_system_sgpr_workgroup_id_z 1
		.amdhsa_system_sgpr_workgroup_info 0
		.amdhsa_system_vgpr_workitem_id 1
		.amdhsa_next_free_vgpr 90
		.amdhsa_next_free_sgpr 60
		.amdhsa_reserve_vcc 1
		.amdhsa_float_round_mode_32 0
		.amdhsa_float_round_mode_16_64 0
		.amdhsa_float_denorm_mode_32 3
		.amdhsa_float_denorm_mode_16_64 3
		.amdhsa_fp16_overflow 0
		.amdhsa_workgroup_processor_mode 1
		.amdhsa_memory_ordered 1
		.amdhsa_forward_progress 1
		.amdhsa_inst_pref_size 75
		.amdhsa_round_robin_scheduling 0
		.amdhsa_exception_fp_ieee_invalid_op 0
		.amdhsa_exception_fp_denorm_src 0
		.amdhsa_exception_fp_ieee_div_zero 0
		.amdhsa_exception_fp_ieee_overflow 0
		.amdhsa_exception_fp_ieee_underflow 0
		.amdhsa_exception_fp_ieee_inexact 0
		.amdhsa_exception_int_div_zero 0
	.end_amdhsa_kernel
	.section	.text._ZL30rocblas_trmm_outofplace_kernelI19rocblas_complex_numIdELi32ELi2ELb0ELb1ELb0ELb0ES1_KS1_S1_Ev17rocblas_diagonal_iiT6_lPT7_lllS6_lllPT8_llli,"axG",@progbits,_ZL30rocblas_trmm_outofplace_kernelI19rocblas_complex_numIdELi32ELi2ELb0ELb1ELb0ELb0ES1_KS1_S1_Ev17rocblas_diagonal_iiT6_lPT7_lllS6_lllPT8_llli,comdat
.Lfunc_end123:
	.size	_ZL30rocblas_trmm_outofplace_kernelI19rocblas_complex_numIdELi32ELi2ELb0ELb1ELb0ELb0ES1_KS1_S1_Ev17rocblas_diagonal_iiT6_lPT7_lllS6_lllPT8_llli, .Lfunc_end123-_ZL30rocblas_trmm_outofplace_kernelI19rocblas_complex_numIdELi32ELi2ELb0ELb1ELb0ELb0ES1_KS1_S1_Ev17rocblas_diagonal_iiT6_lPT7_lllS6_lllPT8_llli
                                        ; -- End function
	.set _ZL30rocblas_trmm_outofplace_kernelI19rocblas_complex_numIdELi32ELi2ELb0ELb1ELb0ELb0ES1_KS1_S1_Ev17rocblas_diagonal_iiT6_lPT7_lllS6_lllPT8_llli.num_vgpr, 90
	.set _ZL30rocblas_trmm_outofplace_kernelI19rocblas_complex_numIdELi32ELi2ELb0ELb1ELb0ELb0ES1_KS1_S1_Ev17rocblas_diagonal_iiT6_lPT7_lllS6_lllPT8_llli.num_agpr, 0
	.set _ZL30rocblas_trmm_outofplace_kernelI19rocblas_complex_numIdELi32ELi2ELb0ELb1ELb0ELb0ES1_KS1_S1_Ev17rocblas_diagonal_iiT6_lPT7_lllS6_lllPT8_llli.numbered_sgpr, 60
	.set _ZL30rocblas_trmm_outofplace_kernelI19rocblas_complex_numIdELi32ELi2ELb0ELb1ELb0ELb0ES1_KS1_S1_Ev17rocblas_diagonal_iiT6_lPT7_lllS6_lllPT8_llli.num_named_barrier, 0
	.set _ZL30rocblas_trmm_outofplace_kernelI19rocblas_complex_numIdELi32ELi2ELb0ELb1ELb0ELb0ES1_KS1_S1_Ev17rocblas_diagonal_iiT6_lPT7_lllS6_lllPT8_llli.private_seg_size, 0
	.set _ZL30rocblas_trmm_outofplace_kernelI19rocblas_complex_numIdELi32ELi2ELb0ELb1ELb0ELb0ES1_KS1_S1_Ev17rocblas_diagonal_iiT6_lPT7_lllS6_lllPT8_llli.uses_vcc, 1
	.set _ZL30rocblas_trmm_outofplace_kernelI19rocblas_complex_numIdELi32ELi2ELb0ELb1ELb0ELb0ES1_KS1_S1_Ev17rocblas_diagonal_iiT6_lPT7_lllS6_lllPT8_llli.uses_flat_scratch, 0
	.set _ZL30rocblas_trmm_outofplace_kernelI19rocblas_complex_numIdELi32ELi2ELb0ELb1ELb0ELb0ES1_KS1_S1_Ev17rocblas_diagonal_iiT6_lPT7_lllS6_lllPT8_llli.has_dyn_sized_stack, 0
	.set _ZL30rocblas_trmm_outofplace_kernelI19rocblas_complex_numIdELi32ELi2ELb0ELb1ELb0ELb0ES1_KS1_S1_Ev17rocblas_diagonal_iiT6_lPT7_lllS6_lllPT8_llli.has_recursion, 0
	.set _ZL30rocblas_trmm_outofplace_kernelI19rocblas_complex_numIdELi32ELi2ELb0ELb1ELb0ELb0ES1_KS1_S1_Ev17rocblas_diagonal_iiT6_lPT7_lllS6_lllPT8_llli.has_indirect_call, 0
	.section	.AMDGPU.csdata,"",@progbits
; Kernel info:
; codeLenInByte = 9552
; TotalNumSgprs: 62
; NumVgprs: 90
; ScratchSize: 0
; MemoryBound: 0
; FloatMode: 240
; IeeeMode: 1
; LDSByteSize: 32768 bytes/workgroup (compile time only)
; SGPRBlocks: 0
; VGPRBlocks: 11
; NumSGPRsForWavesPerEU: 62
; NumVGPRsForWavesPerEU: 90
; Occupancy: 16
; WaveLimiterHint : 0
; COMPUTE_PGM_RSRC2:SCRATCH_EN: 0
; COMPUTE_PGM_RSRC2:USER_SGPR: 2
; COMPUTE_PGM_RSRC2:TRAP_HANDLER: 0
; COMPUTE_PGM_RSRC2:TGID_X_EN: 1
; COMPUTE_PGM_RSRC2:TGID_Y_EN: 1
; COMPUTE_PGM_RSRC2:TGID_Z_EN: 1
; COMPUTE_PGM_RSRC2:TIDIG_COMP_CNT: 1
	.section	.text._ZL30rocblas_trmm_outofplace_kernelI19rocblas_complex_numIdELi32ELi2ELb0ELb0ELb1ELb0EPKS1_S2_S1_Ev17rocblas_diagonal_iiT6_lPT7_lllS7_lllPT8_llli,"axG",@progbits,_ZL30rocblas_trmm_outofplace_kernelI19rocblas_complex_numIdELi32ELi2ELb0ELb0ELb1ELb0EPKS1_S2_S1_Ev17rocblas_diagonal_iiT6_lPT7_lllS7_lllPT8_llli,comdat
	.globl	_ZL30rocblas_trmm_outofplace_kernelI19rocblas_complex_numIdELi32ELi2ELb0ELb0ELb1ELb0EPKS1_S2_S1_Ev17rocblas_diagonal_iiT6_lPT7_lllS7_lllPT8_llli ; -- Begin function _ZL30rocblas_trmm_outofplace_kernelI19rocblas_complex_numIdELi32ELi2ELb0ELb0ELb1ELb0EPKS1_S2_S1_Ev17rocblas_diagonal_iiT6_lPT7_lllS7_lllPT8_llli
	.p2align	8
	.type	_ZL30rocblas_trmm_outofplace_kernelI19rocblas_complex_numIdELi32ELi2ELb0ELb0ELb1ELb0EPKS1_S2_S1_Ev17rocblas_diagonal_iiT6_lPT7_lllS7_lllPT8_llli,@function
_ZL30rocblas_trmm_outofplace_kernelI19rocblas_complex_numIdELi32ELi2ELb0ELb0ELb1ELb0EPKS1_S2_S1_Ev17rocblas_diagonal_iiT6_lPT7_lllS7_lllPT8_llli: ; @_ZL30rocblas_trmm_outofplace_kernelI19rocblas_complex_numIdELi32ELi2ELb0ELb0ELb1ELb0EPKS1_S2_S1_Ev17rocblas_diagonal_iiT6_lPT7_lllS7_lllPT8_llli
; %bb.0:
	s_load_b32 s33, s[0:1], 0x80
	s_lshr_b32 s34, ttmp7, 16
	s_wait_kmcnt 0x0
	s_cmp_ge_u32 s34, s33
	s_cbranch_scc1 .LBB124_67
; %bb.1:
	s_clause 0x3
	s_load_b96 s[36:38], s[0:1], 0x0
	s_load_b256 s[4:11], s[0:1], 0x50
	s_load_b128 s[28:31], s[0:1], 0x70
	s_load_b512 s[12:27], s[0:1], 0x10
	s_add_nc_u64 s[40:41], s[0:1], 0x88
	v_and_b32_e32 v68, 0x3ff, v0
	s_and_b32 s39, ttmp7, 0xffff
	v_bfe_u32 v69, v0, 10, 10
	s_mov_b32 s35, 0
	s_delay_alu instid0(VALU_DEP_2) | instskip(NEXT) | instid1(VALU_DEP_2)
	v_lshl_add_u32 v1, ttmp9, 5, v68
	v_lshl_add_u32 v19, v69, 4, 0x100
	v_lshl_add_u32 v82, s39, 5, v69
	s_delay_alu instid0(VALU_DEP_3) | instskip(NEXT) | instid1(VALU_DEP_1)
	v_ashrrev_i32_e32 v2, 31, v1
	v_lshlrev_b64_e32 v[12:13], 4, v[1:2]
	s_wait_kmcnt 0x0
	s_add_co_i32 s0, s38, -1
	v_sub_co_u32 v5, vcc_lo, s37, v1
	s_wait_alu 0xfffe
	s_ashr_i32 s1, s0, 31
	v_mad_co_u64_u32 v[3:4], null, s4, v69, 0
	s_wait_alu 0xfffe
	s_lshr_b32 s1, s1, 27
	v_mad_co_u64_u32 v[16:17], null, s20, v68, 0
	s_wait_alu 0xfffe
	s_add_co_i32 s0, s0, s1
	s_wait_alu 0xfffe
	s_ashr_i32 s50, s0, 5
	s_lshl_b64 s[0:1], s[10:11], 4
	s_cmp_le_i32 s39, s50
	s_wait_alu 0xfffe
	s_add_nc_u64 s[42:43], s[8:9], s[0:1]
	s_cselect_b32 s51, -1, 0
	s_cmp_eq_u32 s36, 0x84
	s_mov_b32 s10, s38
	s_cselect_b32 s36, -1, 0
	s_ashr_i32 s2, s37, 31
	s_lshl_b64 s[18:19], s[18:19], 4
	v_sub_co_ci_u32_e64 v6, null, s2, v2, vcc_lo
	v_cmp_gt_i32_e64 s2, s37, v1
	s_add_nc_u64 s[16:17], s[16:17], s[18:19]
	s_ashr_i32 s11, s38, 31
	v_cmp_gt_i64_e64 s0, 1, v[5:6]
	v_cmp_gt_i64_e64 s1, 17, v[5:6]
	v_add_nc_u32_e32 v5, 16, v1
	s_lshl_b64 s[44:45], s[20:21], 9
	s_lshl_b64 s[46:47], s[4:5], 9
	s_add_nc_u64 s[48:49], s[10:11], -16
	s_lshl_b64 s[18:19], s[22:23], 4
	v_mad_co_u64_u32 v[7:8], null, s5, v69, v[4:5]
	v_mad_co_u64_u32 v[8:9], null, s4, v19, 0
	s_delay_alu instid0(VALU_DEP_2) | instskip(NEXT) | instid1(VALU_DEP_2)
	v_dual_mov_b32 v4, v7 :: v_dual_mov_b32 v7, v17
	v_dual_mov_b32 v1, v9 :: v_dual_lshlrev_b32 v18, 4, v68
	v_sub_co_u32 v80, s8, 0, v68
	s_delay_alu instid0(VALU_DEP_3) | instskip(NEXT) | instid1(VALU_DEP_3)
	v_mad_co_u64_u32 v[14:15], null, s21, v68, v[7:8]
	v_add_nc_u32_e32 v7, 0x100, v18
	v_lshlrev_b32_e32 v70, 9, v69
	v_sub_co_ci_u32_e64 v81, null, 0, 0, s8
	s_lshl_b64 s[8:9], s[26:27], 4
	v_mad_co_u64_u32 v[1:2], null, s5, v19, v[1:2]
	v_mov_b32_e32 v17, v14
	v_mad_co_u64_u32 v[14:15], null, s20, v7, s[16:17]
	s_wait_alu 0xfffe
	s_add_nc_u64 s[8:9], s[24:25], s[8:9]
	v_add_nc_u32_e32 v72, v70, v18
	s_wait_alu 0xfffe
	v_add_co_u32 v9, vcc_lo, s8, v12
	v_or_b32_e32 v71, 0x4000, v18
	v_lshlrev_b64_e32 v[10:11], 4, v[3:4]
	s_wait_alu 0xfffd
	v_add_co_ci_u32_e64 v18, null, s9, v13, vcc_lo
	v_lshlrev_b64_e32 v[2:3], 4, v[16:17]
	v_mov_b32_e32 v4, v15
	v_add_co_u32 v16, vcc_lo, 0x100, v9
	v_mov_b32_e32 v9, v1
	v_add_nc_u32_e32 v75, 0x2000, v72
	s_delay_alu instid0(VALU_DEP_4)
	v_mad_co_u64_u32 v[20:21], null, s21, v7, v[4:5]
	s_wait_alu 0xfffd
	v_add_co_ci_u32_e64 v17, null, 0, v18, vcc_lo
	v_add_co_u32 v2, vcc_lo, s16, v2
	v_ashrrev_i32_e32 v6, 31, v5
	v_dual_mov_b32 v0, 0 :: v_dual_add_nc_u32 v73, v71, v70
	s_wait_alu 0xfffd
	v_add_co_ci_u32_e64 v3, null, s17, v3, vcc_lo
	v_add_co_u32 v18, vcc_lo, 0x100, v2
	v_dual_mov_b32 v15, v20 :: v_dual_add_nc_u32 v74, 0x100, v72
	v_lshlrev_b64_e32 v[20:21], 4, v[5:6]
	v_add_nc_u32_e32 v76, 0x2100, v72
	v_add_nc_u32_e32 v77, 0x100, v73
	;; [unrolled: 1-line block ×4, first 2 shown]
	v_cmp_gt_i32_e64 s3, s37, v5
	s_wait_alu 0xfffd
	v_add_co_ci_u32_e64 v19, null, 0, v3, vcc_lo
	v_mov_b32_e32 v1, 0x3ff00000
	s_lshl_b64 s[16:17], s[6:7], 4
	s_branch .LBB124_4
.LBB124_2:                              ;   in Loop: Header=BB124_4 Depth=1
	s_add_co_i32 s34, s34, 0x10000
	s_wait_alu 0xfffe
	s_cmp_ge_u32 s34, s33
	s_cselect_b32 s4, -1, 0
.LBB124_3:                              ;   in Loop: Header=BB124_4 Depth=1
	s_wait_alu 0xfffe
	s_and_b32 vcc_lo, exec_lo, s4
	s_wait_alu 0xfffe
	s_cbranch_vccnz .LBB124_67
.LBB124_4:                              ; =>This Loop Header: Depth=1
                                        ;     Child Loop BB124_8 Depth 2
                                        ;       Child Loop BB124_11 Depth 3
	s_mul_u64 s[4:5], s[14:15], s[34:35]
	s_wait_alu 0xfffe
	s_lshl_b64 s[4:5], s[4:5], 4
	s_wait_alu 0xfffe
	s_add_nc_u64 s[4:5], s[12:13], s[4:5]
	global_load_b128 v[4:7], v0, s[4:5]
	s_wait_loadcnt 0x0
	v_cmp_eq_f64_e32 vcc_lo, 0, v[4:5]
	v_cmp_eq_f64_e64 s4, 0, v[6:7]
	s_wait_alu 0xfffe
	s_and_b32 s4, vcc_lo, s4
	s_wait_alu 0xfffe
	s_and_b32 vcc_lo, exec_lo, s4
	s_mov_b32 s4, -1
	s_wait_alu 0xfffe
	s_cbranch_vccnz .LBB124_3
; %bb.5:                                ;   in Loop: Header=BB124_4 Depth=1
	s_and_not1_b32 vcc_lo, exec_lo, s51
	s_wait_alu 0xfffe
	s_cbranch_vccnz .LBB124_2
; %bb.6:                                ;   in Loop: Header=BB124_4 Depth=1
	v_mad_co_u64_u32 v[22:23], null, s16, s34, v[16:17]
	s_load_b32 s24, s[40:41], 0x4
	v_mad_co_u64_u32 v[24:25], null, s18, s34, v[18:19]
	s_mul_i32 s6, s19, s34
	v_mad_co_u64_u32 v[26:27], null, s18, s34, v[14:15]
	v_mov_b32_e32 v2, v23
	s_mul_u64 s[4:5], s[30:31], s[34:35]
	s_wait_alu 0xfffe
	v_dual_mov_b32 v28, v82 :: v_dual_add_nc_u32 v25, s6, v25
	s_lshl_b64 s[4:5], s[4:5], 4
	v_mad_co_u64_u32 v[2:3], null, s17, s34, v[2:3]
	s_delay_alu instid0(VALU_DEP_4) | instskip(SKIP_3) | instid1(VALU_DEP_2)
	v_add_nc_u32_e32 v27, s6, v27
	s_wait_alu 0xfffe
	s_add_nc_u64 s[20:21], s[42:43], s[4:5]
	s_mov_b32 s26, s39
	v_mov_b32_e32 v23, v2
	s_wait_kmcnt 0x0
	s_lshl_b32 s25, s24, 5
	s_branch .LBB124_8
.LBB124_7:                              ;   in Loop: Header=BB124_8 Depth=2
	s_wait_alu 0xfffe
	s_or_b32 exec_lo, exec_lo, s4
	v_add_nc_u32_e32 v28, s25, v28
	s_add_co_i32 s26, s24, s26
	s_wait_alu 0xfffe
	s_cmp_gt_i32 s26, s50
	s_cbranch_scc1 .LBB124_2
.LBB124_8:                              ;   Parent Loop BB124_4 Depth=1
                                        ; =>  This Loop Header: Depth=2
                                        ;       Child Loop BB124_11 Depth 3
	s_wait_alu 0xfffe
	s_lshl_b32 s27, s26, 5
	v_mov_b32_e32 v56, 0
	s_wait_alu 0xfffe
	v_dual_mov_b32 v57, 0 :: v_dual_add_nc_u32 v30, s27, v69
	v_mov_b32_e32 v58, 0
	v_mov_b32_e32 v48, 0
	;; [unrolled: 1-line block ×6, first 2 shown]
	v_dual_mov_b32 v60, 0 :: v_dual_mov_b32 v59, 0
	v_mov_b32_e32 v49, 0
	v_mov_b32_e32 v51, 0
	;; [unrolled: 1-line block ×6, first 2 shown]
	v_ashrrev_i32_e32 v31, 31, v30
	s_cmp_lt_i32 s26, 0
	s_cbranch_scc1 .LBB124_59
; %bb.9:                                ;   in Loop: Header=BB124_8 Depth=2
	v_ashrrev_i32_e32 v29, 31, v28
	v_add_co_u32 v32, vcc_lo, v30, 16
	s_wait_alu 0xfffd
	v_add_co_ci_u32_e64 v33, null, 0, v31, vcc_lo
	v_add_co_u32 v34, vcc_lo, v80, v28
	s_wait_alu 0xfffd
	v_add_co_ci_u32_e64 v35, null, v81, v29, vcc_lo
	v_mov_b32_e32 v62, 0
	s_delay_alu instid0(VALU_DEP_3) | instskip(SKIP_1) | instid1(VALU_DEP_3)
	v_add_co_u32 v38, s5, v34, 16
	s_wait_alu 0xf1ff
	v_add_co_ci_u32_e64 v39, null, 0, v35, s5
	v_add_co_u32 v40, s5, v34, -16
	v_mov_b32_e32 v52, 0
	v_mov_b32_e32 v48, 0
	v_lshlrev_b64_e32 v[36:37], 4, v[28:29]
	v_cmp_le_i64_e64 s4, s[10:11], v[32:33]
	v_dual_mov_b32 v60, 0 :: v_dual_mov_b32 v43, v27
	v_dual_mov_b32 v63, 0 :: v_dual_mov_b32 v54, 0
	;; [unrolled: 1-line block ×5, first 2 shown]
	s_wait_alu 0xf1ff
	v_add_co_ci_u32_e64 v41, null, -1, v35, s5
	v_dual_mov_b32 v61, 0 :: v_dual_mov_b32 v42, v26
	v_dual_mov_b32 v45, v25 :: v_dual_mov_b32 v44, v24
	v_mov_b32_e32 v55, 0
	v_mov_b32_e32 v51, 0
	;; [unrolled: 1-line block ×3, first 2 shown]
	v_dual_mov_b32 v57, 0 :: v_dual_mov_b32 v46, v22
	s_mov_b64 s[22:23], 0
	v_cmp_le_i32_e32 vcc_lo, s38, v30
	s_branch .LBB124_11
.LBB124_10:                             ;   in Loop: Header=BB124_11 Depth=3
	s_wait_alu 0xfffe
	s_or_b32 exec_lo, exec_lo, s5
	s_wait_dscnt 0x0
	s_barrier_signal -1
	s_barrier_wait -1
	global_inv scope:SCOPE_SE
	ds_load_b128 v[64:67], v70
	ds_load_b128 v[83:86], v70 offset:16
	ds_load_b128 v[87:90], v70 offset:32
	;; [unrolled: 1-line block ×3, first 2 shown]
	ds_load_b128 v[95:98], v71
	v_add_co_u32 v46, s5, v46, s46
	s_wait_alu 0xf1ff
	v_add_co_ci_u32_e64 v47, null, s47, v47, s5
	v_add_co_u32 v44, s5, v44, s44
	s_wait_alu 0xf1ff
	v_add_co_ci_u32_e64 v45, null, s45, v45, s5
	v_add_co_u32 v42, s5, v42, s44
	s_add_nc_u64 s[22:23], s[22:23], 32
	v_add_co_ci_u32_e64 v43, null, s45, v43, s5
	s_wait_alu 0xfffe
	s_sub_co_i32 s5, s22, 32
	s_wait_alu 0xfffe
	s_cmp_ge_i32 s5, s27
	s_wait_dscnt 0x0
	v_mul_f64_e32 v[2:3], v[66:67], v[97:98]
	v_mul_f64_e32 v[99:100], v[64:65], v[97:98]
	s_delay_alu instid0(VALU_DEP_2) | instskip(NEXT) | instid1(VALU_DEP_2)
	v_fma_f64 v[2:3], v[64:65], v[95:96], -v[2:3]
	v_fma_f64 v[99:100], v[66:67], v[95:96], v[99:100]
	s_delay_alu instid0(VALU_DEP_2) | instskip(NEXT) | instid1(VALU_DEP_2)
	v_add_f64_e32 v[2:3], v[56:57], v[2:3]
	v_add_f64_e32 v[99:100], v[99:100], v[58:59]
	ds_load_b128 v[56:59], v71 offset:256
	s_wait_dscnt 0x0
	v_mul_f64_e32 v[101:102], v[66:67], v[58:59]
	s_delay_alu instid0(VALU_DEP_1) | instskip(SKIP_1) | instid1(VALU_DEP_1)
	v_fma_f64 v[101:102], v[64:65], v[56:57], -v[101:102]
	v_mul_f64_e32 v[64:65], v[64:65], v[58:59]
	v_fma_f64 v[64:65], v[66:67], v[56:57], v[64:65]
	s_delay_alu instid0(VALU_DEP_3) | instskip(NEXT) | instid1(VALU_DEP_2)
	v_add_f64_e32 v[66:67], v[48:49], v[101:102]
	v_add_f64_e32 v[64:65], v[64:65], v[50:51]
	ds_load_b128 v[48:51], v70 offset:8192
	s_wait_dscnt 0x0
	v_mul_f64_e32 v[101:102], v[50:51], v[97:98]
	v_mul_f64_e32 v[97:98], v[48:49], v[97:98]
	s_delay_alu instid0(VALU_DEP_2) | instskip(NEXT) | instid1(VALU_DEP_2)
	v_fma_f64 v[101:102], v[48:49], v[95:96], -v[101:102]
	v_fma_f64 v[95:96], v[50:51], v[95:96], v[97:98]
	s_delay_alu instid0(VALU_DEP_2) | instskip(SKIP_1) | instid1(VALU_DEP_3)
	v_add_f64_e32 v[97:98], v[52:53], v[101:102]
	v_mul_f64_e32 v[52:53], v[50:51], v[58:59]
	v_add_f64_e32 v[95:96], v[95:96], v[54:55]
	s_delay_alu instid0(VALU_DEP_2) | instskip(SKIP_1) | instid1(VALU_DEP_2)
	v_fma_f64 v[52:53], v[48:49], v[56:57], -v[52:53]
	v_mul_f64_e32 v[48:49], v[48:49], v[58:59]
	v_add_f64_e32 v[62:63], v[62:63], v[52:53]
	s_delay_alu instid0(VALU_DEP_2) | instskip(NEXT) | instid1(VALU_DEP_1)
	v_fma_f64 v[48:49], v[50:51], v[56:57], v[48:49]
	v_add_f64_e32 v[60:61], v[48:49], v[60:61]
	ds_load_b128 v[48:51], v71 offset:512
	s_wait_dscnt 0x0
	v_mul_f64_e32 v[52:53], v[85:86], v[50:51]
	v_mul_f64_e32 v[54:55], v[83:84], v[50:51]
	s_delay_alu instid0(VALU_DEP_2) | instskip(NEXT) | instid1(VALU_DEP_2)
	v_fma_f64 v[52:53], v[83:84], v[48:49], -v[52:53]
	v_fma_f64 v[54:55], v[85:86], v[48:49], v[54:55]
	s_delay_alu instid0(VALU_DEP_2) | instskip(NEXT) | instid1(VALU_DEP_2)
	v_add_f64_e32 v[2:3], v[2:3], v[52:53]
	v_add_f64_e32 v[99:100], v[54:55], v[99:100]
	ds_load_b128 v[52:55], v71 offset:768
	s_wait_dscnt 0x0
	v_mul_f64_e32 v[56:57], v[85:86], v[54:55]
	v_mul_f64_e32 v[58:59], v[83:84], v[54:55]
	s_delay_alu instid0(VALU_DEP_2) | instskip(NEXT) | instid1(VALU_DEP_2)
	v_fma_f64 v[56:57], v[83:84], v[52:53], -v[56:57]
	v_fma_f64 v[58:59], v[85:86], v[52:53], v[58:59]
	s_delay_alu instid0(VALU_DEP_2) | instskip(NEXT) | instid1(VALU_DEP_2)
	v_add_f64_e32 v[66:67], v[66:67], v[56:57]
	v_add_f64_e32 v[64:65], v[58:59], v[64:65]
	ds_load_b128 v[56:59], v70 offset:8208
	s_wait_dscnt 0x0
	v_mul_f64_e32 v[83:84], v[58:59], v[50:51]
	v_mul_f64_e32 v[50:51], v[56:57], v[50:51]
	s_delay_alu instid0(VALU_DEP_2) | instskip(NEXT) | instid1(VALU_DEP_2)
	v_fma_f64 v[83:84], v[56:57], v[48:49], -v[83:84]
	v_fma_f64 v[48:49], v[58:59], v[48:49], v[50:51]
	v_mul_f64_e32 v[50:51], v[56:57], v[54:55]
	s_delay_alu instid0(VALU_DEP_3) | instskip(NEXT) | instid1(VALU_DEP_3)
	v_add_f64_e32 v[83:84], v[97:98], v[83:84]
	v_add_f64_e32 v[85:86], v[48:49], v[95:96]
	v_mul_f64_e32 v[48:49], v[58:59], v[54:55]
	s_delay_alu instid0(VALU_DEP_4) | instskip(NEXT) | instid1(VALU_DEP_2)
	v_fma_f64 v[50:51], v[58:59], v[52:53], v[50:51]
	v_fma_f64 v[48:49], v[56:57], v[52:53], -v[48:49]
	s_delay_alu instid0(VALU_DEP_2) | instskip(NEXT) | instid1(VALU_DEP_2)
	v_add_f64_e32 v[60:61], v[50:51], v[60:61]
	v_add_f64_e32 v[62:63], v[62:63], v[48:49]
	ds_load_b128 v[48:51], v71 offset:1024
	s_wait_dscnt 0x0
	v_mul_f64_e32 v[52:53], v[89:90], v[50:51]
	v_mul_f64_e32 v[54:55], v[87:88], v[50:51]
	s_delay_alu instid0(VALU_DEP_2) | instskip(NEXT) | instid1(VALU_DEP_2)
	v_fma_f64 v[52:53], v[87:88], v[48:49], -v[52:53]
	v_fma_f64 v[54:55], v[89:90], v[48:49], v[54:55]
	s_delay_alu instid0(VALU_DEP_2) | instskip(NEXT) | instid1(VALU_DEP_2)
	v_add_f64_e32 v[2:3], v[2:3], v[52:53]
	v_add_f64_e32 v[95:96], v[54:55], v[99:100]
	ds_load_b128 v[52:55], v71 offset:1280
	s_wait_dscnt 0x0
	v_mul_f64_e32 v[56:57], v[89:90], v[54:55]
	v_mul_f64_e32 v[58:59], v[87:88], v[54:55]
	s_delay_alu instid0(VALU_DEP_2) | instskip(NEXT) | instid1(VALU_DEP_2)
	v_fma_f64 v[56:57], v[87:88], v[52:53], -v[56:57]
	v_fma_f64 v[58:59], v[89:90], v[52:53], v[58:59]
	s_delay_alu instid0(VALU_DEP_2) | instskip(NEXT) | instid1(VALU_DEP_2)
	v_add_f64_e32 v[66:67], v[66:67], v[56:57]
	v_add_f64_e32 v[64:65], v[58:59], v[64:65]
	ds_load_b128 v[56:59], v70 offset:8224
	s_wait_dscnt 0x0
	v_mul_f64_e32 v[87:88], v[58:59], v[50:51]
	v_mul_f64_e32 v[50:51], v[56:57], v[50:51]
	s_delay_alu instid0(VALU_DEP_2) | instskip(NEXT) | instid1(VALU_DEP_2)
	v_fma_f64 v[87:88], v[56:57], v[48:49], -v[87:88]
	v_fma_f64 v[48:49], v[58:59], v[48:49], v[50:51]
	v_mul_f64_e32 v[50:51], v[56:57], v[54:55]
	s_delay_alu instid0(VALU_DEP_3) | instskip(NEXT) | instid1(VALU_DEP_3)
	v_add_f64_e32 v[83:84], v[83:84], v[87:88]
	v_add_f64_e32 v[85:86], v[48:49], v[85:86]
	v_mul_f64_e32 v[48:49], v[58:59], v[54:55]
	s_delay_alu instid0(VALU_DEP_4) | instskip(NEXT) | instid1(VALU_DEP_2)
	v_fma_f64 v[50:51], v[58:59], v[52:53], v[50:51]
	v_fma_f64 v[48:49], v[56:57], v[52:53], -v[48:49]
	s_delay_alu instid0(VALU_DEP_2) | instskip(NEXT) | instid1(VALU_DEP_2)
	v_add_f64_e32 v[60:61], v[50:51], v[60:61]
	;; [unrolled: 38-line block ×3, first 2 shown]
	v_add_f64_e32 v[62:63], v[62:63], v[48:49]
	ds_load_b128 v[48:51], v70 offset:64
	ds_load_b128 v[52:55], v71 offset:2048
	s_wait_dscnt 0x0
	v_mul_f64_e32 v[56:57], v[50:51], v[54:55]
	v_mul_f64_e32 v[58:59], v[48:49], v[54:55]
	s_delay_alu instid0(VALU_DEP_2) | instskip(NEXT) | instid1(VALU_DEP_2)
	v_fma_f64 v[56:57], v[48:49], v[52:53], -v[56:57]
	v_fma_f64 v[58:59], v[50:51], v[52:53], v[58:59]
	s_delay_alu instid0(VALU_DEP_2) | instskip(NEXT) | instid1(VALU_DEP_2)
	v_add_f64_e32 v[2:3], v[2:3], v[56:57]
	v_add_f64_e32 v[87:88], v[58:59], v[87:88]
	ds_load_b128 v[56:59], v71 offset:2304
	s_wait_dscnt 0x0
	v_mul_f64_e32 v[89:90], v[50:51], v[58:59]
	s_delay_alu instid0(VALU_DEP_1) | instskip(SKIP_1) | instid1(VALU_DEP_2)
	v_fma_f64 v[89:90], v[48:49], v[56:57], -v[89:90]
	v_mul_f64_e32 v[48:49], v[48:49], v[58:59]
	v_add_f64_e32 v[66:67], v[66:67], v[89:90]
	s_delay_alu instid0(VALU_DEP_2) | instskip(NEXT) | instid1(VALU_DEP_1)
	v_fma_f64 v[48:49], v[50:51], v[56:57], v[48:49]
	v_add_f64_e32 v[64:65], v[48:49], v[64:65]
	ds_load_b128 v[48:51], v70 offset:8256
	s_wait_dscnt 0x0
	v_mul_f64_e32 v[89:90], v[50:51], v[54:55]
	v_mul_f64_e32 v[54:55], v[48:49], v[54:55]
	s_delay_alu instid0(VALU_DEP_2) | instskip(NEXT) | instid1(VALU_DEP_2)
	v_fma_f64 v[89:90], v[48:49], v[52:53], -v[89:90]
	v_fma_f64 v[52:53], v[50:51], v[52:53], v[54:55]
	s_delay_alu instid0(VALU_DEP_2) | instskip(NEXT) | instid1(VALU_DEP_2)
	v_add_f64_e32 v[83:84], v[83:84], v[89:90]
	v_add_f64_e32 v[85:86], v[52:53], v[85:86]
	v_mul_f64_e32 v[52:53], v[50:51], v[58:59]
	s_delay_alu instid0(VALU_DEP_1) | instskip(SKIP_1) | instid1(VALU_DEP_2)
	v_fma_f64 v[52:53], v[48:49], v[56:57], -v[52:53]
	v_mul_f64_e32 v[48:49], v[48:49], v[58:59]
	v_add_f64_e32 v[62:63], v[62:63], v[52:53]
	s_delay_alu instid0(VALU_DEP_2) | instskip(NEXT) | instid1(VALU_DEP_1)
	v_fma_f64 v[48:49], v[50:51], v[56:57], v[48:49]
	v_add_f64_e32 v[60:61], v[48:49], v[60:61]
	ds_load_b128 v[48:51], v70 offset:80
	ds_load_b128 v[52:55], v71 offset:2560
	s_wait_dscnt 0x0
	v_mul_f64_e32 v[56:57], v[50:51], v[54:55]
	v_mul_f64_e32 v[58:59], v[48:49], v[54:55]
	s_delay_alu instid0(VALU_DEP_2) | instskip(NEXT) | instid1(VALU_DEP_2)
	v_fma_f64 v[56:57], v[48:49], v[52:53], -v[56:57]
	v_fma_f64 v[58:59], v[50:51], v[52:53], v[58:59]
	s_delay_alu instid0(VALU_DEP_2) | instskip(NEXT) | instid1(VALU_DEP_2)
	v_add_f64_e32 v[2:3], v[2:3], v[56:57]
	v_add_f64_e32 v[87:88], v[58:59], v[87:88]
	ds_load_b128 v[56:59], v71 offset:2816
	s_wait_dscnt 0x0
	v_mul_f64_e32 v[89:90], v[50:51], v[58:59]
	s_delay_alu instid0(VALU_DEP_1) | instskip(SKIP_1) | instid1(VALU_DEP_2)
	v_fma_f64 v[89:90], v[48:49], v[56:57], -v[89:90]
	v_mul_f64_e32 v[48:49], v[48:49], v[58:59]
	v_add_f64_e32 v[66:67], v[66:67], v[89:90]
	s_delay_alu instid0(VALU_DEP_2) | instskip(NEXT) | instid1(VALU_DEP_1)
	v_fma_f64 v[48:49], v[50:51], v[56:57], v[48:49]
	v_add_f64_e32 v[64:65], v[48:49], v[64:65]
	ds_load_b128 v[48:51], v70 offset:8272
	s_wait_dscnt 0x0
	v_mul_f64_e32 v[89:90], v[50:51], v[54:55]
	v_mul_f64_e32 v[54:55], v[48:49], v[54:55]
	s_delay_alu instid0(VALU_DEP_2) | instskip(NEXT) | instid1(VALU_DEP_2)
	v_fma_f64 v[89:90], v[48:49], v[52:53], -v[89:90]
	v_fma_f64 v[52:53], v[50:51], v[52:53], v[54:55]
	s_delay_alu instid0(VALU_DEP_2) | instskip(NEXT) | instid1(VALU_DEP_2)
	v_add_f64_e32 v[83:84], v[83:84], v[89:90]
	v_add_f64_e32 v[85:86], v[52:53], v[85:86]
	v_mul_f64_e32 v[52:53], v[50:51], v[58:59]
	s_delay_alu instid0(VALU_DEP_1) | instskip(SKIP_1) | instid1(VALU_DEP_2)
	v_fma_f64 v[52:53], v[48:49], v[56:57], -v[52:53]
	v_mul_f64_e32 v[48:49], v[48:49], v[58:59]
	v_add_f64_e32 v[62:63], v[62:63], v[52:53]
	s_delay_alu instid0(VALU_DEP_2) | instskip(NEXT) | instid1(VALU_DEP_1)
	v_fma_f64 v[48:49], v[50:51], v[56:57], v[48:49]
	v_add_f64_e32 v[60:61], v[48:49], v[60:61]
	ds_load_b128 v[48:51], v70 offset:96
	ds_load_b128 v[52:55], v71 offset:3072
	s_wait_dscnt 0x0
	v_mul_f64_e32 v[56:57], v[50:51], v[54:55]
	v_mul_f64_e32 v[58:59], v[48:49], v[54:55]
	s_delay_alu instid0(VALU_DEP_2) | instskip(NEXT) | instid1(VALU_DEP_2)
	v_fma_f64 v[56:57], v[48:49], v[52:53], -v[56:57]
	v_fma_f64 v[58:59], v[50:51], v[52:53], v[58:59]
	s_delay_alu instid0(VALU_DEP_2) | instskip(NEXT) | instid1(VALU_DEP_2)
	v_add_f64_e32 v[2:3], v[2:3], v[56:57]
	v_add_f64_e32 v[87:88], v[58:59], v[87:88]
	ds_load_b128 v[56:59], v71 offset:3328
	s_wait_dscnt 0x0
	v_mul_f64_e32 v[89:90], v[50:51], v[58:59]
	s_delay_alu instid0(VALU_DEP_1) | instskip(SKIP_1) | instid1(VALU_DEP_2)
	v_fma_f64 v[89:90], v[48:49], v[56:57], -v[89:90]
	v_mul_f64_e32 v[48:49], v[48:49], v[58:59]
	v_add_f64_e32 v[66:67], v[66:67], v[89:90]
	s_delay_alu instid0(VALU_DEP_2) | instskip(NEXT) | instid1(VALU_DEP_1)
	v_fma_f64 v[48:49], v[50:51], v[56:57], v[48:49]
	v_add_f64_e32 v[64:65], v[48:49], v[64:65]
	ds_load_b128 v[48:51], v70 offset:8288
	s_wait_dscnt 0x0
	v_mul_f64_e32 v[89:90], v[50:51], v[54:55]
	v_mul_f64_e32 v[54:55], v[48:49], v[54:55]
	s_delay_alu instid0(VALU_DEP_2) | instskip(NEXT) | instid1(VALU_DEP_2)
	v_fma_f64 v[89:90], v[48:49], v[52:53], -v[89:90]
	v_fma_f64 v[52:53], v[50:51], v[52:53], v[54:55]
	s_delay_alu instid0(VALU_DEP_2) | instskip(NEXT) | instid1(VALU_DEP_2)
	v_add_f64_e32 v[83:84], v[83:84], v[89:90]
	v_add_f64_e32 v[85:86], v[52:53], v[85:86]
	v_mul_f64_e32 v[52:53], v[50:51], v[58:59]
	s_delay_alu instid0(VALU_DEP_1) | instskip(SKIP_1) | instid1(VALU_DEP_2)
	v_fma_f64 v[52:53], v[48:49], v[56:57], -v[52:53]
	v_mul_f64_e32 v[48:49], v[48:49], v[58:59]
	v_add_f64_e32 v[62:63], v[62:63], v[52:53]
	s_delay_alu instid0(VALU_DEP_2) | instskip(NEXT) | instid1(VALU_DEP_1)
	v_fma_f64 v[48:49], v[50:51], v[56:57], v[48:49]
	v_add_f64_e32 v[60:61], v[48:49], v[60:61]
	ds_load_b128 v[48:51], v70 offset:112
	ds_load_b128 v[52:55], v71 offset:3584
	s_wait_dscnt 0x0
	v_mul_f64_e32 v[56:57], v[50:51], v[54:55]
	v_mul_f64_e32 v[58:59], v[48:49], v[54:55]
	s_delay_alu instid0(VALU_DEP_2) | instskip(NEXT) | instid1(VALU_DEP_2)
	v_fma_f64 v[56:57], v[48:49], v[52:53], -v[56:57]
	v_fma_f64 v[58:59], v[50:51], v[52:53], v[58:59]
	s_delay_alu instid0(VALU_DEP_2) | instskip(NEXT) | instid1(VALU_DEP_2)
	v_add_f64_e32 v[2:3], v[2:3], v[56:57]
	v_add_f64_e32 v[87:88], v[58:59], v[87:88]
	ds_load_b128 v[56:59], v71 offset:3840
	s_wait_dscnt 0x0
	v_mul_f64_e32 v[89:90], v[50:51], v[58:59]
	s_delay_alu instid0(VALU_DEP_1) | instskip(SKIP_1) | instid1(VALU_DEP_2)
	v_fma_f64 v[89:90], v[48:49], v[56:57], -v[89:90]
	v_mul_f64_e32 v[48:49], v[48:49], v[58:59]
	v_add_f64_e32 v[66:67], v[66:67], v[89:90]
	s_delay_alu instid0(VALU_DEP_2) | instskip(NEXT) | instid1(VALU_DEP_1)
	v_fma_f64 v[48:49], v[50:51], v[56:57], v[48:49]
	v_add_f64_e32 v[64:65], v[48:49], v[64:65]
	ds_load_b128 v[48:51], v70 offset:8304
	s_wait_dscnt 0x0
	v_mul_f64_e32 v[89:90], v[50:51], v[54:55]
	v_mul_f64_e32 v[54:55], v[48:49], v[54:55]
	s_delay_alu instid0(VALU_DEP_2) | instskip(NEXT) | instid1(VALU_DEP_2)
	v_fma_f64 v[89:90], v[48:49], v[52:53], -v[89:90]
	v_fma_f64 v[52:53], v[50:51], v[52:53], v[54:55]
	s_delay_alu instid0(VALU_DEP_2) | instskip(NEXT) | instid1(VALU_DEP_2)
	v_add_f64_e32 v[83:84], v[83:84], v[89:90]
	v_add_f64_e32 v[85:86], v[52:53], v[85:86]
	v_mul_f64_e32 v[52:53], v[50:51], v[58:59]
	s_delay_alu instid0(VALU_DEP_1) | instskip(SKIP_1) | instid1(VALU_DEP_2)
	v_fma_f64 v[52:53], v[48:49], v[56:57], -v[52:53]
	v_mul_f64_e32 v[48:49], v[48:49], v[58:59]
	v_add_f64_e32 v[62:63], v[62:63], v[52:53]
	s_delay_alu instid0(VALU_DEP_2) | instskip(NEXT) | instid1(VALU_DEP_1)
	v_fma_f64 v[48:49], v[50:51], v[56:57], v[48:49]
	v_add_f64_e32 v[60:61], v[48:49], v[60:61]
	ds_load_b128 v[48:51], v70 offset:128
	ds_load_b128 v[52:55], v71 offset:4096
	s_wait_dscnt 0x0
	v_mul_f64_e32 v[56:57], v[50:51], v[54:55]
	v_mul_f64_e32 v[58:59], v[48:49], v[54:55]
	s_delay_alu instid0(VALU_DEP_2) | instskip(NEXT) | instid1(VALU_DEP_2)
	v_fma_f64 v[56:57], v[48:49], v[52:53], -v[56:57]
	v_fma_f64 v[58:59], v[50:51], v[52:53], v[58:59]
	s_delay_alu instid0(VALU_DEP_2) | instskip(NEXT) | instid1(VALU_DEP_2)
	v_add_f64_e32 v[2:3], v[2:3], v[56:57]
	v_add_f64_e32 v[87:88], v[58:59], v[87:88]
	ds_load_b128 v[56:59], v71 offset:4352
	s_wait_dscnt 0x0
	v_mul_f64_e32 v[89:90], v[50:51], v[58:59]
	s_delay_alu instid0(VALU_DEP_1) | instskip(SKIP_1) | instid1(VALU_DEP_2)
	v_fma_f64 v[89:90], v[48:49], v[56:57], -v[89:90]
	v_mul_f64_e32 v[48:49], v[48:49], v[58:59]
	v_add_f64_e32 v[66:67], v[66:67], v[89:90]
	s_delay_alu instid0(VALU_DEP_2) | instskip(NEXT) | instid1(VALU_DEP_1)
	v_fma_f64 v[48:49], v[50:51], v[56:57], v[48:49]
	v_add_f64_e32 v[64:65], v[48:49], v[64:65]
	ds_load_b128 v[48:51], v70 offset:8320
	s_wait_dscnt 0x0
	v_mul_f64_e32 v[89:90], v[50:51], v[54:55]
	v_mul_f64_e32 v[54:55], v[48:49], v[54:55]
	s_delay_alu instid0(VALU_DEP_2) | instskip(NEXT) | instid1(VALU_DEP_2)
	v_fma_f64 v[89:90], v[48:49], v[52:53], -v[89:90]
	v_fma_f64 v[52:53], v[50:51], v[52:53], v[54:55]
	s_delay_alu instid0(VALU_DEP_2) | instskip(NEXT) | instid1(VALU_DEP_2)
	v_add_f64_e32 v[83:84], v[83:84], v[89:90]
	v_add_f64_e32 v[85:86], v[52:53], v[85:86]
	v_mul_f64_e32 v[52:53], v[50:51], v[58:59]
	s_delay_alu instid0(VALU_DEP_1) | instskip(SKIP_1) | instid1(VALU_DEP_2)
	v_fma_f64 v[52:53], v[48:49], v[56:57], -v[52:53]
	v_mul_f64_e32 v[48:49], v[48:49], v[58:59]
	v_add_f64_e32 v[62:63], v[62:63], v[52:53]
	s_delay_alu instid0(VALU_DEP_2) | instskip(NEXT) | instid1(VALU_DEP_1)
	v_fma_f64 v[48:49], v[50:51], v[56:57], v[48:49]
	v_add_f64_e32 v[60:61], v[48:49], v[60:61]
	ds_load_b128 v[48:51], v70 offset:144
	ds_load_b128 v[52:55], v71 offset:4608
	s_wait_dscnt 0x0
	v_mul_f64_e32 v[56:57], v[50:51], v[54:55]
	v_mul_f64_e32 v[58:59], v[48:49], v[54:55]
	s_delay_alu instid0(VALU_DEP_2) | instskip(NEXT) | instid1(VALU_DEP_2)
	v_fma_f64 v[56:57], v[48:49], v[52:53], -v[56:57]
	v_fma_f64 v[58:59], v[50:51], v[52:53], v[58:59]
	s_delay_alu instid0(VALU_DEP_2) | instskip(NEXT) | instid1(VALU_DEP_2)
	v_add_f64_e32 v[2:3], v[2:3], v[56:57]
	v_add_f64_e32 v[87:88], v[58:59], v[87:88]
	ds_load_b128 v[56:59], v71 offset:4864
	s_wait_dscnt 0x0
	v_mul_f64_e32 v[89:90], v[50:51], v[58:59]
	s_delay_alu instid0(VALU_DEP_1) | instskip(SKIP_1) | instid1(VALU_DEP_2)
	v_fma_f64 v[89:90], v[48:49], v[56:57], -v[89:90]
	v_mul_f64_e32 v[48:49], v[48:49], v[58:59]
	v_add_f64_e32 v[66:67], v[66:67], v[89:90]
	s_delay_alu instid0(VALU_DEP_2) | instskip(NEXT) | instid1(VALU_DEP_1)
	v_fma_f64 v[48:49], v[50:51], v[56:57], v[48:49]
	v_add_f64_e32 v[64:65], v[48:49], v[64:65]
	ds_load_b128 v[48:51], v70 offset:8336
	s_wait_dscnt 0x0
	v_mul_f64_e32 v[89:90], v[50:51], v[54:55]
	v_mul_f64_e32 v[54:55], v[48:49], v[54:55]
	s_delay_alu instid0(VALU_DEP_2) | instskip(NEXT) | instid1(VALU_DEP_2)
	v_fma_f64 v[89:90], v[48:49], v[52:53], -v[89:90]
	v_fma_f64 v[52:53], v[50:51], v[52:53], v[54:55]
	s_delay_alu instid0(VALU_DEP_2) | instskip(NEXT) | instid1(VALU_DEP_2)
	v_add_f64_e32 v[83:84], v[83:84], v[89:90]
	v_add_f64_e32 v[85:86], v[52:53], v[85:86]
	v_mul_f64_e32 v[52:53], v[50:51], v[58:59]
	s_delay_alu instid0(VALU_DEP_1) | instskip(SKIP_1) | instid1(VALU_DEP_2)
	v_fma_f64 v[52:53], v[48:49], v[56:57], -v[52:53]
	v_mul_f64_e32 v[48:49], v[48:49], v[58:59]
	v_add_f64_e32 v[62:63], v[62:63], v[52:53]
	s_delay_alu instid0(VALU_DEP_2) | instskip(NEXT) | instid1(VALU_DEP_1)
	v_fma_f64 v[48:49], v[50:51], v[56:57], v[48:49]
	v_add_f64_e32 v[60:61], v[48:49], v[60:61]
	ds_load_b128 v[48:51], v70 offset:160
	ds_load_b128 v[52:55], v71 offset:5120
	s_wait_dscnt 0x0
	v_mul_f64_e32 v[56:57], v[50:51], v[54:55]
	v_mul_f64_e32 v[58:59], v[48:49], v[54:55]
	s_delay_alu instid0(VALU_DEP_2) | instskip(NEXT) | instid1(VALU_DEP_2)
	v_fma_f64 v[56:57], v[48:49], v[52:53], -v[56:57]
	v_fma_f64 v[58:59], v[50:51], v[52:53], v[58:59]
	s_delay_alu instid0(VALU_DEP_2) | instskip(NEXT) | instid1(VALU_DEP_2)
	v_add_f64_e32 v[2:3], v[2:3], v[56:57]
	v_add_f64_e32 v[87:88], v[58:59], v[87:88]
	ds_load_b128 v[56:59], v71 offset:5376
	s_wait_dscnt 0x0
	v_mul_f64_e32 v[89:90], v[50:51], v[58:59]
	s_delay_alu instid0(VALU_DEP_1) | instskip(SKIP_1) | instid1(VALU_DEP_2)
	v_fma_f64 v[89:90], v[48:49], v[56:57], -v[89:90]
	v_mul_f64_e32 v[48:49], v[48:49], v[58:59]
	v_add_f64_e32 v[66:67], v[66:67], v[89:90]
	s_delay_alu instid0(VALU_DEP_2) | instskip(NEXT) | instid1(VALU_DEP_1)
	v_fma_f64 v[48:49], v[50:51], v[56:57], v[48:49]
	v_add_f64_e32 v[64:65], v[48:49], v[64:65]
	ds_load_b128 v[48:51], v70 offset:8352
	s_wait_dscnt 0x0
	v_mul_f64_e32 v[89:90], v[50:51], v[54:55]
	v_mul_f64_e32 v[54:55], v[48:49], v[54:55]
	s_delay_alu instid0(VALU_DEP_2) | instskip(NEXT) | instid1(VALU_DEP_2)
	v_fma_f64 v[89:90], v[48:49], v[52:53], -v[89:90]
	v_fma_f64 v[52:53], v[50:51], v[52:53], v[54:55]
	s_delay_alu instid0(VALU_DEP_2) | instskip(NEXT) | instid1(VALU_DEP_2)
	v_add_f64_e32 v[83:84], v[83:84], v[89:90]
	v_add_f64_e32 v[85:86], v[52:53], v[85:86]
	v_mul_f64_e32 v[52:53], v[50:51], v[58:59]
	s_delay_alu instid0(VALU_DEP_1) | instskip(SKIP_1) | instid1(VALU_DEP_2)
	v_fma_f64 v[52:53], v[48:49], v[56:57], -v[52:53]
	v_mul_f64_e32 v[48:49], v[48:49], v[58:59]
	v_add_f64_e32 v[62:63], v[62:63], v[52:53]
	s_delay_alu instid0(VALU_DEP_2) | instskip(NEXT) | instid1(VALU_DEP_1)
	v_fma_f64 v[48:49], v[50:51], v[56:57], v[48:49]
	v_add_f64_e32 v[60:61], v[48:49], v[60:61]
	ds_load_b128 v[48:51], v70 offset:176
	ds_load_b128 v[52:55], v71 offset:5632
	s_wait_dscnt 0x0
	v_mul_f64_e32 v[56:57], v[50:51], v[54:55]
	v_mul_f64_e32 v[58:59], v[48:49], v[54:55]
	s_delay_alu instid0(VALU_DEP_2) | instskip(NEXT) | instid1(VALU_DEP_2)
	v_fma_f64 v[56:57], v[48:49], v[52:53], -v[56:57]
	v_fma_f64 v[58:59], v[50:51], v[52:53], v[58:59]
	s_delay_alu instid0(VALU_DEP_2) | instskip(NEXT) | instid1(VALU_DEP_2)
	v_add_f64_e32 v[2:3], v[2:3], v[56:57]
	v_add_f64_e32 v[87:88], v[58:59], v[87:88]
	ds_load_b128 v[56:59], v71 offset:5888
	s_wait_dscnt 0x0
	v_mul_f64_e32 v[89:90], v[50:51], v[58:59]
	s_delay_alu instid0(VALU_DEP_1) | instskip(SKIP_1) | instid1(VALU_DEP_2)
	v_fma_f64 v[89:90], v[48:49], v[56:57], -v[89:90]
	v_mul_f64_e32 v[48:49], v[48:49], v[58:59]
	v_add_f64_e32 v[66:67], v[66:67], v[89:90]
	s_delay_alu instid0(VALU_DEP_2) | instskip(NEXT) | instid1(VALU_DEP_1)
	v_fma_f64 v[48:49], v[50:51], v[56:57], v[48:49]
	v_add_f64_e32 v[64:65], v[48:49], v[64:65]
	ds_load_b128 v[48:51], v70 offset:8368
	s_wait_dscnt 0x0
	v_mul_f64_e32 v[89:90], v[50:51], v[54:55]
	v_mul_f64_e32 v[54:55], v[48:49], v[54:55]
	s_delay_alu instid0(VALU_DEP_2) | instskip(NEXT) | instid1(VALU_DEP_2)
	v_fma_f64 v[89:90], v[48:49], v[52:53], -v[89:90]
	v_fma_f64 v[52:53], v[50:51], v[52:53], v[54:55]
	s_delay_alu instid0(VALU_DEP_2) | instskip(NEXT) | instid1(VALU_DEP_2)
	v_add_f64_e32 v[83:84], v[83:84], v[89:90]
	v_add_f64_e32 v[85:86], v[52:53], v[85:86]
	v_mul_f64_e32 v[52:53], v[50:51], v[58:59]
	s_delay_alu instid0(VALU_DEP_1) | instskip(SKIP_1) | instid1(VALU_DEP_2)
	v_fma_f64 v[52:53], v[48:49], v[56:57], -v[52:53]
	v_mul_f64_e32 v[48:49], v[48:49], v[58:59]
	v_add_f64_e32 v[62:63], v[62:63], v[52:53]
	s_delay_alu instid0(VALU_DEP_2) | instskip(NEXT) | instid1(VALU_DEP_1)
	v_fma_f64 v[48:49], v[50:51], v[56:57], v[48:49]
	v_add_f64_e32 v[60:61], v[48:49], v[60:61]
	ds_load_b128 v[48:51], v70 offset:192
	ds_load_b128 v[52:55], v71 offset:6144
	s_wait_dscnt 0x0
	v_mul_f64_e32 v[56:57], v[50:51], v[54:55]
	v_mul_f64_e32 v[58:59], v[48:49], v[54:55]
	s_delay_alu instid0(VALU_DEP_2) | instskip(NEXT) | instid1(VALU_DEP_2)
	v_fma_f64 v[56:57], v[48:49], v[52:53], -v[56:57]
	v_fma_f64 v[58:59], v[50:51], v[52:53], v[58:59]
	s_delay_alu instid0(VALU_DEP_2) | instskip(NEXT) | instid1(VALU_DEP_2)
	v_add_f64_e32 v[2:3], v[2:3], v[56:57]
	v_add_f64_e32 v[87:88], v[58:59], v[87:88]
	ds_load_b128 v[56:59], v71 offset:6400
	s_wait_dscnt 0x0
	v_mul_f64_e32 v[89:90], v[50:51], v[58:59]
	s_delay_alu instid0(VALU_DEP_1) | instskip(SKIP_1) | instid1(VALU_DEP_2)
	v_fma_f64 v[89:90], v[48:49], v[56:57], -v[89:90]
	v_mul_f64_e32 v[48:49], v[48:49], v[58:59]
	v_add_f64_e32 v[66:67], v[66:67], v[89:90]
	s_delay_alu instid0(VALU_DEP_2) | instskip(NEXT) | instid1(VALU_DEP_1)
	v_fma_f64 v[48:49], v[50:51], v[56:57], v[48:49]
	v_add_f64_e32 v[64:65], v[48:49], v[64:65]
	ds_load_b128 v[48:51], v70 offset:8384
	s_wait_dscnt 0x0
	v_mul_f64_e32 v[89:90], v[50:51], v[54:55]
	v_mul_f64_e32 v[54:55], v[48:49], v[54:55]
	s_delay_alu instid0(VALU_DEP_2) | instskip(NEXT) | instid1(VALU_DEP_2)
	v_fma_f64 v[89:90], v[48:49], v[52:53], -v[89:90]
	v_fma_f64 v[52:53], v[50:51], v[52:53], v[54:55]
	s_delay_alu instid0(VALU_DEP_2) | instskip(NEXT) | instid1(VALU_DEP_2)
	v_add_f64_e32 v[83:84], v[83:84], v[89:90]
	v_add_f64_e32 v[85:86], v[52:53], v[85:86]
	v_mul_f64_e32 v[52:53], v[50:51], v[58:59]
	s_delay_alu instid0(VALU_DEP_1) | instskip(SKIP_1) | instid1(VALU_DEP_2)
	v_fma_f64 v[52:53], v[48:49], v[56:57], -v[52:53]
	v_mul_f64_e32 v[48:49], v[48:49], v[58:59]
	v_add_f64_e32 v[62:63], v[62:63], v[52:53]
	s_delay_alu instid0(VALU_DEP_2) | instskip(NEXT) | instid1(VALU_DEP_1)
	v_fma_f64 v[48:49], v[50:51], v[56:57], v[48:49]
	v_add_f64_e32 v[60:61], v[48:49], v[60:61]
	ds_load_b128 v[48:51], v70 offset:208
	ds_load_b128 v[52:55], v71 offset:6656
	s_wait_dscnt 0x0
	v_mul_f64_e32 v[56:57], v[50:51], v[54:55]
	v_mul_f64_e32 v[58:59], v[48:49], v[54:55]
	s_delay_alu instid0(VALU_DEP_2) | instskip(NEXT) | instid1(VALU_DEP_2)
	v_fma_f64 v[56:57], v[48:49], v[52:53], -v[56:57]
	v_fma_f64 v[58:59], v[50:51], v[52:53], v[58:59]
	s_delay_alu instid0(VALU_DEP_2) | instskip(NEXT) | instid1(VALU_DEP_2)
	v_add_f64_e32 v[2:3], v[2:3], v[56:57]
	v_add_f64_e32 v[87:88], v[58:59], v[87:88]
	ds_load_b128 v[56:59], v71 offset:6912
	s_wait_dscnt 0x0
	v_mul_f64_e32 v[89:90], v[50:51], v[58:59]
	s_delay_alu instid0(VALU_DEP_1) | instskip(SKIP_1) | instid1(VALU_DEP_2)
	v_fma_f64 v[89:90], v[48:49], v[56:57], -v[89:90]
	v_mul_f64_e32 v[48:49], v[48:49], v[58:59]
	v_add_f64_e32 v[66:67], v[66:67], v[89:90]
	s_delay_alu instid0(VALU_DEP_2) | instskip(NEXT) | instid1(VALU_DEP_1)
	v_fma_f64 v[48:49], v[50:51], v[56:57], v[48:49]
	v_add_f64_e32 v[64:65], v[48:49], v[64:65]
	ds_load_b128 v[48:51], v70 offset:8400
	s_wait_dscnt 0x0
	v_mul_f64_e32 v[89:90], v[50:51], v[54:55]
	v_mul_f64_e32 v[54:55], v[48:49], v[54:55]
	s_delay_alu instid0(VALU_DEP_2) | instskip(NEXT) | instid1(VALU_DEP_2)
	v_fma_f64 v[89:90], v[48:49], v[52:53], -v[89:90]
	v_fma_f64 v[52:53], v[50:51], v[52:53], v[54:55]
	s_delay_alu instid0(VALU_DEP_2) | instskip(NEXT) | instid1(VALU_DEP_2)
	v_add_f64_e32 v[83:84], v[83:84], v[89:90]
	v_add_f64_e32 v[85:86], v[52:53], v[85:86]
	v_mul_f64_e32 v[52:53], v[50:51], v[58:59]
	s_delay_alu instid0(VALU_DEP_1) | instskip(SKIP_1) | instid1(VALU_DEP_2)
	v_fma_f64 v[52:53], v[48:49], v[56:57], -v[52:53]
	v_mul_f64_e32 v[48:49], v[48:49], v[58:59]
	v_add_f64_e32 v[62:63], v[62:63], v[52:53]
	s_delay_alu instid0(VALU_DEP_2) | instskip(NEXT) | instid1(VALU_DEP_1)
	v_fma_f64 v[48:49], v[50:51], v[56:57], v[48:49]
	v_add_f64_e32 v[60:61], v[48:49], v[60:61]
	ds_load_b128 v[48:51], v70 offset:224
	ds_load_b128 v[52:55], v71 offset:7168
	s_wait_dscnt 0x0
	v_mul_f64_e32 v[56:57], v[50:51], v[54:55]
	v_mul_f64_e32 v[58:59], v[48:49], v[54:55]
	s_delay_alu instid0(VALU_DEP_2) | instskip(NEXT) | instid1(VALU_DEP_2)
	v_fma_f64 v[56:57], v[48:49], v[52:53], -v[56:57]
	v_fma_f64 v[58:59], v[50:51], v[52:53], v[58:59]
	s_delay_alu instid0(VALU_DEP_2) | instskip(NEXT) | instid1(VALU_DEP_2)
	v_add_f64_e32 v[2:3], v[2:3], v[56:57]
	v_add_f64_e32 v[87:88], v[58:59], v[87:88]
	ds_load_b128 v[56:59], v71 offset:7424
	s_wait_dscnt 0x0
	v_mul_f64_e32 v[89:90], v[50:51], v[58:59]
	s_delay_alu instid0(VALU_DEP_1) | instskip(SKIP_1) | instid1(VALU_DEP_2)
	v_fma_f64 v[89:90], v[48:49], v[56:57], -v[89:90]
	v_mul_f64_e32 v[48:49], v[48:49], v[58:59]
	v_add_f64_e32 v[66:67], v[66:67], v[89:90]
	s_delay_alu instid0(VALU_DEP_2) | instskip(NEXT) | instid1(VALU_DEP_1)
	v_fma_f64 v[48:49], v[50:51], v[56:57], v[48:49]
	v_add_f64_e32 v[64:65], v[48:49], v[64:65]
	ds_load_b128 v[48:51], v70 offset:8416
	s_wait_dscnt 0x0
	v_mul_f64_e32 v[89:90], v[50:51], v[54:55]
	v_mul_f64_e32 v[54:55], v[48:49], v[54:55]
	s_delay_alu instid0(VALU_DEP_2) | instskip(NEXT) | instid1(VALU_DEP_2)
	v_fma_f64 v[89:90], v[48:49], v[52:53], -v[89:90]
	v_fma_f64 v[52:53], v[50:51], v[52:53], v[54:55]
	s_delay_alu instid0(VALU_DEP_2) | instskip(NEXT) | instid1(VALU_DEP_2)
	v_add_f64_e32 v[83:84], v[83:84], v[89:90]
	v_add_f64_e32 v[85:86], v[52:53], v[85:86]
	v_mul_f64_e32 v[52:53], v[50:51], v[58:59]
	s_delay_alu instid0(VALU_DEP_1) | instskip(SKIP_1) | instid1(VALU_DEP_2)
	v_fma_f64 v[52:53], v[48:49], v[56:57], -v[52:53]
	v_mul_f64_e32 v[48:49], v[48:49], v[58:59]
	v_add_f64_e32 v[62:63], v[62:63], v[52:53]
	s_delay_alu instid0(VALU_DEP_2) | instskip(NEXT) | instid1(VALU_DEP_1)
	v_fma_f64 v[48:49], v[50:51], v[56:57], v[48:49]
	v_add_f64_e32 v[60:61], v[48:49], v[60:61]
	ds_load_b128 v[48:51], v70 offset:240
	ds_load_b128 v[52:55], v71 offset:7680
	s_wait_dscnt 0x0
	v_mul_f64_e32 v[56:57], v[50:51], v[54:55]
	v_mul_f64_e32 v[58:59], v[48:49], v[54:55]
	s_delay_alu instid0(VALU_DEP_2) | instskip(NEXT) | instid1(VALU_DEP_2)
	v_fma_f64 v[56:57], v[48:49], v[52:53], -v[56:57]
	v_fma_f64 v[58:59], v[50:51], v[52:53], v[58:59]
	s_delay_alu instid0(VALU_DEP_2) | instskip(NEXT) | instid1(VALU_DEP_2)
	v_add_f64_e32 v[2:3], v[2:3], v[56:57]
	v_add_f64_e32 v[87:88], v[58:59], v[87:88]
	ds_load_b128 v[56:59], v71 offset:7936
	s_wait_dscnt 0x0
	v_mul_f64_e32 v[89:90], v[50:51], v[58:59]
	s_delay_alu instid0(VALU_DEP_1) | instskip(SKIP_1) | instid1(VALU_DEP_2)
	v_fma_f64 v[89:90], v[48:49], v[56:57], -v[89:90]
	v_mul_f64_e32 v[48:49], v[48:49], v[58:59]
	v_add_f64_e32 v[66:67], v[66:67], v[89:90]
	s_delay_alu instid0(VALU_DEP_2) | instskip(NEXT) | instid1(VALU_DEP_1)
	v_fma_f64 v[48:49], v[50:51], v[56:57], v[48:49]
	v_add_f64_e32 v[64:65], v[48:49], v[64:65]
	ds_load_b128 v[48:51], v70 offset:8432
	s_wait_dscnt 0x0
	v_mul_f64_e32 v[89:90], v[50:51], v[54:55]
	v_mul_f64_e32 v[54:55], v[48:49], v[54:55]
	s_delay_alu instid0(VALU_DEP_2) | instskip(NEXT) | instid1(VALU_DEP_2)
	v_fma_f64 v[89:90], v[48:49], v[52:53], -v[89:90]
	v_fma_f64 v[52:53], v[50:51], v[52:53], v[54:55]
	s_delay_alu instid0(VALU_DEP_2) | instskip(NEXT) | instid1(VALU_DEP_2)
	v_add_f64_e32 v[83:84], v[83:84], v[89:90]
	v_add_f64_e32 v[85:86], v[52:53], v[85:86]
	v_mul_f64_e32 v[52:53], v[50:51], v[58:59]
	s_delay_alu instid0(VALU_DEP_1) | instskip(SKIP_1) | instid1(VALU_DEP_2)
	v_fma_f64 v[52:53], v[48:49], v[56:57], -v[52:53]
	v_mul_f64_e32 v[48:49], v[48:49], v[58:59]
	v_add_f64_e32 v[62:63], v[62:63], v[52:53]
	s_delay_alu instid0(VALU_DEP_2) | instskip(NEXT) | instid1(VALU_DEP_1)
	v_fma_f64 v[48:49], v[50:51], v[56:57], v[48:49]
	v_add_f64_e32 v[60:61], v[48:49], v[60:61]
	ds_load_b128 v[48:51], v70 offset:256
	ds_load_b128 v[52:55], v71 offset:8192
	s_wait_dscnt 0x0
	v_mul_f64_e32 v[56:57], v[50:51], v[54:55]
	v_mul_f64_e32 v[58:59], v[48:49], v[54:55]
	s_delay_alu instid0(VALU_DEP_2) | instskip(NEXT) | instid1(VALU_DEP_2)
	v_fma_f64 v[56:57], v[48:49], v[52:53], -v[56:57]
	v_fma_f64 v[58:59], v[50:51], v[52:53], v[58:59]
	s_delay_alu instid0(VALU_DEP_2) | instskip(NEXT) | instid1(VALU_DEP_2)
	v_add_f64_e32 v[2:3], v[2:3], v[56:57]
	v_add_f64_e32 v[87:88], v[58:59], v[87:88]
	ds_load_b128 v[56:59], v71 offset:8448
	s_wait_dscnt 0x0
	v_mul_f64_e32 v[89:90], v[50:51], v[58:59]
	s_delay_alu instid0(VALU_DEP_1) | instskip(SKIP_1) | instid1(VALU_DEP_2)
	v_fma_f64 v[89:90], v[48:49], v[56:57], -v[89:90]
	v_mul_f64_e32 v[48:49], v[48:49], v[58:59]
	v_add_f64_e32 v[66:67], v[66:67], v[89:90]
	s_delay_alu instid0(VALU_DEP_2) | instskip(NEXT) | instid1(VALU_DEP_1)
	v_fma_f64 v[48:49], v[50:51], v[56:57], v[48:49]
	v_add_f64_e32 v[64:65], v[48:49], v[64:65]
	ds_load_b128 v[48:51], v70 offset:8448
	s_wait_dscnt 0x0
	v_mul_f64_e32 v[89:90], v[50:51], v[54:55]
	v_mul_f64_e32 v[54:55], v[48:49], v[54:55]
	s_delay_alu instid0(VALU_DEP_2) | instskip(NEXT) | instid1(VALU_DEP_2)
	v_fma_f64 v[89:90], v[48:49], v[52:53], -v[89:90]
	v_fma_f64 v[52:53], v[50:51], v[52:53], v[54:55]
	s_delay_alu instid0(VALU_DEP_2) | instskip(NEXT) | instid1(VALU_DEP_2)
	v_add_f64_e32 v[83:84], v[83:84], v[89:90]
	v_add_f64_e32 v[85:86], v[52:53], v[85:86]
	v_mul_f64_e32 v[52:53], v[50:51], v[58:59]
	s_delay_alu instid0(VALU_DEP_1) | instskip(SKIP_1) | instid1(VALU_DEP_2)
	v_fma_f64 v[52:53], v[48:49], v[56:57], -v[52:53]
	v_mul_f64_e32 v[48:49], v[48:49], v[58:59]
	v_add_f64_e32 v[62:63], v[62:63], v[52:53]
	s_delay_alu instid0(VALU_DEP_2) | instskip(NEXT) | instid1(VALU_DEP_1)
	v_fma_f64 v[48:49], v[50:51], v[56:57], v[48:49]
	v_add_f64_e32 v[60:61], v[48:49], v[60:61]
	ds_load_b128 v[48:51], v70 offset:272
	ds_load_b128 v[52:55], v71 offset:8704
	s_wait_dscnt 0x0
	v_mul_f64_e32 v[56:57], v[50:51], v[54:55]
	v_mul_f64_e32 v[58:59], v[48:49], v[54:55]
	s_delay_alu instid0(VALU_DEP_2) | instskip(NEXT) | instid1(VALU_DEP_2)
	v_fma_f64 v[56:57], v[48:49], v[52:53], -v[56:57]
	v_fma_f64 v[58:59], v[50:51], v[52:53], v[58:59]
	s_delay_alu instid0(VALU_DEP_2) | instskip(NEXT) | instid1(VALU_DEP_2)
	v_add_f64_e32 v[2:3], v[2:3], v[56:57]
	v_add_f64_e32 v[87:88], v[58:59], v[87:88]
	ds_load_b128 v[56:59], v71 offset:8960
	s_wait_dscnt 0x0
	v_mul_f64_e32 v[89:90], v[50:51], v[58:59]
	s_delay_alu instid0(VALU_DEP_1) | instskip(SKIP_1) | instid1(VALU_DEP_2)
	v_fma_f64 v[89:90], v[48:49], v[56:57], -v[89:90]
	v_mul_f64_e32 v[48:49], v[48:49], v[58:59]
	v_add_f64_e32 v[66:67], v[66:67], v[89:90]
	s_delay_alu instid0(VALU_DEP_2) | instskip(NEXT) | instid1(VALU_DEP_1)
	v_fma_f64 v[48:49], v[50:51], v[56:57], v[48:49]
	v_add_f64_e32 v[64:65], v[48:49], v[64:65]
	ds_load_b128 v[48:51], v70 offset:8464
	s_wait_dscnt 0x0
	v_mul_f64_e32 v[89:90], v[50:51], v[54:55]
	v_mul_f64_e32 v[54:55], v[48:49], v[54:55]
	s_delay_alu instid0(VALU_DEP_2) | instskip(NEXT) | instid1(VALU_DEP_2)
	v_fma_f64 v[89:90], v[48:49], v[52:53], -v[89:90]
	v_fma_f64 v[52:53], v[50:51], v[52:53], v[54:55]
	s_delay_alu instid0(VALU_DEP_2) | instskip(NEXT) | instid1(VALU_DEP_2)
	v_add_f64_e32 v[83:84], v[83:84], v[89:90]
	v_add_f64_e32 v[85:86], v[52:53], v[85:86]
	v_mul_f64_e32 v[52:53], v[50:51], v[58:59]
	s_delay_alu instid0(VALU_DEP_1) | instskip(SKIP_1) | instid1(VALU_DEP_2)
	v_fma_f64 v[52:53], v[48:49], v[56:57], -v[52:53]
	v_mul_f64_e32 v[48:49], v[48:49], v[58:59]
	v_add_f64_e32 v[62:63], v[62:63], v[52:53]
	s_delay_alu instid0(VALU_DEP_2) | instskip(NEXT) | instid1(VALU_DEP_1)
	v_fma_f64 v[48:49], v[50:51], v[56:57], v[48:49]
	v_add_f64_e32 v[60:61], v[48:49], v[60:61]
	ds_load_b128 v[48:51], v70 offset:288
	ds_load_b128 v[52:55], v71 offset:9216
	s_wait_dscnt 0x0
	v_mul_f64_e32 v[56:57], v[50:51], v[54:55]
	v_mul_f64_e32 v[58:59], v[48:49], v[54:55]
	s_delay_alu instid0(VALU_DEP_2) | instskip(NEXT) | instid1(VALU_DEP_2)
	v_fma_f64 v[56:57], v[48:49], v[52:53], -v[56:57]
	v_fma_f64 v[58:59], v[50:51], v[52:53], v[58:59]
	s_delay_alu instid0(VALU_DEP_2) | instskip(NEXT) | instid1(VALU_DEP_2)
	v_add_f64_e32 v[2:3], v[2:3], v[56:57]
	v_add_f64_e32 v[87:88], v[58:59], v[87:88]
	ds_load_b128 v[56:59], v71 offset:9472
	s_wait_dscnt 0x0
	v_mul_f64_e32 v[89:90], v[50:51], v[58:59]
	s_delay_alu instid0(VALU_DEP_1) | instskip(SKIP_1) | instid1(VALU_DEP_2)
	v_fma_f64 v[89:90], v[48:49], v[56:57], -v[89:90]
	v_mul_f64_e32 v[48:49], v[48:49], v[58:59]
	v_add_f64_e32 v[66:67], v[66:67], v[89:90]
	s_delay_alu instid0(VALU_DEP_2) | instskip(NEXT) | instid1(VALU_DEP_1)
	v_fma_f64 v[48:49], v[50:51], v[56:57], v[48:49]
	v_add_f64_e32 v[64:65], v[48:49], v[64:65]
	ds_load_b128 v[48:51], v70 offset:8480
	s_wait_dscnt 0x0
	v_mul_f64_e32 v[89:90], v[50:51], v[54:55]
	v_mul_f64_e32 v[54:55], v[48:49], v[54:55]
	s_delay_alu instid0(VALU_DEP_2) | instskip(NEXT) | instid1(VALU_DEP_2)
	v_fma_f64 v[89:90], v[48:49], v[52:53], -v[89:90]
	v_fma_f64 v[52:53], v[50:51], v[52:53], v[54:55]
	s_delay_alu instid0(VALU_DEP_2) | instskip(NEXT) | instid1(VALU_DEP_2)
	v_add_f64_e32 v[83:84], v[83:84], v[89:90]
	v_add_f64_e32 v[85:86], v[52:53], v[85:86]
	v_mul_f64_e32 v[52:53], v[50:51], v[58:59]
	s_delay_alu instid0(VALU_DEP_1) | instskip(SKIP_1) | instid1(VALU_DEP_2)
	v_fma_f64 v[52:53], v[48:49], v[56:57], -v[52:53]
	v_mul_f64_e32 v[48:49], v[48:49], v[58:59]
	v_add_f64_e32 v[62:63], v[62:63], v[52:53]
	s_delay_alu instid0(VALU_DEP_2) | instskip(NEXT) | instid1(VALU_DEP_1)
	v_fma_f64 v[48:49], v[50:51], v[56:57], v[48:49]
	v_add_f64_e32 v[60:61], v[48:49], v[60:61]
	ds_load_b128 v[48:51], v70 offset:304
	ds_load_b128 v[52:55], v71 offset:9728
	s_wait_dscnt 0x0
	v_mul_f64_e32 v[56:57], v[50:51], v[54:55]
	v_mul_f64_e32 v[58:59], v[48:49], v[54:55]
	s_delay_alu instid0(VALU_DEP_2) | instskip(NEXT) | instid1(VALU_DEP_2)
	v_fma_f64 v[56:57], v[48:49], v[52:53], -v[56:57]
	v_fma_f64 v[58:59], v[50:51], v[52:53], v[58:59]
	s_delay_alu instid0(VALU_DEP_2) | instskip(NEXT) | instid1(VALU_DEP_2)
	v_add_f64_e32 v[2:3], v[2:3], v[56:57]
	v_add_f64_e32 v[87:88], v[58:59], v[87:88]
	ds_load_b128 v[56:59], v71 offset:9984
	s_wait_dscnt 0x0
	v_mul_f64_e32 v[89:90], v[50:51], v[58:59]
	s_delay_alu instid0(VALU_DEP_1) | instskip(SKIP_1) | instid1(VALU_DEP_2)
	v_fma_f64 v[89:90], v[48:49], v[56:57], -v[89:90]
	v_mul_f64_e32 v[48:49], v[48:49], v[58:59]
	v_add_f64_e32 v[66:67], v[66:67], v[89:90]
	s_delay_alu instid0(VALU_DEP_2) | instskip(NEXT) | instid1(VALU_DEP_1)
	v_fma_f64 v[48:49], v[50:51], v[56:57], v[48:49]
	v_add_f64_e32 v[64:65], v[48:49], v[64:65]
	ds_load_b128 v[48:51], v70 offset:8496
	s_wait_dscnt 0x0
	v_mul_f64_e32 v[89:90], v[50:51], v[54:55]
	v_mul_f64_e32 v[54:55], v[48:49], v[54:55]
	s_delay_alu instid0(VALU_DEP_2) | instskip(NEXT) | instid1(VALU_DEP_2)
	v_fma_f64 v[89:90], v[48:49], v[52:53], -v[89:90]
	v_fma_f64 v[52:53], v[50:51], v[52:53], v[54:55]
	s_delay_alu instid0(VALU_DEP_2) | instskip(NEXT) | instid1(VALU_DEP_2)
	v_add_f64_e32 v[83:84], v[83:84], v[89:90]
	v_add_f64_e32 v[85:86], v[52:53], v[85:86]
	v_mul_f64_e32 v[52:53], v[50:51], v[58:59]
	s_delay_alu instid0(VALU_DEP_1) | instskip(SKIP_1) | instid1(VALU_DEP_2)
	v_fma_f64 v[52:53], v[48:49], v[56:57], -v[52:53]
	v_mul_f64_e32 v[48:49], v[48:49], v[58:59]
	v_add_f64_e32 v[62:63], v[62:63], v[52:53]
	s_delay_alu instid0(VALU_DEP_2) | instskip(NEXT) | instid1(VALU_DEP_1)
	v_fma_f64 v[48:49], v[50:51], v[56:57], v[48:49]
	v_add_f64_e32 v[60:61], v[48:49], v[60:61]
	ds_load_b128 v[48:51], v70 offset:320
	ds_load_b128 v[52:55], v71 offset:10240
	s_wait_dscnt 0x0
	v_mul_f64_e32 v[56:57], v[50:51], v[54:55]
	v_mul_f64_e32 v[58:59], v[48:49], v[54:55]
	s_delay_alu instid0(VALU_DEP_2) | instskip(NEXT) | instid1(VALU_DEP_2)
	v_fma_f64 v[56:57], v[48:49], v[52:53], -v[56:57]
	v_fma_f64 v[58:59], v[50:51], v[52:53], v[58:59]
	s_delay_alu instid0(VALU_DEP_2) | instskip(NEXT) | instid1(VALU_DEP_2)
	v_add_f64_e32 v[2:3], v[2:3], v[56:57]
	v_add_f64_e32 v[87:88], v[58:59], v[87:88]
	ds_load_b128 v[56:59], v71 offset:10496
	s_wait_dscnt 0x0
	v_mul_f64_e32 v[89:90], v[50:51], v[58:59]
	s_delay_alu instid0(VALU_DEP_1) | instskip(SKIP_1) | instid1(VALU_DEP_2)
	v_fma_f64 v[89:90], v[48:49], v[56:57], -v[89:90]
	v_mul_f64_e32 v[48:49], v[48:49], v[58:59]
	v_add_f64_e32 v[66:67], v[66:67], v[89:90]
	s_delay_alu instid0(VALU_DEP_2) | instskip(NEXT) | instid1(VALU_DEP_1)
	v_fma_f64 v[48:49], v[50:51], v[56:57], v[48:49]
	v_add_f64_e32 v[64:65], v[48:49], v[64:65]
	ds_load_b128 v[48:51], v70 offset:8512
	s_wait_dscnt 0x0
	v_mul_f64_e32 v[89:90], v[50:51], v[54:55]
	v_mul_f64_e32 v[54:55], v[48:49], v[54:55]
	s_delay_alu instid0(VALU_DEP_2) | instskip(NEXT) | instid1(VALU_DEP_2)
	v_fma_f64 v[89:90], v[48:49], v[52:53], -v[89:90]
	v_fma_f64 v[52:53], v[50:51], v[52:53], v[54:55]
	s_delay_alu instid0(VALU_DEP_2) | instskip(NEXT) | instid1(VALU_DEP_2)
	v_add_f64_e32 v[83:84], v[83:84], v[89:90]
	v_add_f64_e32 v[85:86], v[52:53], v[85:86]
	v_mul_f64_e32 v[52:53], v[50:51], v[58:59]
	s_delay_alu instid0(VALU_DEP_1) | instskip(SKIP_1) | instid1(VALU_DEP_2)
	v_fma_f64 v[52:53], v[48:49], v[56:57], -v[52:53]
	v_mul_f64_e32 v[48:49], v[48:49], v[58:59]
	v_add_f64_e32 v[62:63], v[62:63], v[52:53]
	s_delay_alu instid0(VALU_DEP_2) | instskip(NEXT) | instid1(VALU_DEP_1)
	v_fma_f64 v[48:49], v[50:51], v[56:57], v[48:49]
	v_add_f64_e32 v[60:61], v[48:49], v[60:61]
	ds_load_b128 v[48:51], v70 offset:336
	ds_load_b128 v[52:55], v71 offset:10752
	s_wait_dscnt 0x0
	v_mul_f64_e32 v[56:57], v[50:51], v[54:55]
	v_mul_f64_e32 v[58:59], v[48:49], v[54:55]
	s_delay_alu instid0(VALU_DEP_2) | instskip(NEXT) | instid1(VALU_DEP_2)
	v_fma_f64 v[56:57], v[48:49], v[52:53], -v[56:57]
	v_fma_f64 v[58:59], v[50:51], v[52:53], v[58:59]
	s_delay_alu instid0(VALU_DEP_2) | instskip(NEXT) | instid1(VALU_DEP_2)
	v_add_f64_e32 v[2:3], v[2:3], v[56:57]
	v_add_f64_e32 v[87:88], v[58:59], v[87:88]
	ds_load_b128 v[56:59], v71 offset:11008
	s_wait_dscnt 0x0
	v_mul_f64_e32 v[89:90], v[50:51], v[58:59]
	s_delay_alu instid0(VALU_DEP_1) | instskip(SKIP_1) | instid1(VALU_DEP_2)
	v_fma_f64 v[89:90], v[48:49], v[56:57], -v[89:90]
	v_mul_f64_e32 v[48:49], v[48:49], v[58:59]
	v_add_f64_e32 v[66:67], v[66:67], v[89:90]
	s_delay_alu instid0(VALU_DEP_2) | instskip(NEXT) | instid1(VALU_DEP_1)
	v_fma_f64 v[48:49], v[50:51], v[56:57], v[48:49]
	v_add_f64_e32 v[64:65], v[48:49], v[64:65]
	ds_load_b128 v[48:51], v70 offset:8528
	s_wait_dscnt 0x0
	v_mul_f64_e32 v[89:90], v[50:51], v[54:55]
	v_mul_f64_e32 v[54:55], v[48:49], v[54:55]
	s_delay_alu instid0(VALU_DEP_2) | instskip(NEXT) | instid1(VALU_DEP_2)
	v_fma_f64 v[89:90], v[48:49], v[52:53], -v[89:90]
	v_fma_f64 v[52:53], v[50:51], v[52:53], v[54:55]
	s_delay_alu instid0(VALU_DEP_2) | instskip(NEXT) | instid1(VALU_DEP_2)
	v_add_f64_e32 v[83:84], v[83:84], v[89:90]
	v_add_f64_e32 v[85:86], v[52:53], v[85:86]
	v_mul_f64_e32 v[52:53], v[50:51], v[58:59]
	s_delay_alu instid0(VALU_DEP_1) | instskip(SKIP_1) | instid1(VALU_DEP_2)
	v_fma_f64 v[52:53], v[48:49], v[56:57], -v[52:53]
	v_mul_f64_e32 v[48:49], v[48:49], v[58:59]
	v_add_f64_e32 v[62:63], v[62:63], v[52:53]
	s_delay_alu instid0(VALU_DEP_2) | instskip(NEXT) | instid1(VALU_DEP_1)
	v_fma_f64 v[48:49], v[50:51], v[56:57], v[48:49]
	v_add_f64_e32 v[60:61], v[48:49], v[60:61]
	ds_load_b128 v[48:51], v70 offset:352
	ds_load_b128 v[52:55], v71 offset:11264
	s_wait_dscnt 0x0
	v_mul_f64_e32 v[56:57], v[50:51], v[54:55]
	v_mul_f64_e32 v[58:59], v[48:49], v[54:55]
	s_delay_alu instid0(VALU_DEP_2) | instskip(NEXT) | instid1(VALU_DEP_2)
	v_fma_f64 v[56:57], v[48:49], v[52:53], -v[56:57]
	v_fma_f64 v[58:59], v[50:51], v[52:53], v[58:59]
	s_delay_alu instid0(VALU_DEP_2) | instskip(NEXT) | instid1(VALU_DEP_2)
	v_add_f64_e32 v[2:3], v[2:3], v[56:57]
	v_add_f64_e32 v[87:88], v[58:59], v[87:88]
	ds_load_b128 v[56:59], v71 offset:11520
	s_wait_dscnt 0x0
	v_mul_f64_e32 v[89:90], v[50:51], v[58:59]
	s_delay_alu instid0(VALU_DEP_1) | instskip(SKIP_1) | instid1(VALU_DEP_2)
	v_fma_f64 v[89:90], v[48:49], v[56:57], -v[89:90]
	v_mul_f64_e32 v[48:49], v[48:49], v[58:59]
	v_add_f64_e32 v[66:67], v[66:67], v[89:90]
	s_delay_alu instid0(VALU_DEP_2) | instskip(NEXT) | instid1(VALU_DEP_1)
	v_fma_f64 v[48:49], v[50:51], v[56:57], v[48:49]
	v_add_f64_e32 v[64:65], v[48:49], v[64:65]
	ds_load_b128 v[48:51], v70 offset:8544
	s_wait_dscnt 0x0
	v_mul_f64_e32 v[89:90], v[50:51], v[54:55]
	v_mul_f64_e32 v[54:55], v[48:49], v[54:55]
	s_delay_alu instid0(VALU_DEP_2) | instskip(NEXT) | instid1(VALU_DEP_2)
	v_fma_f64 v[89:90], v[48:49], v[52:53], -v[89:90]
	v_fma_f64 v[52:53], v[50:51], v[52:53], v[54:55]
	s_delay_alu instid0(VALU_DEP_2) | instskip(NEXT) | instid1(VALU_DEP_2)
	v_add_f64_e32 v[83:84], v[83:84], v[89:90]
	v_add_f64_e32 v[85:86], v[52:53], v[85:86]
	v_mul_f64_e32 v[52:53], v[50:51], v[58:59]
	s_delay_alu instid0(VALU_DEP_1) | instskip(SKIP_1) | instid1(VALU_DEP_2)
	v_fma_f64 v[52:53], v[48:49], v[56:57], -v[52:53]
	v_mul_f64_e32 v[48:49], v[48:49], v[58:59]
	v_add_f64_e32 v[62:63], v[62:63], v[52:53]
	s_delay_alu instid0(VALU_DEP_2) | instskip(NEXT) | instid1(VALU_DEP_1)
	v_fma_f64 v[48:49], v[50:51], v[56:57], v[48:49]
	v_add_f64_e32 v[60:61], v[48:49], v[60:61]
	ds_load_b128 v[48:51], v70 offset:368
	ds_load_b128 v[52:55], v71 offset:11776
	s_wait_dscnt 0x0
	v_mul_f64_e32 v[56:57], v[50:51], v[54:55]
	v_mul_f64_e32 v[58:59], v[48:49], v[54:55]
	s_delay_alu instid0(VALU_DEP_2) | instskip(NEXT) | instid1(VALU_DEP_2)
	v_fma_f64 v[56:57], v[48:49], v[52:53], -v[56:57]
	v_fma_f64 v[58:59], v[50:51], v[52:53], v[58:59]
	s_delay_alu instid0(VALU_DEP_2) | instskip(NEXT) | instid1(VALU_DEP_2)
	v_add_f64_e32 v[2:3], v[2:3], v[56:57]
	v_add_f64_e32 v[87:88], v[58:59], v[87:88]
	ds_load_b128 v[56:59], v71 offset:12032
	s_wait_dscnt 0x0
	v_mul_f64_e32 v[89:90], v[50:51], v[58:59]
	s_delay_alu instid0(VALU_DEP_1) | instskip(SKIP_1) | instid1(VALU_DEP_2)
	v_fma_f64 v[89:90], v[48:49], v[56:57], -v[89:90]
	v_mul_f64_e32 v[48:49], v[48:49], v[58:59]
	v_add_f64_e32 v[66:67], v[66:67], v[89:90]
	s_delay_alu instid0(VALU_DEP_2) | instskip(NEXT) | instid1(VALU_DEP_1)
	v_fma_f64 v[48:49], v[50:51], v[56:57], v[48:49]
	v_add_f64_e32 v[64:65], v[48:49], v[64:65]
	ds_load_b128 v[48:51], v70 offset:8560
	s_wait_dscnt 0x0
	v_mul_f64_e32 v[89:90], v[50:51], v[54:55]
	v_mul_f64_e32 v[54:55], v[48:49], v[54:55]
	s_delay_alu instid0(VALU_DEP_2) | instskip(NEXT) | instid1(VALU_DEP_2)
	v_fma_f64 v[89:90], v[48:49], v[52:53], -v[89:90]
	v_fma_f64 v[52:53], v[50:51], v[52:53], v[54:55]
	s_delay_alu instid0(VALU_DEP_2) | instskip(NEXT) | instid1(VALU_DEP_2)
	v_add_f64_e32 v[83:84], v[83:84], v[89:90]
	v_add_f64_e32 v[85:86], v[52:53], v[85:86]
	v_mul_f64_e32 v[52:53], v[50:51], v[58:59]
	s_delay_alu instid0(VALU_DEP_1) | instskip(SKIP_1) | instid1(VALU_DEP_2)
	v_fma_f64 v[52:53], v[48:49], v[56:57], -v[52:53]
	v_mul_f64_e32 v[48:49], v[48:49], v[58:59]
	v_add_f64_e32 v[62:63], v[62:63], v[52:53]
	s_delay_alu instid0(VALU_DEP_2) | instskip(NEXT) | instid1(VALU_DEP_1)
	v_fma_f64 v[48:49], v[50:51], v[56:57], v[48:49]
	v_add_f64_e32 v[60:61], v[48:49], v[60:61]
	ds_load_b128 v[48:51], v70 offset:384
	ds_load_b128 v[52:55], v71 offset:12288
	s_wait_dscnt 0x0
	v_mul_f64_e32 v[56:57], v[50:51], v[54:55]
	v_mul_f64_e32 v[58:59], v[48:49], v[54:55]
	s_delay_alu instid0(VALU_DEP_2) | instskip(NEXT) | instid1(VALU_DEP_2)
	v_fma_f64 v[56:57], v[48:49], v[52:53], -v[56:57]
	v_fma_f64 v[58:59], v[50:51], v[52:53], v[58:59]
	s_delay_alu instid0(VALU_DEP_2) | instskip(NEXT) | instid1(VALU_DEP_2)
	v_add_f64_e32 v[2:3], v[2:3], v[56:57]
	v_add_f64_e32 v[87:88], v[58:59], v[87:88]
	ds_load_b128 v[56:59], v71 offset:12544
	s_wait_dscnt 0x0
	v_mul_f64_e32 v[89:90], v[50:51], v[58:59]
	s_delay_alu instid0(VALU_DEP_1) | instskip(SKIP_1) | instid1(VALU_DEP_2)
	v_fma_f64 v[89:90], v[48:49], v[56:57], -v[89:90]
	v_mul_f64_e32 v[48:49], v[48:49], v[58:59]
	v_add_f64_e32 v[66:67], v[66:67], v[89:90]
	s_delay_alu instid0(VALU_DEP_2) | instskip(NEXT) | instid1(VALU_DEP_1)
	v_fma_f64 v[48:49], v[50:51], v[56:57], v[48:49]
	v_add_f64_e32 v[64:65], v[48:49], v[64:65]
	ds_load_b128 v[48:51], v70 offset:8576
	s_wait_dscnt 0x0
	v_mul_f64_e32 v[89:90], v[50:51], v[54:55]
	v_mul_f64_e32 v[54:55], v[48:49], v[54:55]
	s_delay_alu instid0(VALU_DEP_2) | instskip(NEXT) | instid1(VALU_DEP_2)
	v_fma_f64 v[89:90], v[48:49], v[52:53], -v[89:90]
	v_fma_f64 v[52:53], v[50:51], v[52:53], v[54:55]
	s_delay_alu instid0(VALU_DEP_2) | instskip(NEXT) | instid1(VALU_DEP_2)
	v_add_f64_e32 v[83:84], v[83:84], v[89:90]
	v_add_f64_e32 v[85:86], v[52:53], v[85:86]
	v_mul_f64_e32 v[52:53], v[50:51], v[58:59]
	s_delay_alu instid0(VALU_DEP_1) | instskip(SKIP_1) | instid1(VALU_DEP_2)
	v_fma_f64 v[52:53], v[48:49], v[56:57], -v[52:53]
	v_mul_f64_e32 v[48:49], v[48:49], v[58:59]
	v_add_f64_e32 v[62:63], v[62:63], v[52:53]
	s_delay_alu instid0(VALU_DEP_2) | instskip(NEXT) | instid1(VALU_DEP_1)
	v_fma_f64 v[48:49], v[50:51], v[56:57], v[48:49]
	v_add_f64_e32 v[60:61], v[48:49], v[60:61]
	ds_load_b128 v[48:51], v70 offset:400
	ds_load_b128 v[52:55], v71 offset:12800
	s_wait_dscnt 0x0
	v_mul_f64_e32 v[56:57], v[50:51], v[54:55]
	v_mul_f64_e32 v[58:59], v[48:49], v[54:55]
	s_delay_alu instid0(VALU_DEP_2) | instskip(NEXT) | instid1(VALU_DEP_2)
	v_fma_f64 v[56:57], v[48:49], v[52:53], -v[56:57]
	v_fma_f64 v[58:59], v[50:51], v[52:53], v[58:59]
	s_delay_alu instid0(VALU_DEP_2) | instskip(NEXT) | instid1(VALU_DEP_2)
	v_add_f64_e32 v[2:3], v[2:3], v[56:57]
	v_add_f64_e32 v[87:88], v[58:59], v[87:88]
	ds_load_b128 v[56:59], v71 offset:13056
	s_wait_dscnt 0x0
	v_mul_f64_e32 v[89:90], v[50:51], v[58:59]
	s_delay_alu instid0(VALU_DEP_1) | instskip(SKIP_1) | instid1(VALU_DEP_2)
	v_fma_f64 v[89:90], v[48:49], v[56:57], -v[89:90]
	v_mul_f64_e32 v[48:49], v[48:49], v[58:59]
	v_add_f64_e32 v[66:67], v[66:67], v[89:90]
	s_delay_alu instid0(VALU_DEP_2) | instskip(NEXT) | instid1(VALU_DEP_1)
	v_fma_f64 v[48:49], v[50:51], v[56:57], v[48:49]
	v_add_f64_e32 v[64:65], v[48:49], v[64:65]
	ds_load_b128 v[48:51], v70 offset:8592
	s_wait_dscnt 0x0
	v_mul_f64_e32 v[89:90], v[50:51], v[54:55]
	v_mul_f64_e32 v[54:55], v[48:49], v[54:55]
	s_delay_alu instid0(VALU_DEP_2) | instskip(NEXT) | instid1(VALU_DEP_2)
	v_fma_f64 v[89:90], v[48:49], v[52:53], -v[89:90]
	v_fma_f64 v[52:53], v[50:51], v[52:53], v[54:55]
	s_delay_alu instid0(VALU_DEP_2) | instskip(NEXT) | instid1(VALU_DEP_2)
	v_add_f64_e32 v[83:84], v[83:84], v[89:90]
	v_add_f64_e32 v[85:86], v[52:53], v[85:86]
	v_mul_f64_e32 v[52:53], v[50:51], v[58:59]
	s_delay_alu instid0(VALU_DEP_1) | instskip(SKIP_1) | instid1(VALU_DEP_2)
	v_fma_f64 v[52:53], v[48:49], v[56:57], -v[52:53]
	v_mul_f64_e32 v[48:49], v[48:49], v[58:59]
	v_add_f64_e32 v[62:63], v[62:63], v[52:53]
	s_delay_alu instid0(VALU_DEP_2) | instskip(NEXT) | instid1(VALU_DEP_1)
	v_fma_f64 v[48:49], v[50:51], v[56:57], v[48:49]
	v_add_f64_e32 v[60:61], v[48:49], v[60:61]
	ds_load_b128 v[48:51], v70 offset:416
	ds_load_b128 v[52:55], v71 offset:13312
	s_wait_dscnt 0x0
	v_mul_f64_e32 v[56:57], v[50:51], v[54:55]
	v_mul_f64_e32 v[58:59], v[48:49], v[54:55]
	s_delay_alu instid0(VALU_DEP_2) | instskip(NEXT) | instid1(VALU_DEP_2)
	v_fma_f64 v[56:57], v[48:49], v[52:53], -v[56:57]
	v_fma_f64 v[58:59], v[50:51], v[52:53], v[58:59]
	s_delay_alu instid0(VALU_DEP_2) | instskip(NEXT) | instid1(VALU_DEP_2)
	v_add_f64_e32 v[2:3], v[2:3], v[56:57]
	v_add_f64_e32 v[87:88], v[58:59], v[87:88]
	ds_load_b128 v[56:59], v71 offset:13568
	s_wait_dscnt 0x0
	v_mul_f64_e32 v[89:90], v[50:51], v[58:59]
	s_delay_alu instid0(VALU_DEP_1) | instskip(SKIP_1) | instid1(VALU_DEP_2)
	v_fma_f64 v[89:90], v[48:49], v[56:57], -v[89:90]
	v_mul_f64_e32 v[48:49], v[48:49], v[58:59]
	v_add_f64_e32 v[66:67], v[66:67], v[89:90]
	s_delay_alu instid0(VALU_DEP_2) | instskip(NEXT) | instid1(VALU_DEP_1)
	v_fma_f64 v[48:49], v[50:51], v[56:57], v[48:49]
	v_add_f64_e32 v[64:65], v[48:49], v[64:65]
	ds_load_b128 v[48:51], v70 offset:8608
	s_wait_dscnt 0x0
	v_mul_f64_e32 v[89:90], v[50:51], v[54:55]
	v_mul_f64_e32 v[54:55], v[48:49], v[54:55]
	s_delay_alu instid0(VALU_DEP_2) | instskip(NEXT) | instid1(VALU_DEP_2)
	v_fma_f64 v[89:90], v[48:49], v[52:53], -v[89:90]
	v_fma_f64 v[52:53], v[50:51], v[52:53], v[54:55]
	s_delay_alu instid0(VALU_DEP_2) | instskip(NEXT) | instid1(VALU_DEP_2)
	v_add_f64_e32 v[83:84], v[83:84], v[89:90]
	v_add_f64_e32 v[85:86], v[52:53], v[85:86]
	v_mul_f64_e32 v[52:53], v[50:51], v[58:59]
	s_delay_alu instid0(VALU_DEP_1) | instskip(SKIP_1) | instid1(VALU_DEP_2)
	v_fma_f64 v[52:53], v[48:49], v[56:57], -v[52:53]
	v_mul_f64_e32 v[48:49], v[48:49], v[58:59]
	v_add_f64_e32 v[62:63], v[62:63], v[52:53]
	s_delay_alu instid0(VALU_DEP_2) | instskip(NEXT) | instid1(VALU_DEP_1)
	v_fma_f64 v[48:49], v[50:51], v[56:57], v[48:49]
	v_add_f64_e32 v[60:61], v[48:49], v[60:61]
	ds_load_b128 v[48:51], v70 offset:432
	ds_load_b128 v[52:55], v71 offset:13824
	s_wait_dscnt 0x0
	v_mul_f64_e32 v[56:57], v[50:51], v[54:55]
	v_mul_f64_e32 v[58:59], v[48:49], v[54:55]
	s_delay_alu instid0(VALU_DEP_2) | instskip(NEXT) | instid1(VALU_DEP_2)
	v_fma_f64 v[56:57], v[48:49], v[52:53], -v[56:57]
	v_fma_f64 v[58:59], v[50:51], v[52:53], v[58:59]
	s_delay_alu instid0(VALU_DEP_2) | instskip(NEXT) | instid1(VALU_DEP_2)
	v_add_f64_e32 v[2:3], v[2:3], v[56:57]
	v_add_f64_e32 v[87:88], v[58:59], v[87:88]
	ds_load_b128 v[56:59], v71 offset:14080
	s_wait_dscnt 0x0
	v_mul_f64_e32 v[89:90], v[50:51], v[58:59]
	s_delay_alu instid0(VALU_DEP_1) | instskip(SKIP_1) | instid1(VALU_DEP_2)
	v_fma_f64 v[89:90], v[48:49], v[56:57], -v[89:90]
	v_mul_f64_e32 v[48:49], v[48:49], v[58:59]
	v_add_f64_e32 v[66:67], v[66:67], v[89:90]
	s_delay_alu instid0(VALU_DEP_2) | instskip(NEXT) | instid1(VALU_DEP_1)
	v_fma_f64 v[48:49], v[50:51], v[56:57], v[48:49]
	v_add_f64_e32 v[64:65], v[48:49], v[64:65]
	ds_load_b128 v[48:51], v70 offset:8624
	s_wait_dscnt 0x0
	v_mul_f64_e32 v[89:90], v[50:51], v[54:55]
	v_mul_f64_e32 v[54:55], v[48:49], v[54:55]
	s_delay_alu instid0(VALU_DEP_2) | instskip(NEXT) | instid1(VALU_DEP_2)
	v_fma_f64 v[89:90], v[48:49], v[52:53], -v[89:90]
	v_fma_f64 v[52:53], v[50:51], v[52:53], v[54:55]
	s_delay_alu instid0(VALU_DEP_2) | instskip(NEXT) | instid1(VALU_DEP_2)
	v_add_f64_e32 v[83:84], v[83:84], v[89:90]
	v_add_f64_e32 v[85:86], v[52:53], v[85:86]
	v_mul_f64_e32 v[52:53], v[50:51], v[58:59]
	s_delay_alu instid0(VALU_DEP_1) | instskip(SKIP_1) | instid1(VALU_DEP_2)
	v_fma_f64 v[52:53], v[48:49], v[56:57], -v[52:53]
	v_mul_f64_e32 v[48:49], v[48:49], v[58:59]
	v_add_f64_e32 v[62:63], v[62:63], v[52:53]
	s_delay_alu instid0(VALU_DEP_2) | instskip(NEXT) | instid1(VALU_DEP_1)
	v_fma_f64 v[48:49], v[50:51], v[56:57], v[48:49]
	v_add_f64_e32 v[60:61], v[48:49], v[60:61]
	ds_load_b128 v[48:51], v70 offset:448
	ds_load_b128 v[52:55], v71 offset:14336
	s_wait_dscnt 0x0
	v_mul_f64_e32 v[56:57], v[50:51], v[54:55]
	v_mul_f64_e32 v[58:59], v[48:49], v[54:55]
	s_delay_alu instid0(VALU_DEP_2) | instskip(NEXT) | instid1(VALU_DEP_2)
	v_fma_f64 v[56:57], v[48:49], v[52:53], -v[56:57]
	v_fma_f64 v[58:59], v[50:51], v[52:53], v[58:59]
	s_delay_alu instid0(VALU_DEP_2) | instskip(NEXT) | instid1(VALU_DEP_2)
	v_add_f64_e32 v[2:3], v[2:3], v[56:57]
	v_add_f64_e32 v[87:88], v[58:59], v[87:88]
	ds_load_b128 v[56:59], v71 offset:14592
	s_wait_dscnt 0x0
	v_mul_f64_e32 v[89:90], v[50:51], v[58:59]
	s_delay_alu instid0(VALU_DEP_1) | instskip(SKIP_1) | instid1(VALU_DEP_2)
	v_fma_f64 v[89:90], v[48:49], v[56:57], -v[89:90]
	v_mul_f64_e32 v[48:49], v[48:49], v[58:59]
	v_add_f64_e32 v[66:67], v[66:67], v[89:90]
	s_delay_alu instid0(VALU_DEP_2) | instskip(NEXT) | instid1(VALU_DEP_1)
	v_fma_f64 v[48:49], v[50:51], v[56:57], v[48:49]
	v_add_f64_e32 v[64:65], v[48:49], v[64:65]
	ds_load_b128 v[48:51], v70 offset:8640
	s_wait_dscnt 0x0
	v_mul_f64_e32 v[89:90], v[50:51], v[54:55]
	v_mul_f64_e32 v[54:55], v[48:49], v[54:55]
	s_delay_alu instid0(VALU_DEP_2) | instskip(NEXT) | instid1(VALU_DEP_2)
	v_fma_f64 v[89:90], v[48:49], v[52:53], -v[89:90]
	v_fma_f64 v[52:53], v[50:51], v[52:53], v[54:55]
	s_delay_alu instid0(VALU_DEP_2) | instskip(NEXT) | instid1(VALU_DEP_2)
	v_add_f64_e32 v[83:84], v[83:84], v[89:90]
	v_add_f64_e32 v[85:86], v[52:53], v[85:86]
	v_mul_f64_e32 v[52:53], v[50:51], v[58:59]
	s_delay_alu instid0(VALU_DEP_1) | instskip(SKIP_1) | instid1(VALU_DEP_2)
	v_fma_f64 v[52:53], v[48:49], v[56:57], -v[52:53]
	v_mul_f64_e32 v[48:49], v[48:49], v[58:59]
	v_add_f64_e32 v[62:63], v[62:63], v[52:53]
	s_delay_alu instid0(VALU_DEP_2) | instskip(NEXT) | instid1(VALU_DEP_1)
	v_fma_f64 v[48:49], v[50:51], v[56:57], v[48:49]
	v_add_f64_e32 v[60:61], v[48:49], v[60:61]
	ds_load_b128 v[48:51], v70 offset:464
	ds_load_b128 v[52:55], v71 offset:14848
	s_wait_dscnt 0x0
	v_mul_f64_e32 v[56:57], v[50:51], v[54:55]
	v_mul_f64_e32 v[58:59], v[48:49], v[54:55]
	s_delay_alu instid0(VALU_DEP_2) | instskip(NEXT) | instid1(VALU_DEP_2)
	v_fma_f64 v[56:57], v[48:49], v[52:53], -v[56:57]
	v_fma_f64 v[58:59], v[50:51], v[52:53], v[58:59]
	s_delay_alu instid0(VALU_DEP_2) | instskip(NEXT) | instid1(VALU_DEP_2)
	v_add_f64_e32 v[2:3], v[2:3], v[56:57]
	v_add_f64_e32 v[87:88], v[58:59], v[87:88]
	ds_load_b128 v[56:59], v71 offset:15104
	s_wait_dscnt 0x0
	v_mul_f64_e32 v[89:90], v[50:51], v[58:59]
	s_delay_alu instid0(VALU_DEP_1) | instskip(SKIP_1) | instid1(VALU_DEP_2)
	v_fma_f64 v[89:90], v[48:49], v[56:57], -v[89:90]
	v_mul_f64_e32 v[48:49], v[48:49], v[58:59]
	v_add_f64_e32 v[66:67], v[66:67], v[89:90]
	s_delay_alu instid0(VALU_DEP_2) | instskip(NEXT) | instid1(VALU_DEP_1)
	v_fma_f64 v[48:49], v[50:51], v[56:57], v[48:49]
	v_add_f64_e32 v[64:65], v[48:49], v[64:65]
	ds_load_b128 v[48:51], v70 offset:8656
	s_wait_dscnt 0x0
	v_mul_f64_e32 v[89:90], v[50:51], v[54:55]
	v_mul_f64_e32 v[54:55], v[48:49], v[54:55]
	s_delay_alu instid0(VALU_DEP_2) | instskip(NEXT) | instid1(VALU_DEP_2)
	v_fma_f64 v[89:90], v[48:49], v[52:53], -v[89:90]
	v_fma_f64 v[52:53], v[50:51], v[52:53], v[54:55]
	s_delay_alu instid0(VALU_DEP_2) | instskip(NEXT) | instid1(VALU_DEP_2)
	v_add_f64_e32 v[83:84], v[83:84], v[89:90]
	v_add_f64_e32 v[85:86], v[52:53], v[85:86]
	v_mul_f64_e32 v[52:53], v[50:51], v[58:59]
	s_delay_alu instid0(VALU_DEP_1) | instskip(SKIP_1) | instid1(VALU_DEP_2)
	v_fma_f64 v[52:53], v[48:49], v[56:57], -v[52:53]
	v_mul_f64_e32 v[48:49], v[48:49], v[58:59]
	v_add_f64_e32 v[62:63], v[62:63], v[52:53]
	s_delay_alu instid0(VALU_DEP_2) | instskip(NEXT) | instid1(VALU_DEP_1)
	v_fma_f64 v[48:49], v[50:51], v[56:57], v[48:49]
	v_add_f64_e32 v[60:61], v[48:49], v[60:61]
	ds_load_b128 v[48:51], v70 offset:480
	ds_load_b128 v[52:55], v71 offset:15360
	s_wait_dscnt 0x0
	v_mul_f64_e32 v[56:57], v[50:51], v[54:55]
	v_mul_f64_e32 v[58:59], v[48:49], v[54:55]
	s_delay_alu instid0(VALU_DEP_2) | instskip(NEXT) | instid1(VALU_DEP_2)
	v_fma_f64 v[56:57], v[48:49], v[52:53], -v[56:57]
	v_fma_f64 v[58:59], v[50:51], v[52:53], v[58:59]
	s_delay_alu instid0(VALU_DEP_2) | instskip(NEXT) | instid1(VALU_DEP_2)
	v_add_f64_e32 v[89:90], v[2:3], v[56:57]
	v_add_f64_e32 v[87:88], v[58:59], v[87:88]
	ds_load_b128 v[56:59], v71 offset:15616
	s_wait_dscnt 0x0
	v_mul_f64_e32 v[2:3], v[50:51], v[58:59]
	s_delay_alu instid0(VALU_DEP_1) | instskip(SKIP_1) | instid1(VALU_DEP_2)
	v_fma_f64 v[2:3], v[48:49], v[56:57], -v[2:3]
	v_mul_f64_e32 v[48:49], v[48:49], v[58:59]
	v_add_f64_e32 v[91:92], v[66:67], v[2:3]
	s_delay_alu instid0(VALU_DEP_2) | instskip(NEXT) | instid1(VALU_DEP_1)
	v_fma_f64 v[48:49], v[50:51], v[56:57], v[48:49]
	v_add_f64_e32 v[93:94], v[48:49], v[64:65]
	ds_load_b128 v[48:51], v70 offset:8672
	s_wait_dscnt 0x0
	v_mul_f64_e32 v[2:3], v[50:51], v[54:55]
	v_mul_f64_e32 v[54:55], v[48:49], v[54:55]
	s_delay_alu instid0(VALU_DEP_2) | instskip(NEXT) | instid1(VALU_DEP_2)
	v_fma_f64 v[2:3], v[48:49], v[52:53], -v[2:3]
	v_fma_f64 v[52:53], v[50:51], v[52:53], v[54:55]
	s_delay_alu instid0(VALU_DEP_2) | instskip(SKIP_1) | instid1(VALU_DEP_3)
	v_add_f64_e32 v[95:96], v[83:84], v[2:3]
	v_mul_f64_e32 v[2:3], v[50:51], v[58:59]
	v_add_f64_e32 v[97:98], v[52:53], v[85:86]
	s_delay_alu instid0(VALU_DEP_2) | instskip(SKIP_1) | instid1(VALU_DEP_2)
	v_fma_f64 v[2:3], v[48:49], v[56:57], -v[2:3]
	v_mul_f64_e32 v[48:49], v[48:49], v[58:59]
	v_add_f64_e32 v[2:3], v[62:63], v[2:3]
	s_delay_alu instid0(VALU_DEP_2) | instskip(NEXT) | instid1(VALU_DEP_1)
	v_fma_f64 v[48:49], v[50:51], v[56:57], v[48:49]
	v_add_f64_e32 v[60:61], v[48:49], v[60:61]
	ds_load_b128 v[48:51], v70 offset:496
	ds_load_b128 v[52:55], v71 offset:15872
	;; [unrolled: 1-line block ×4, first 2 shown]
	s_wait_loadcnt_dscnt 0x0
	s_barrier_signal -1
	s_barrier_wait -1
	global_inv scope:SCOPE_SE
	v_mul_f64_e32 v[56:57], v[50:51], v[54:55]
	v_mul_f64_e32 v[62:63], v[50:51], v[66:67]
	;; [unrolled: 1-line block ×3, first 2 shown]
	s_delay_alu instid0(VALU_DEP_3) | instskip(NEXT) | instid1(VALU_DEP_3)
	v_fma_f64 v[56:57], v[48:49], v[52:53], -v[56:57]
	v_fma_f64 v[62:63], v[48:49], v[64:65], -v[62:63]
	v_mul_f64_e32 v[48:49], v[48:49], v[66:67]
	s_delay_alu instid0(VALU_DEP_4) | instskip(NEXT) | instid1(VALU_DEP_4)
	v_fma_f64 v[58:59], v[50:51], v[52:53], v[58:59]
	v_add_f64_e32 v[56:57], v[89:90], v[56:57]
	s_delay_alu instid0(VALU_DEP_3)
	v_fma_f64 v[50:51], v[50:51], v[64:65], v[48:49]
	v_add_f64_e32 v[48:49], v[91:92], v[62:63]
	v_mul_f64_e32 v[62:63], v[85:86], v[54:55]
	v_mul_f64_e32 v[54:55], v[83:84], v[54:55]
	v_add_f64_e32 v[58:59], v[58:59], v[87:88]
	v_add_f64_e32 v[50:51], v[50:51], v[93:94]
	s_delay_alu instid0(VALU_DEP_4) | instskip(NEXT) | instid1(VALU_DEP_4)
	v_fma_f64 v[62:63], v[83:84], v[52:53], -v[62:63]
	v_fma_f64 v[54:55], v[85:86], v[52:53], v[54:55]
	s_delay_alu instid0(VALU_DEP_2) | instskip(SKIP_2) | instid1(VALU_DEP_4)
	v_add_f64_e32 v[52:53], v[95:96], v[62:63]
	v_mul_f64_e32 v[62:63], v[85:86], v[66:67]
	v_mul_f64_e32 v[66:67], v[83:84], v[66:67]
	v_add_f64_e32 v[54:55], v[54:55], v[97:98]
	s_delay_alu instid0(VALU_DEP_3) | instskip(NEXT) | instid1(VALU_DEP_3)
	v_fma_f64 v[62:63], v[83:84], v[64:65], -v[62:63]
	v_fma_f64 v[64:65], v[85:86], v[64:65], v[66:67]
	s_delay_alu instid0(VALU_DEP_2) | instskip(NEXT) | instid1(VALU_DEP_2)
	v_add_f64_e32 v[62:63], v[2:3], v[62:63]
	v_add_f64_e32 v[60:61], v[64:65], v[60:61]
	s_cbranch_scc1 .LBB124_59
.LBB124_11:                             ;   Parent Loop BB124_4 Depth=1
                                        ;     Parent Loop BB124_8 Depth=2
                                        ; =>    This Inner Loop Header: Depth=3
	s_wait_alu 0xfffe
	v_add_co_u32 v64, s5, v68, s22
	s_wait_alu 0xf1ff
	v_add_co_ci_u32_e64 v65, null, 0, s23, s5
	v_cmp_eq_u64_e64 s7, s[22:23], v[34:35]
	s_delay_alu instid0(VALU_DEP_2)
	v_cmp_gt_i64_e64 s5, v[64:65], v[30:31]
	v_cmp_le_i64_e64 s6, s[10:11], v[64:65]
	s_and_b32 s52, s36, s7
	v_add_co_u32 v66, s7, v44, v36
	s_or_b32 s8, vcc_lo, s5
	v_add_co_ci_u32_e64 v67, null, v45, v37, s7
	s_wait_alu 0xfffe
	s_or_b32 s7, s8, s52
	s_wait_alu 0xfffe
	s_nor_b32 s7, s6, s7
	s_wait_alu 0xfffe
	s_and_saveexec_b32 s8, s7
	s_wait_alu 0xfffe
	s_xor_b32 s7, exec_lo, s8
	s_cbranch_execz .LBB124_13
; %bb.12:                               ;   in Loop: Header=BB124_11 Depth=3
	global_load_b128 v[83:86], v[66:67], off offset:-256
	s_wait_loadcnt 0x0
	ds_store_2addr_b64 v72, v[83:84], v[85:86] offset1:1
.LBB124_13:                             ;   in Loop: Header=BB124_11 Depth=3
	s_wait_alu 0xfffe
	s_or_saveexec_b32 s7, s7
	s_xor_b32 s37, s52, -1
	s_wait_alu 0xfffe
	s_xor_b32 exec_lo, exec_lo, s7
	s_cbranch_execz .LBB124_19
; %bb.14:                               ;   in Loop: Header=BB124_11 Depth=3
	s_and_saveexec_b32 s8, s37
	s_wait_alu 0xfffe
	s_xor_b32 s8, exec_lo, s8
; %bb.15:                               ;   in Loop: Header=BB124_11 Depth=3
	v_dual_mov_b32 v83, v0 :: v_dual_mov_b32 v84, v0
	v_dual_mov_b32 v85, v0 :: v_dual_mov_b32 v86, v0
	ds_store_b128 v72, v[83:86]
; %bb.16:                               ;   in Loop: Header=BB124_11 Depth=3
	s_wait_alu 0xfffe
	s_and_not1_saveexec_b32 s8, s8
; %bb.17:                               ;   in Loop: Header=BB124_11 Depth=3
	v_dual_mov_b32 v2, v0 :: v_dual_mov_b32 v3, v0
	ds_store_b128 v72, v[0:3]
; %bb.18:                               ;   in Loop: Header=BB124_11 Depth=3
	s_wait_alu 0xfffe
	s_or_b32 exec_lo, exec_lo, s8
.LBB124_19:                             ;   in Loop: Header=BB124_11 Depth=3
	s_delay_alu instid0(SALU_CYCLE_1) | instskip(SKIP_4) | instid1(VALU_DEP_2)
	s_or_b32 exec_lo, exec_lo, s7
	v_add_co_u32 v2, s7, v64, 16
	s_wait_alu 0xf1ff
	v_add_co_ci_u32_e64 v3, null, 0, v65, s7
	v_cmp_eq_u64_e64 s8, s[22:23], v[40:41]
	v_cmp_gt_i64_e64 s9, v[2:3], v[30:31]
	v_cmp_le_i64_e64 s7, s[10:11], v[2:3]
	s_and_b32 s53, s36, s8
	s_or_b32 s8, vcc_lo, s9
	s_wait_alu 0xfffe
	s_or_b32 s8, s8, s53
	s_wait_alu 0xfffe
	s_nor_b32 s8, s7, s8
	s_wait_alu 0xfffe
	s_and_saveexec_b32 s9, s8
	s_wait_alu 0xfffe
	s_xor_b32 s9, exec_lo, s9
	s_cbranch_execz .LBB124_21
; %bb.20:                               ;   in Loop: Header=BB124_11 Depth=3
	v_add_co_u32 v2, s8, v42, v36
	s_wait_alu 0xf1ff
	v_add_co_ci_u32_e64 v3, null, v43, v37, s8
	global_load_b128 v[83:86], v[2:3], off
	s_wait_loadcnt 0x0
	ds_store_2addr_b64 v74, v[83:84], v[85:86] offset1:1
.LBB124_21:                             ;   in Loop: Header=BB124_11 Depth=3
	s_wait_alu 0xfffe
	s_and_not1_saveexec_b32 s8, s9
	s_cbranch_execz .LBB124_27
; %bb.22:                               ;   in Loop: Header=BB124_11 Depth=3
	s_xor_b32 s9, s53, -1
	s_wait_alu 0xfffe
	s_and_saveexec_b32 s53, s9
	s_delay_alu instid0(SALU_CYCLE_1)
	s_xor_b32 s9, exec_lo, s53
; %bb.23:                               ;   in Loop: Header=BB124_11 Depth=3
	v_dual_mov_b32 v83, v0 :: v_dual_mov_b32 v84, v0
	v_dual_mov_b32 v85, v0 :: v_dual_mov_b32 v86, v0
	ds_store_b128 v72, v[83:86] offset:256
; %bb.24:                               ;   in Loop: Header=BB124_11 Depth=3
	s_wait_alu 0xfffe
	s_and_not1_saveexec_b32 s9, s9
; %bb.25:                               ;   in Loop: Header=BB124_11 Depth=3
	v_dual_mov_b32 v2, v0 :: v_dual_mov_b32 v3, v0
	ds_store_b128 v72, v[0:3] offset:256
; %bb.26:                               ;   in Loop: Header=BB124_11 Depth=3
	s_wait_alu 0xfffe
	s_or_b32 exec_lo, exec_lo, s9
.LBB124_27:                             ;   in Loop: Header=BB124_11 Depth=3
	s_wait_alu 0xfffe
	s_or_b32 exec_lo, exec_lo, s8
	v_cmp_eq_u64_e64 s8, s[22:23], v[38:39]
	v_cmp_gt_i64_e64 s9, v[64:65], v[32:33]
	s_and_b32 s8, s36, s8
	s_or_b32 s9, s4, s9
	s_wait_alu 0xfffe
	s_or_b32 s9, s9, s8
	s_wait_alu 0xfffe
	s_nor_b32 s6, s6, s9
	s_wait_alu 0xfffe
	s_and_saveexec_b32 s9, s6
	s_wait_alu 0xfffe
	s_xor_b32 s6, exec_lo, s9
	s_cbranch_execz .LBB124_29
; %bb.28:                               ;   in Loop: Header=BB124_11 Depth=3
	global_load_b128 v[64:67], v[66:67], off
	s_wait_loadcnt 0x0
	ds_store_2addr_b64 v75, v[64:65], v[66:67] offset1:1
.LBB124_29:                             ;   in Loop: Header=BB124_11 Depth=3
	s_wait_alu 0xfffe
	s_and_not1_saveexec_b32 s6, s6
	s_cbranch_execz .LBB124_35
; %bb.30:                               ;   in Loop: Header=BB124_11 Depth=3
	s_xor_b32 s8, s8, -1
	s_wait_alu 0xfffe
	s_and_saveexec_b32 s9, s8
	s_wait_alu 0xfffe
	s_xor_b32 s8, exec_lo, s9
; %bb.31:                               ;   in Loop: Header=BB124_11 Depth=3
	v_dual_mov_b32 v64, v0 :: v_dual_mov_b32 v65, v0
	v_dual_mov_b32 v66, v0 :: v_dual_mov_b32 v67, v0
	ds_store_b128 v72, v[64:67] offset:8192
; %bb.32:                               ;   in Loop: Header=BB124_11 Depth=3
	s_wait_alu 0xfffe
	s_and_not1_saveexec_b32 s8, s8
; %bb.33:                               ;   in Loop: Header=BB124_11 Depth=3
	v_dual_mov_b32 v2, v0 :: v_dual_mov_b32 v3, v0
	ds_store_b128 v72, v[0:3] offset:8192
; %bb.34:                               ;   in Loop: Header=BB124_11 Depth=3
	s_wait_alu 0xfffe
	s_or_b32 exec_lo, exec_lo, s8
.LBB124_35:                             ;   in Loop: Header=BB124_11 Depth=3
	s_wait_alu 0xfffe
	s_or_b32 exec_lo, exec_lo, s6
	s_or_b32 s5, s4, s5
	s_wait_alu 0xfffe
	s_or_b32 s5, s5, s52
	s_wait_alu 0xfffe
	s_nor_b32 s5, s7, s5
	s_wait_alu 0xfffe
	s_and_saveexec_b32 s6, s5
	s_wait_alu 0xfffe
	s_xor_b32 s6, exec_lo, s6
	s_cbranch_execz .LBB124_37
; %bb.36:                               ;   in Loop: Header=BB124_11 Depth=3
	v_add_co_u32 v2, s5, v42, v36
	s_wait_alu 0xf1ff
	v_add_co_ci_u32_e64 v3, null, v43, v37, s5
	global_load_b128 v[64:67], v[2:3], off offset:256
	s_wait_loadcnt 0x0
	ds_store_2addr_b64 v76, v[64:65], v[66:67] offset1:1
.LBB124_37:                             ;   in Loop: Header=BB124_11 Depth=3
	s_wait_alu 0xfffe
	s_and_not1_saveexec_b32 s5, s6
	s_cbranch_execz .LBB124_43
; %bb.38:                               ;   in Loop: Header=BB124_11 Depth=3
	s_and_saveexec_b32 s6, s37
	s_wait_alu 0xfffe
	s_xor_b32 s6, exec_lo, s6
; %bb.39:                               ;   in Loop: Header=BB124_11 Depth=3
	v_dual_mov_b32 v64, v0 :: v_dual_mov_b32 v65, v0
	v_dual_mov_b32 v66, v0 :: v_dual_mov_b32 v67, v0
	ds_store_b128 v72, v[64:67] offset:8448
; %bb.40:                               ;   in Loop: Header=BB124_11 Depth=3
	s_wait_alu 0xfffe
	s_and_not1_saveexec_b32 s6, s6
; %bb.41:                               ;   in Loop: Header=BB124_11 Depth=3
	v_dual_mov_b32 v2, v0 :: v_dual_mov_b32 v3, v0
	ds_store_b128 v72, v[0:3] offset:8448
; %bb.42:                               ;   in Loop: Header=BB124_11 Depth=3
	s_wait_alu 0xfffe
	s_or_b32 exec_lo, exec_lo, s6
.LBB124_43:                             ;   in Loop: Header=BB124_11 Depth=3
	s_wait_alu 0xfffe
	s_or_b32 exec_lo, exec_lo, s5
	v_add_co_u32 v2, s5, v69, s22
	s_wait_alu 0xf1ff
	v_add_co_ci_u32_e64 v3, null, 0, s23, s5
	v_add_co_u32 v64, s6, v46, v10
	s_wait_alu 0xf1ff
	v_add_co_ci_u32_e64 v65, null, v47, v11, s6
	s_delay_alu instid0(VALU_DEP_3)
	v_cmp_le_i64_e64 s5, s[10:11], v[2:3]
	s_nor_b32 s6, s5, s0
	s_wait_alu 0xfffe
	s_and_saveexec_b32 s7, s6
	s_wait_alu 0xfffe
	s_xor_b32 s6, exec_lo, s7
	s_cbranch_execz .LBB124_45
; %bb.44:                               ;   in Loop: Header=BB124_11 Depth=3
	global_load_b128 v[83:86], v[64:65], off offset:-256
	s_wait_loadcnt 0x0
	ds_store_2addr_b64 v73, v[83:84], v[85:86] offset1:1
.LBB124_45:                             ;   in Loop: Header=BB124_11 Depth=3
	s_wait_alu 0xfffe
	s_and_not1_saveexec_b32 s6, s6
; %bb.46:                               ;   in Loop: Header=BB124_11 Depth=3
	v_dual_mov_b32 v83, v0 :: v_dual_mov_b32 v84, v0
	v_dual_mov_b32 v85, v0 :: v_dual_mov_b32 v86, v0
	ds_store_b128 v73, v[83:86]
; %bb.47:                               ;   in Loop: Header=BB124_11 Depth=3
	s_wait_alu 0xfffe
	s_or_b32 exec_lo, exec_lo, s6
	s_nor_b32 s5, s5, s1
	s_wait_alu 0xfffe
	s_and_saveexec_b32 s6, s5
	s_wait_alu 0xfffe
	s_xor_b32 s5, exec_lo, s6
	s_cbranch_execz .LBB124_49
; %bb.48:                               ;   in Loop: Header=BB124_11 Depth=3
	global_load_b128 v[64:67], v[64:65], off
	s_wait_loadcnt 0x0
	ds_store_2addr_b64 v77, v[64:65], v[66:67] offset1:1
.LBB124_49:                             ;   in Loop: Header=BB124_11 Depth=3
	s_wait_alu 0xfffe
	s_and_not1_saveexec_b32 s5, s5
; %bb.50:                               ;   in Loop: Header=BB124_11 Depth=3
	v_dual_mov_b32 v64, v0 :: v_dual_mov_b32 v65, v0
	v_dual_mov_b32 v66, v0 :: v_dual_mov_b32 v67, v0
	ds_store_b128 v73, v[64:67] offset:256
; %bb.51:                               ;   in Loop: Header=BB124_11 Depth=3
	s_wait_alu 0xfffe
	s_or_b32 exec_lo, exec_lo, s5
	v_cmp_le_i64_e64 s5, s[48:49], v[2:3]
	v_add_co_u32 v2, s6, v46, v8
	s_wait_alu 0xf1ff
	v_add_co_ci_u32_e64 v3, null, v47, v9, s6
	s_nor_b32 s6, s5, s0
	s_wait_alu 0xfffe
	s_and_saveexec_b32 s7, s6
	s_wait_alu 0xfffe
	s_xor_b32 s6, exec_lo, s7
	s_cbranch_execz .LBB124_53
; %bb.52:                               ;   in Loop: Header=BB124_11 Depth=3
	global_load_b128 v[64:67], v[2:3], off offset:-256
	s_wait_loadcnt 0x0
	ds_store_2addr_b64 v78, v[64:65], v[66:67] offset1:1
.LBB124_53:                             ;   in Loop: Header=BB124_11 Depth=3
	s_wait_alu 0xfffe
	s_and_not1_saveexec_b32 s6, s6
; %bb.54:                               ;   in Loop: Header=BB124_11 Depth=3
	v_dual_mov_b32 v64, v0 :: v_dual_mov_b32 v65, v0
	v_dual_mov_b32 v66, v0 :: v_dual_mov_b32 v67, v0
	ds_store_b128 v73, v[64:67] offset:8192
; %bb.55:                               ;   in Loop: Header=BB124_11 Depth=3
	s_wait_alu 0xfffe
	s_or_b32 exec_lo, exec_lo, s6
	s_nor_b32 s5, s5, s1
	s_wait_alu 0xfffe
	s_and_saveexec_b32 s6, s5
	s_wait_alu 0xfffe
	s_xor_b32 s5, exec_lo, s6
	s_cbranch_execz .LBB124_57
; %bb.56:                               ;   in Loop: Header=BB124_11 Depth=3
	global_load_b128 v[64:67], v[2:3], off
	s_wait_loadcnt 0x0
	ds_store_2addr_b64 v79, v[64:65], v[66:67] offset1:1
.LBB124_57:                             ;   in Loop: Header=BB124_11 Depth=3
	s_wait_alu 0xfffe
	s_and_not1_saveexec_b32 s5, s5
	s_cbranch_execz .LBB124_10
; %bb.58:                               ;   in Loop: Header=BB124_11 Depth=3
	v_dual_mov_b32 v64, v0 :: v_dual_mov_b32 v65, v0
	v_dual_mov_b32 v66, v0 :: v_dual_mov_b32 v67, v0
	ds_store_b128 v73, v[64:67] offset:8448
	s_branch .LBB124_10
.LBB124_59:                             ;   in Loop: Header=BB124_8 Depth=2
	v_mul_lo_u32 v29, s29, v30
	s_delay_alu instid0(VALU_DEP_2) | instskip(SKIP_2) | instid1(VALU_DEP_2)
	v_mul_lo_u32 v31, s28, v31
	v_mad_co_u64_u32 v[2:3], null, s28, v30, 0
	v_cmp_gt_i32_e32 vcc_lo, s38, v30
	v_add3_u32 v3, v3, v31, v29
	s_delay_alu instid0(VALU_DEP_1) | instskip(SKIP_1) | instid1(VALU_DEP_1)
	v_lshlrev_b64_e32 v[2:3], 4, v[2:3]
	s_wait_alu 0xfffe
	v_add_co_u32 v2, s4, s20, v2
	s_wait_alu 0xf1ff
	s_delay_alu instid0(VALU_DEP_2)
	v_add_co_ci_u32_e64 v3, null, s21, v3, s4
	s_and_b32 s4, s2, vcc_lo
	s_wait_alu 0xfffe
	s_and_saveexec_b32 s5, s4
	s_cbranch_execz .LBB124_61
; %bb.60:                               ;   in Loop: Header=BB124_8 Depth=2
	v_add_co_u32 v35, s4, v2, v12
	s_wait_alu 0xf1ff
	v_add_co_ci_u32_e64 v36, null, v3, v13, s4
	v_mul_f64_e32 v[37:38], v[6:7], v[58:59]
	v_mul_f64_e32 v[39:40], v[4:5], v[58:59]
	global_load_b128 v[31:34], v[35:36], off
	v_fma_f64 v[37:38], v[4:5], v[56:57], -v[37:38]
	v_fma_f64 v[39:40], v[6:7], v[56:57], v[39:40]
	s_wait_loadcnt 0x0
	s_delay_alu instid0(VALU_DEP_2) | instskip(NEXT) | instid1(VALU_DEP_2)
	v_add_f64_e32 v[31:32], v[31:32], v[37:38]
	v_add_f64_e32 v[33:34], v[39:40], v[33:34]
	global_store_b128 v[35:36], v[31:34], off
.LBB124_61:                             ;   in Loop: Header=BB124_8 Depth=2
	s_wait_alu 0xfffe
	s_or_b32 exec_lo, exec_lo, s5
	s_and_b32 s5, s3, vcc_lo
	s_wait_alu 0xfffe
	s_and_saveexec_b32 s4, s5
	s_cbranch_execz .LBB124_63
; %bb.62:                               ;   in Loop: Header=BB124_8 Depth=2
	v_add_co_u32 v2, vcc_lo, v2, v20
	s_wait_alu 0xfffd
	v_add_co_ci_u32_e64 v3, null, v3, v21, vcc_lo
	v_mul_f64_e32 v[35:36], v[6:7], v[50:51]
	v_mul_f64_e32 v[37:38], v[4:5], v[50:51]
	global_load_b128 v[31:34], v[2:3], off
	v_fma_f64 v[35:36], v[4:5], v[48:49], -v[35:36]
	v_fma_f64 v[37:38], v[6:7], v[48:49], v[37:38]
	s_wait_loadcnt 0x0
	s_delay_alu instid0(VALU_DEP_2) | instskip(NEXT) | instid1(VALU_DEP_2)
	v_add_f64_e32 v[31:32], v[31:32], v[35:36]
	v_add_f64_e32 v[33:34], v[37:38], v[33:34]
	global_store_b128 v[2:3], v[31:34], off
.LBB124_63:                             ;   in Loop: Header=BB124_8 Depth=2
	s_wait_alu 0xfffe
	s_or_b32 exec_lo, exec_lo, s4
	v_add_nc_u32_e32 v29, 16, v30
	s_delay_alu instid0(VALU_DEP_1) | instskip(SKIP_3) | instid1(VALU_DEP_4)
	v_ashrrev_i32_e32 v30, 31, v29
	v_mul_lo_u32 v31, s29, v29
	v_mad_co_u64_u32 v[2:3], null, s28, v29, 0
	v_cmp_gt_i32_e32 vcc_lo, s38, v29
	v_mul_lo_u32 v30, s28, v30
	s_delay_alu instid0(VALU_DEP_1) | instskip(NEXT) | instid1(VALU_DEP_1)
	v_add3_u32 v3, v3, v30, v31
	v_lshlrev_b64_e32 v[2:3], 4, v[2:3]
	s_delay_alu instid0(VALU_DEP_1) | instskip(SKIP_1) | instid1(VALU_DEP_2)
	v_add_co_u32 v2, s4, s20, v2
	s_wait_alu 0xf1ff
	v_add_co_ci_u32_e64 v3, null, s21, v3, s4
	s_and_b32 s4, s2, vcc_lo
	s_wait_alu 0xfffe
	s_and_saveexec_b32 s5, s4
	s_cbranch_execz .LBB124_65
; %bb.64:                               ;   in Loop: Header=BB124_8 Depth=2
	v_add_co_u32 v33, s4, v2, v12
	s_wait_alu 0xf1ff
	v_add_co_ci_u32_e64 v34, null, v3, v13, s4
	v_mul_f64_e32 v[35:36], v[6:7], v[54:55]
	v_mul_f64_e32 v[37:38], v[4:5], v[54:55]
	global_load_b128 v[29:32], v[33:34], off
	v_fma_f64 v[35:36], v[4:5], v[52:53], -v[35:36]
	v_fma_f64 v[37:38], v[6:7], v[52:53], v[37:38]
	s_wait_loadcnt 0x0
	s_delay_alu instid0(VALU_DEP_2) | instskip(NEXT) | instid1(VALU_DEP_2)
	v_add_f64_e32 v[29:30], v[29:30], v[35:36]
	v_add_f64_e32 v[31:32], v[37:38], v[31:32]
	global_store_b128 v[33:34], v[29:32], off
.LBB124_65:                             ;   in Loop: Header=BB124_8 Depth=2
	s_wait_alu 0xfffe
	s_or_b32 exec_lo, exec_lo, s5
	s_and_b32 s5, s3, vcc_lo
	s_wait_alu 0xfffe
	s_and_saveexec_b32 s4, s5
	s_cbranch_execz .LBB124_7
; %bb.66:                               ;   in Loop: Header=BB124_8 Depth=2
	v_add_co_u32 v2, vcc_lo, v2, v20
	s_wait_alu 0xfffd
	v_add_co_ci_u32_e64 v3, null, v3, v21, vcc_lo
	v_mul_f64_e32 v[33:34], v[6:7], v[60:61]
	v_mul_f64_e32 v[35:36], v[4:5], v[60:61]
	global_load_b128 v[29:32], v[2:3], off
	v_fma_f64 v[33:34], v[4:5], v[62:63], -v[33:34]
	v_fma_f64 v[35:36], v[6:7], v[62:63], v[35:36]
	s_wait_loadcnt 0x0
	s_delay_alu instid0(VALU_DEP_2) | instskip(NEXT) | instid1(VALU_DEP_2)
	v_add_f64_e32 v[29:30], v[29:30], v[33:34]
	v_add_f64_e32 v[31:32], v[35:36], v[31:32]
	global_store_b128 v[2:3], v[29:32], off
	s_branch .LBB124_7
.LBB124_67:
	s_nop 0
	s_sendmsg sendmsg(MSG_DEALLOC_VGPRS)
	s_endpgm
	.section	.rodata,"a",@progbits
	.p2align	6, 0x0
	.amdhsa_kernel _ZL30rocblas_trmm_outofplace_kernelI19rocblas_complex_numIdELi32ELi2ELb0ELb0ELb1ELb0EPKS1_S2_S1_Ev17rocblas_diagonal_iiT6_lPT7_lllS7_lllPT8_llli
		.amdhsa_group_segment_fixed_size 32768
		.amdhsa_private_segment_fixed_size 0
		.amdhsa_kernarg_size 392
		.amdhsa_user_sgpr_count 2
		.amdhsa_user_sgpr_dispatch_ptr 0
		.amdhsa_user_sgpr_queue_ptr 0
		.amdhsa_user_sgpr_kernarg_segment_ptr 1
		.amdhsa_user_sgpr_dispatch_id 0
		.amdhsa_user_sgpr_private_segment_size 0
		.amdhsa_wavefront_size32 1
		.amdhsa_uses_dynamic_stack 0
		.amdhsa_enable_private_segment 0
		.amdhsa_system_sgpr_workgroup_id_x 1
		.amdhsa_system_sgpr_workgroup_id_y 1
		.amdhsa_system_sgpr_workgroup_id_z 1
		.amdhsa_system_sgpr_workgroup_info 0
		.amdhsa_system_vgpr_workitem_id 1
		.amdhsa_next_free_vgpr 103
		.amdhsa_next_free_sgpr 54
		.amdhsa_reserve_vcc 1
		.amdhsa_float_round_mode_32 0
		.amdhsa_float_round_mode_16_64 0
		.amdhsa_float_denorm_mode_32 3
		.amdhsa_float_denorm_mode_16_64 3
		.amdhsa_fp16_overflow 0
		.amdhsa_workgroup_processor_mode 1
		.amdhsa_memory_ordered 1
		.amdhsa_forward_progress 1
		.amdhsa_inst_pref_size 76
		.amdhsa_round_robin_scheduling 0
		.amdhsa_exception_fp_ieee_invalid_op 0
		.amdhsa_exception_fp_denorm_src 0
		.amdhsa_exception_fp_ieee_div_zero 0
		.amdhsa_exception_fp_ieee_overflow 0
		.amdhsa_exception_fp_ieee_underflow 0
		.amdhsa_exception_fp_ieee_inexact 0
		.amdhsa_exception_int_div_zero 0
	.end_amdhsa_kernel
	.section	.text._ZL30rocblas_trmm_outofplace_kernelI19rocblas_complex_numIdELi32ELi2ELb0ELb0ELb1ELb0EPKS1_S2_S1_Ev17rocblas_diagonal_iiT6_lPT7_lllS7_lllPT8_llli,"axG",@progbits,_ZL30rocblas_trmm_outofplace_kernelI19rocblas_complex_numIdELi32ELi2ELb0ELb0ELb1ELb0EPKS1_S2_S1_Ev17rocblas_diagonal_iiT6_lPT7_lllS7_lllPT8_llli,comdat
.Lfunc_end124:
	.size	_ZL30rocblas_trmm_outofplace_kernelI19rocblas_complex_numIdELi32ELi2ELb0ELb0ELb1ELb0EPKS1_S2_S1_Ev17rocblas_diagonal_iiT6_lPT7_lllS7_lllPT8_llli, .Lfunc_end124-_ZL30rocblas_trmm_outofplace_kernelI19rocblas_complex_numIdELi32ELi2ELb0ELb0ELb1ELb0EPKS1_S2_S1_Ev17rocblas_diagonal_iiT6_lPT7_lllS7_lllPT8_llli
                                        ; -- End function
	.set _ZL30rocblas_trmm_outofplace_kernelI19rocblas_complex_numIdELi32ELi2ELb0ELb0ELb1ELb0EPKS1_S2_S1_Ev17rocblas_diagonal_iiT6_lPT7_lllS7_lllPT8_llli.num_vgpr, 103
	.set _ZL30rocblas_trmm_outofplace_kernelI19rocblas_complex_numIdELi32ELi2ELb0ELb0ELb1ELb0EPKS1_S2_S1_Ev17rocblas_diagonal_iiT6_lPT7_lllS7_lllPT8_llli.num_agpr, 0
	.set _ZL30rocblas_trmm_outofplace_kernelI19rocblas_complex_numIdELi32ELi2ELb0ELb0ELb1ELb0EPKS1_S2_S1_Ev17rocblas_diagonal_iiT6_lPT7_lllS7_lllPT8_llli.numbered_sgpr, 54
	.set _ZL30rocblas_trmm_outofplace_kernelI19rocblas_complex_numIdELi32ELi2ELb0ELb0ELb1ELb0EPKS1_S2_S1_Ev17rocblas_diagonal_iiT6_lPT7_lllS7_lllPT8_llli.num_named_barrier, 0
	.set _ZL30rocblas_trmm_outofplace_kernelI19rocblas_complex_numIdELi32ELi2ELb0ELb0ELb1ELb0EPKS1_S2_S1_Ev17rocblas_diagonal_iiT6_lPT7_lllS7_lllPT8_llli.private_seg_size, 0
	.set _ZL30rocblas_trmm_outofplace_kernelI19rocblas_complex_numIdELi32ELi2ELb0ELb0ELb1ELb0EPKS1_S2_S1_Ev17rocblas_diagonal_iiT6_lPT7_lllS7_lllPT8_llli.uses_vcc, 1
	.set _ZL30rocblas_trmm_outofplace_kernelI19rocblas_complex_numIdELi32ELi2ELb0ELb0ELb1ELb0EPKS1_S2_S1_Ev17rocblas_diagonal_iiT6_lPT7_lllS7_lllPT8_llli.uses_flat_scratch, 0
	.set _ZL30rocblas_trmm_outofplace_kernelI19rocblas_complex_numIdELi32ELi2ELb0ELb0ELb1ELb0EPKS1_S2_S1_Ev17rocblas_diagonal_iiT6_lPT7_lllS7_lllPT8_llli.has_dyn_sized_stack, 0
	.set _ZL30rocblas_trmm_outofplace_kernelI19rocblas_complex_numIdELi32ELi2ELb0ELb0ELb1ELb0EPKS1_S2_S1_Ev17rocblas_diagonal_iiT6_lPT7_lllS7_lllPT8_llli.has_recursion, 0
	.set _ZL30rocblas_trmm_outofplace_kernelI19rocblas_complex_numIdELi32ELi2ELb0ELb0ELb1ELb0EPKS1_S2_S1_Ev17rocblas_diagonal_iiT6_lPT7_lllS7_lllPT8_llli.has_indirect_call, 0
	.section	.AMDGPU.csdata,"",@progbits
; Kernel info:
; codeLenInByte = 9680
; TotalNumSgprs: 56
; NumVgprs: 103
; ScratchSize: 0
; MemoryBound: 0
; FloatMode: 240
; IeeeMode: 1
; LDSByteSize: 32768 bytes/workgroup (compile time only)
; SGPRBlocks: 0
; VGPRBlocks: 12
; NumSGPRsForWavesPerEU: 56
; NumVGPRsForWavesPerEU: 103
; Occupancy: 12
; WaveLimiterHint : 0
; COMPUTE_PGM_RSRC2:SCRATCH_EN: 0
; COMPUTE_PGM_RSRC2:USER_SGPR: 2
; COMPUTE_PGM_RSRC2:TRAP_HANDLER: 0
; COMPUTE_PGM_RSRC2:TGID_X_EN: 1
; COMPUTE_PGM_RSRC2:TGID_Y_EN: 1
; COMPUTE_PGM_RSRC2:TGID_Z_EN: 1
; COMPUTE_PGM_RSRC2:TIDIG_COMP_CNT: 1
	.section	.text._ZL30rocblas_trmm_outofplace_kernelI19rocblas_complex_numIdELi32ELi2ELb0ELb0ELb1ELb0ES1_KS1_S1_Ev17rocblas_diagonal_iiT6_lPT7_lllS6_lllPT8_llli,"axG",@progbits,_ZL30rocblas_trmm_outofplace_kernelI19rocblas_complex_numIdELi32ELi2ELb0ELb0ELb1ELb0ES1_KS1_S1_Ev17rocblas_diagonal_iiT6_lPT7_lllS6_lllPT8_llli,comdat
	.globl	_ZL30rocblas_trmm_outofplace_kernelI19rocblas_complex_numIdELi32ELi2ELb0ELb0ELb1ELb0ES1_KS1_S1_Ev17rocblas_diagonal_iiT6_lPT7_lllS6_lllPT8_llli ; -- Begin function _ZL30rocblas_trmm_outofplace_kernelI19rocblas_complex_numIdELi32ELi2ELb0ELb0ELb1ELb0ES1_KS1_S1_Ev17rocblas_diagonal_iiT6_lPT7_lllS6_lllPT8_llli
	.p2align	8
	.type	_ZL30rocblas_trmm_outofplace_kernelI19rocblas_complex_numIdELi32ELi2ELb0ELb0ELb1ELb0ES1_KS1_S1_Ev17rocblas_diagonal_iiT6_lPT7_lllS6_lllPT8_llli,@function
_ZL30rocblas_trmm_outofplace_kernelI19rocblas_complex_numIdELi32ELi2ELb0ELb0ELb1ELb0ES1_KS1_S1_Ev17rocblas_diagonal_iiT6_lPT7_lllS6_lllPT8_llli: ; @_ZL30rocblas_trmm_outofplace_kernelI19rocblas_complex_numIdELi32ELi2ELb0ELb0ELb1ELb0ES1_KS1_S1_Ev17rocblas_diagonal_iiT6_lPT7_lllS6_lllPT8_llli
; %bb.0:
	s_load_b32 s33, s[0:1], 0x88
	s_lshr_b32 s34, ttmp7, 16
	s_wait_kmcnt 0x0
	s_cmp_ge_u32 s34, s33
	s_cbranch_scc1 .LBB125_66
; %bb.1:
	s_load_b128 s[28:31], s[0:1], 0x10
	s_wait_kmcnt 0x0
	v_cmp_eq_f64_e64 s2, s[28:29], 0
	v_cmp_eq_f64_e64 s3, s[30:31], 0
	s_and_b32 s2, s2, s3
	s_delay_alu instid0(SALU_CYCLE_1)
	s_and_b32 vcc_lo, exec_lo, s2
	s_cbranch_vccnz .LBB125_66
; %bb.2:
	s_clause 0x2
	s_load_b96 s[36:38], s[0:1], 0x0
	s_load_b512 s[4:19], s[0:1], 0x28
	s_load_b256 s[20:27], s[0:1], 0x68
	s_add_nc_u64 s[40:41], s[0:1], 0x90
	v_and_b32_e32 v64, 0x3ff, v0
	s_and_b32 s39, ttmp7, 0xffff
	v_bfe_u32 v65, v0, 10, 10
	s_delay_alu instid0(VALU_DEP_2) | instskip(NEXT) | instid1(VALU_DEP_2)
	v_lshl_add_u32 v1, ttmp9, 5, v64
	v_lshl_add_u32 v17, v65, 4, 0x100
	v_lshl_add_u32 v73, s39, 5, v65
	s_delay_alu instid0(VALU_DEP_3) | instskip(SKIP_1) | instid1(VALU_DEP_2)
	v_ashrrev_i32_e32 v2, 31, v1
	v_add_nc_u32_e32 v18, 16, v1
	v_lshlrev_b64_e32 v[10:11], 4, v[1:2]
	s_wait_kmcnt 0x0
	s_add_co_i32 s0, s38, -1
	v_sub_co_u32 v5, vcc_lo, s37, v1
	s_wait_alu 0xfffe
	s_ashr_i32 s1, s0, 31
	v_mad_co_u64_u32 v[3:4], null, s16, v65, 0
	s_wait_alu 0xfffe
	s_lshr_b32 s1, s1, 27
	v_mad_co_u64_u32 v[14:15], null, s8, v64, 0
	s_wait_alu 0xfffe
	s_add_co_i32 s0, s0, s1
	v_cmp_gt_i32_e64 s2, s37, v1
	s_wait_alu 0xfffe
	s_ashr_i32 s48, s0, 5
	s_mov_b32 s42, s38
	s_cmp_le_i32 s39, s48
	s_cselect_b32 s49, -1, 0
	s_cmp_eq_u32 s36, 0x84
	s_cselect_b32 s36, -1, 0
	s_ashr_i32 s0, s37, 31
	s_lshl_b64 s[6:7], s[6:7], 4
	s_wait_alu 0xfffe
	v_sub_co_ci_u32_e64 v6, null, s0, v2, vcc_lo
	s_lshl_b64 s[0:1], s[22:23], 4
	s_add_nc_u64 s[4:5], s[4:5], s[6:7]
	s_wait_alu 0xfffe
	s_add_nc_u64 s[20:21], s[20:21], s[0:1]
	v_cmp_gt_i64_e64 s0, 1, v[5:6]
	v_cmp_gt_i64_e64 s1, 17, v[5:6]
	v_mad_co_u64_u32 v[6:7], null, s16, v17, 0
	v_mad_co_u64_u32 v[4:5], null, s17, v65, v[4:5]
	v_dual_mov_b32 v5, v15 :: v_dual_lshlrev_b32 v16, 4, v64
	s_lshl_b64 s[14:15], s[14:15], 4
	v_sub_co_u32 v71, s35, 0, v64
	s_delay_alu instid0(VALU_DEP_2)
	v_mad_co_u64_u32 v[12:13], null, s9, v64, v[5:6]
	v_mov_b32_e32 v1, v7
	v_add_nc_u32_e32 v5, 0x100, v16
	v_lshlrev_b32_e32 v66, 9, v65
	v_lshlrev_b64_e32 v[8:9], 4, v[3:4]
	s_add_nc_u64 s[12:13], s[12:13], s[14:15]
	v_mad_co_u64_u32 v[1:2], null, s17, v17, v[1:2]
	v_mov_b32_e32 v15, v12
	v_mad_co_u64_u32 v[12:13], null, s8, v5, s[4:5]
	v_add_co_u32 v7, vcc_lo, s12, v10
	s_delay_alu instid0(VALU_DEP_3)
	v_lshlrev_b64_e32 v[2:3], 4, v[14:15]
	v_or_b32_e32 v67, 0x4000, v16
	v_add_nc_u32_e32 v68, v66, v16
	s_wait_alu 0xfffd
	v_add_co_ci_u32_e64 v16, null, s13, v11, vcc_lo
	v_mov_b32_e32 v4, v13
	v_add_co_u32 v14, vcc_lo, 0x100, v7
	s_wait_alu 0xfffd
	s_delay_alu instid0(VALU_DEP_3) | instskip(NEXT) | instid1(VALU_DEP_3)
	v_add_co_ci_u32_e64 v15, null, 0, v16, vcc_lo
	v_mad_co_u64_u32 v[4:5], null, s9, v5, v[4:5]
	v_add_co_u32 v2, vcc_lo, s4, v2
	v_dual_mov_b32 v0, 0 :: v_dual_add_nc_u32 v69, v67, v66
	s_wait_alu 0xfffd
	v_add_co_ci_u32_e64 v3, null, s5, v3, vcc_lo
	s_delay_alu instid0(VALU_DEP_4) | instskip(SKIP_4) | instid1(VALU_DEP_4)
	v_mov_b32_e32 v13, v4
	v_ashrrev_i32_e32 v19, 31, v18
	v_add_co_u32 v16, vcc_lo, 0x100, v2
	v_cmp_gt_i32_e64 s3, s37, v18
	v_add_nc_u32_e32 v70, 0x2100, v69
	v_lshlrev_b64_e32 v[18:19], 4, v[18:19]
	v_sub_co_ci_u32_e64 v72, null, 0, 0, s35
	v_mov_b32_e32 v7, v1
	s_wait_alu 0xfffd
	v_add_co_ci_u32_e64 v17, null, 0, v3, vcc_lo
	v_mov_b32_e32 v1, 0x3ff00000
	s_ashr_i32 s43, s38, 31
	s_lshl_b64 s[44:45], s[8:9], 9
	s_lshl_b64 s[22:23], s[16:17], 9
	s_add_nc_u64 s[46:47], s[42:43], -16
	s_lshl_b64 s[12:13], s[18:19], 4
	s_lshl_b64 s[10:11], s[10:11], 4
	s_mov_b32 s35, 0
	s_branch .LBB125_4
.LBB125_3:                              ;   in Loop: Header=BB125_4 Depth=1
	s_add_co_i32 s34, s34, 0x10000
	s_wait_alu 0xfffe
	s_cmp_ge_u32 s34, s33
	s_cbranch_scc1 .LBB125_66
.LBB125_4:                              ; =>This Loop Header: Depth=1
                                        ;     Child Loop BB125_7 Depth 2
                                        ;       Child Loop BB125_10 Depth 3
	s_and_not1_b32 vcc_lo, exec_lo, s49
	s_wait_alu 0xfffe
	s_cbranch_vccnz .LBB125_3
; %bb.5:                                ;   in Loop: Header=BB125_4 Depth=1
	v_mad_co_u64_u32 v[20:21], null, s12, s34, v[14:15]
	s_load_b32 s18, s[40:41], 0x4
	v_mad_co_u64_u32 v[22:23], null, s10, s34, v[16:17]
	s_mul_i32 s6, s11, s34
	v_mad_co_u64_u32 v[24:25], null, s10, s34, v[12:13]
	v_mov_b32_e32 v2, v21
	s_mul_u64 s[4:5], s[26:27], s[34:35]
	s_wait_alu 0xfffe
	v_dual_mov_b32 v26, v73 :: v_dual_add_nc_u32 v23, s6, v23
	s_lshl_b64 s[4:5], s[4:5], 4
	v_mad_co_u64_u32 v[2:3], null, s13, s34, v[2:3]
	s_delay_alu instid0(VALU_DEP_4) | instskip(SKIP_3) | instid1(VALU_DEP_2)
	v_add_nc_u32_e32 v25, s6, v25
	s_wait_alu 0xfffe
	s_add_nc_u64 s[14:15], s[20:21], s[4:5]
	s_mov_b32 s37, s39
	v_mov_b32_e32 v21, v2
	s_wait_kmcnt 0x0
	s_lshl_b32 s19, s18, 5
	s_branch .LBB125_7
.LBB125_6:                              ;   in Loop: Header=BB125_7 Depth=2
	s_wait_alu 0xfffe
	s_or_b32 exec_lo, exec_lo, s4
	v_add_nc_u32_e32 v26, s19, v26
	s_add_co_i32 s37, s18, s37
	s_wait_alu 0xfffe
	s_cmp_gt_i32 s37, s48
	s_cbranch_scc1 .LBB125_3
.LBB125_7:                              ;   Parent Loop BB125_4 Depth=1
                                        ; =>  This Loop Header: Depth=2
                                        ;       Child Loop BB125_10 Depth 3
	s_wait_alu 0xfffe
	s_lshl_b32 s50, s37, 5
	v_mov_b32_e32 v50, 0
	s_wait_alu 0xfffe
	v_dual_mov_b32 v51, 0 :: v_dual_add_nc_u32 v28, s50, v65
	v_mov_b32_e32 v52, 0
	v_mov_b32_e32 v46, 0
	;; [unrolled: 1-line block ×6, first 2 shown]
	v_dual_mov_b32 v58, 0 :: v_dual_mov_b32 v53, 0
	v_mov_b32_e32 v47, 0
	v_mov_b32_e32 v49, 0
	;; [unrolled: 1-line block ×6, first 2 shown]
	v_ashrrev_i32_e32 v29, 31, v28
	s_cmp_lt_i32 s37, 0
	s_cbranch_scc1 .LBB125_58
; %bb.8:                                ;   in Loop: Header=BB125_7 Depth=2
	v_ashrrev_i32_e32 v27, 31, v26
	v_add_co_u32 v30, vcc_lo, v28, 16
	s_wait_alu 0xfffd
	v_add_co_ci_u32_e64 v31, null, 0, v29, vcc_lo
	v_add_co_u32 v32, vcc_lo, v71, v26
	s_wait_alu 0xfffd
	v_add_co_ci_u32_e64 v33, null, v72, v27, vcc_lo
	v_mov_b32_e32 v62, 0
	s_delay_alu instid0(VALU_DEP_3) | instskip(SKIP_1) | instid1(VALU_DEP_3)
	v_add_co_u32 v36, s5, v32, 16
	s_wait_alu 0xf1ff
	v_add_co_ci_u32_e64 v37, null, 0, v33, s5
	v_add_co_u32 v38, s5, v32, -16
	v_mov_b32_e32 v54, 0
	v_mov_b32_e32 v46, 0
	v_lshlrev_b64_e32 v[34:35], 4, v[26:27]
	v_cmp_le_i64_e64 s4, s[42:43], v[30:31]
	v_dual_mov_b32 v58, 0 :: v_dual_mov_b32 v41, v25
	v_dual_mov_b32 v63, 0 :: v_dual_mov_b32 v56, 0
	;; [unrolled: 1-line block ×5, first 2 shown]
	s_wait_alu 0xf1ff
	v_add_co_ci_u32_e64 v39, null, -1, v33, s5
	v_dual_mov_b32 v59, 0 :: v_dual_mov_b32 v40, v24
	v_dual_mov_b32 v43, v23 :: v_dual_mov_b32 v42, v22
	v_mov_b32_e32 v57, 0
	v_mov_b32_e32 v49, 0
	;; [unrolled: 1-line block ×3, first 2 shown]
	v_dual_mov_b32 v51, 0 :: v_dual_mov_b32 v44, v20
	s_mov_b64 s[16:17], 0
	v_cmp_le_i32_e32 vcc_lo, s38, v28
	s_branch .LBB125_10
.LBB125_9:                              ;   in Loop: Header=BB125_10 Depth=3
	s_wait_alu 0xfffe
	s_or_b32 exec_lo, exec_lo, s5
	s_wait_dscnt 0x0
	s_barrier_signal -1
	s_barrier_wait -1
	global_inv scope:SCOPE_SE
	ds_load_b128 v[74:77], v66
	ds_load_b128 v[78:81], v66 offset:16
	ds_load_b128 v[82:85], v66 offset:32
	;; [unrolled: 1-line block ×3, first 2 shown]
	ds_load_b128 v[86:89], v67
	v_add_co_u32 v44, s5, v44, s22
	s_wait_alu 0xf1ff
	v_add_co_ci_u32_e64 v45, null, s23, v45, s5
	v_add_co_u32 v42, s5, v42, s44
	s_wait_alu 0xf1ff
	v_add_co_ci_u32_e64 v43, null, s45, v43, s5
	v_add_co_u32 v40, s5, v40, s44
	s_add_nc_u64 s[16:17], s[16:17], 32
	v_add_co_ci_u32_e64 v41, null, s45, v41, s5
	s_wait_alu 0xfffe
	s_sub_co_i32 s5, s16, 32
	s_wait_alu 0xfffe
	s_cmp_ge_i32 s5, s50
	s_wait_dscnt 0x0
	v_mul_f64_e32 v[60:61], v[76:77], v[88:89]
	v_mul_f64_e32 v[90:91], v[74:75], v[88:89]
	s_delay_alu instid0(VALU_DEP_2) | instskip(NEXT) | instid1(VALU_DEP_2)
	v_fma_f64 v[60:61], v[74:75], v[86:87], -v[60:61]
	v_fma_f64 v[90:91], v[76:77], v[86:87], v[90:91]
	s_delay_alu instid0(VALU_DEP_2) | instskip(NEXT) | instid1(VALU_DEP_2)
	v_add_f64_e32 v[60:61], v[50:51], v[60:61]
	v_add_f64_e32 v[90:91], v[90:91], v[52:53]
	ds_load_b128 v[50:53], v67 offset:256
	s_wait_dscnt 0x0
	v_mul_f64_e32 v[92:93], v[76:77], v[52:53]
	s_delay_alu instid0(VALU_DEP_1) | instskip(SKIP_1) | instid1(VALU_DEP_1)
	v_fma_f64 v[92:93], v[74:75], v[50:51], -v[92:93]
	v_mul_f64_e32 v[74:75], v[74:75], v[52:53]
	v_fma_f64 v[74:75], v[76:77], v[50:51], v[74:75]
	s_delay_alu instid0(VALU_DEP_3) | instskip(NEXT) | instid1(VALU_DEP_2)
	v_add_f64_e32 v[76:77], v[46:47], v[92:93]
	v_add_f64_e32 v[74:75], v[74:75], v[48:49]
	ds_load_b128 v[46:49], v66 offset:8192
	s_wait_dscnt 0x0
	v_mul_f64_e32 v[92:93], v[48:49], v[88:89]
	v_mul_f64_e32 v[88:89], v[46:47], v[88:89]
	s_delay_alu instid0(VALU_DEP_2) | instskip(NEXT) | instid1(VALU_DEP_2)
	v_fma_f64 v[92:93], v[46:47], v[86:87], -v[92:93]
	v_fma_f64 v[86:87], v[48:49], v[86:87], v[88:89]
	s_delay_alu instid0(VALU_DEP_2) | instskip(SKIP_1) | instid1(VALU_DEP_3)
	v_add_f64_e32 v[88:89], v[54:55], v[92:93]
	v_mul_f64_e32 v[54:55], v[48:49], v[52:53]
	v_add_f64_e32 v[86:87], v[86:87], v[56:57]
	s_delay_alu instid0(VALU_DEP_2) | instskip(SKIP_1) | instid1(VALU_DEP_2)
	v_fma_f64 v[54:55], v[46:47], v[50:51], -v[54:55]
	v_mul_f64_e32 v[46:47], v[46:47], v[52:53]
	v_add_f64_e32 v[62:63], v[62:63], v[54:55]
	s_delay_alu instid0(VALU_DEP_2) | instskip(NEXT) | instid1(VALU_DEP_1)
	v_fma_f64 v[46:47], v[48:49], v[50:51], v[46:47]
	v_add_f64_e32 v[58:59], v[46:47], v[58:59]
	ds_load_b128 v[46:49], v67 offset:512
	s_wait_dscnt 0x0
	v_mul_f64_e32 v[50:51], v[80:81], v[48:49]
	v_mul_f64_e32 v[52:53], v[78:79], v[48:49]
	s_delay_alu instid0(VALU_DEP_2) | instskip(NEXT) | instid1(VALU_DEP_2)
	v_fma_f64 v[50:51], v[78:79], v[46:47], -v[50:51]
	v_fma_f64 v[52:53], v[80:81], v[46:47], v[52:53]
	s_delay_alu instid0(VALU_DEP_2) | instskip(NEXT) | instid1(VALU_DEP_2)
	v_add_f64_e32 v[60:61], v[60:61], v[50:51]
	v_add_f64_e32 v[90:91], v[52:53], v[90:91]
	ds_load_b128 v[50:53], v67 offset:768
	s_wait_dscnt 0x0
	v_mul_f64_e32 v[54:55], v[80:81], v[52:53]
	v_mul_f64_e32 v[56:57], v[78:79], v[52:53]
	s_delay_alu instid0(VALU_DEP_2) | instskip(NEXT) | instid1(VALU_DEP_2)
	v_fma_f64 v[54:55], v[78:79], v[50:51], -v[54:55]
	v_fma_f64 v[56:57], v[80:81], v[50:51], v[56:57]
	s_delay_alu instid0(VALU_DEP_2) | instskip(NEXT) | instid1(VALU_DEP_2)
	v_add_f64_e32 v[76:77], v[76:77], v[54:55]
	v_add_f64_e32 v[74:75], v[56:57], v[74:75]
	ds_load_b128 v[54:57], v66 offset:8208
	s_wait_dscnt 0x0
	v_mul_f64_e32 v[78:79], v[56:57], v[48:49]
	v_mul_f64_e32 v[48:49], v[54:55], v[48:49]
	s_delay_alu instid0(VALU_DEP_2) | instskip(NEXT) | instid1(VALU_DEP_2)
	v_fma_f64 v[78:79], v[54:55], v[46:47], -v[78:79]
	v_fma_f64 v[46:47], v[56:57], v[46:47], v[48:49]
	v_mul_f64_e32 v[48:49], v[54:55], v[52:53]
	s_delay_alu instid0(VALU_DEP_3) | instskip(NEXT) | instid1(VALU_DEP_3)
	v_add_f64_e32 v[78:79], v[88:89], v[78:79]
	v_add_f64_e32 v[80:81], v[46:47], v[86:87]
	v_mul_f64_e32 v[46:47], v[56:57], v[52:53]
	s_delay_alu instid0(VALU_DEP_4) | instskip(NEXT) | instid1(VALU_DEP_2)
	v_fma_f64 v[48:49], v[56:57], v[50:51], v[48:49]
	v_fma_f64 v[46:47], v[54:55], v[50:51], -v[46:47]
	s_delay_alu instid0(VALU_DEP_2) | instskip(NEXT) | instid1(VALU_DEP_2)
	v_add_f64_e32 v[58:59], v[48:49], v[58:59]
	v_add_f64_e32 v[62:63], v[62:63], v[46:47]
	ds_load_b128 v[46:49], v67 offset:1024
	s_wait_dscnt 0x0
	v_mul_f64_e32 v[50:51], v[84:85], v[48:49]
	v_mul_f64_e32 v[52:53], v[82:83], v[48:49]
	s_delay_alu instid0(VALU_DEP_2) | instskip(NEXT) | instid1(VALU_DEP_2)
	v_fma_f64 v[50:51], v[82:83], v[46:47], -v[50:51]
	v_fma_f64 v[52:53], v[84:85], v[46:47], v[52:53]
	s_delay_alu instid0(VALU_DEP_2) | instskip(NEXT) | instid1(VALU_DEP_2)
	v_add_f64_e32 v[60:61], v[60:61], v[50:51]
	v_add_f64_e32 v[86:87], v[52:53], v[90:91]
	ds_load_b128 v[50:53], v67 offset:1280
	s_wait_dscnt 0x0
	v_mul_f64_e32 v[54:55], v[84:85], v[52:53]
	v_mul_f64_e32 v[56:57], v[82:83], v[52:53]
	s_delay_alu instid0(VALU_DEP_2) | instskip(NEXT) | instid1(VALU_DEP_2)
	v_fma_f64 v[54:55], v[82:83], v[50:51], -v[54:55]
	v_fma_f64 v[56:57], v[84:85], v[50:51], v[56:57]
	;; [unrolled: 10-line block ×3, first 2 shown]
	v_mul_f64_e32 v[48:49], v[54:55], v[52:53]
	s_delay_alu instid0(VALU_DEP_3) | instskip(NEXT) | instid1(VALU_DEP_3)
	v_add_f64_e32 v[78:79], v[78:79], v[82:83]
	v_add_f64_e32 v[80:81], v[46:47], v[80:81]
	v_mul_f64_e32 v[46:47], v[56:57], v[52:53]
	s_delay_alu instid0(VALU_DEP_4) | instskip(NEXT) | instid1(VALU_DEP_2)
	v_fma_f64 v[48:49], v[56:57], v[50:51], v[48:49]
	v_fma_f64 v[46:47], v[54:55], v[50:51], -v[46:47]
	s_delay_alu instid0(VALU_DEP_2) | instskip(NEXT) | instid1(VALU_DEP_2)
	v_add_f64_e32 v[56:57], v[48:49], v[58:59]
	v_add_f64_e32 v[54:55], v[62:63], v[46:47]
	ds_load_b128 v[46:49], v67 offset:1536
	s_wait_dscnt 0x0
	v_mul_f64_e32 v[50:51], v[4:5], v[48:49]
	v_mul_f64_e32 v[52:53], v[2:3], v[48:49]
	s_delay_alu instid0(VALU_DEP_2) | instskip(NEXT) | instid1(VALU_DEP_2)
	v_fma_f64 v[50:51], v[2:3], v[46:47], -v[50:51]
	v_fma_f64 v[52:53], v[4:5], v[46:47], v[52:53]
	s_delay_alu instid0(VALU_DEP_2) | instskip(NEXT) | instid1(VALU_DEP_2)
	v_add_f64_e32 v[58:59], v[60:61], v[50:51]
	v_add_f64_e32 v[60:61], v[52:53], v[86:87]
	ds_load_b128 v[50:53], v67 offset:1792
	s_wait_dscnt 0x0
	v_mul_f64_e32 v[62:63], v[4:5], v[52:53]
	s_delay_alu instid0(VALU_DEP_1) | instskip(SKIP_1) | instid1(VALU_DEP_2)
	v_fma_f64 v[62:63], v[2:3], v[50:51], -v[62:63]
	v_mul_f64_e32 v[2:3], v[2:3], v[52:53]
	v_add_f64_e32 v[62:63], v[76:77], v[62:63]
	s_delay_alu instid0(VALU_DEP_2) | instskip(NEXT) | instid1(VALU_DEP_1)
	v_fma_f64 v[2:3], v[4:5], v[50:51], v[2:3]
	v_add_f64_e32 v[74:75], v[2:3], v[74:75]
	ds_load_b128 v[2:5], v66 offset:8240
	s_wait_dscnt 0x0
	v_mul_f64_e32 v[76:77], v[4:5], v[48:49]
	v_mul_f64_e32 v[48:49], v[2:3], v[48:49]
	s_delay_alu instid0(VALU_DEP_2) | instskip(NEXT) | instid1(VALU_DEP_2)
	v_fma_f64 v[76:77], v[2:3], v[46:47], -v[76:77]
	v_fma_f64 v[46:47], v[4:5], v[46:47], v[48:49]
	s_delay_alu instid0(VALU_DEP_2) | instskip(NEXT) | instid1(VALU_DEP_2)
	v_add_f64_e32 v[76:77], v[78:79], v[76:77]
	v_add_f64_e32 v[78:79], v[46:47], v[80:81]
	v_mul_f64_e32 v[46:47], v[4:5], v[52:53]
	s_delay_alu instid0(VALU_DEP_1) | instskip(SKIP_1) | instid1(VALU_DEP_2)
	v_fma_f64 v[46:47], v[2:3], v[50:51], -v[46:47]
	v_mul_f64_e32 v[2:3], v[2:3], v[52:53]
	v_add_f64_e32 v[54:55], v[54:55], v[46:47]
	s_delay_alu instid0(VALU_DEP_2) | instskip(NEXT) | instid1(VALU_DEP_1)
	v_fma_f64 v[2:3], v[4:5], v[50:51], v[2:3]
	v_add_f64_e32 v[56:57], v[2:3], v[56:57]
	ds_load_b128 v[2:5], v66 offset:64
	ds_load_b128 v[46:49], v67 offset:2048
	s_wait_dscnt 0x0
	v_mul_f64_e32 v[50:51], v[4:5], v[48:49]
	v_mul_f64_e32 v[52:53], v[2:3], v[48:49]
	s_delay_alu instid0(VALU_DEP_2) | instskip(NEXT) | instid1(VALU_DEP_2)
	v_fma_f64 v[50:51], v[2:3], v[46:47], -v[50:51]
	v_fma_f64 v[52:53], v[4:5], v[46:47], v[52:53]
	s_delay_alu instid0(VALU_DEP_2) | instskip(NEXT) | instid1(VALU_DEP_2)
	v_add_f64_e32 v[58:59], v[58:59], v[50:51]
	v_add_f64_e32 v[60:61], v[52:53], v[60:61]
	ds_load_b128 v[50:53], v67 offset:2304
	s_wait_dscnt 0x0
	v_mul_f64_e32 v[80:81], v[4:5], v[52:53]
	s_delay_alu instid0(VALU_DEP_1) | instskip(SKIP_1) | instid1(VALU_DEP_2)
	v_fma_f64 v[80:81], v[2:3], v[50:51], -v[80:81]
	v_mul_f64_e32 v[2:3], v[2:3], v[52:53]
	v_add_f64_e32 v[62:63], v[62:63], v[80:81]
	s_delay_alu instid0(VALU_DEP_2) | instskip(NEXT) | instid1(VALU_DEP_1)
	v_fma_f64 v[2:3], v[4:5], v[50:51], v[2:3]
	v_add_f64_e32 v[74:75], v[2:3], v[74:75]
	ds_load_b128 v[2:5], v66 offset:8256
	s_wait_dscnt 0x0
	v_mul_f64_e32 v[80:81], v[4:5], v[48:49]
	v_mul_f64_e32 v[48:49], v[2:3], v[48:49]
	s_delay_alu instid0(VALU_DEP_2) | instskip(NEXT) | instid1(VALU_DEP_2)
	v_fma_f64 v[80:81], v[2:3], v[46:47], -v[80:81]
	v_fma_f64 v[46:47], v[4:5], v[46:47], v[48:49]
	s_delay_alu instid0(VALU_DEP_2) | instskip(NEXT) | instid1(VALU_DEP_2)
	v_add_f64_e32 v[76:77], v[76:77], v[80:81]
	v_add_f64_e32 v[78:79], v[46:47], v[78:79]
	v_mul_f64_e32 v[46:47], v[4:5], v[52:53]
	s_delay_alu instid0(VALU_DEP_1) | instskip(SKIP_1) | instid1(VALU_DEP_2)
	v_fma_f64 v[46:47], v[2:3], v[50:51], -v[46:47]
	v_mul_f64_e32 v[2:3], v[2:3], v[52:53]
	v_add_f64_e32 v[54:55], v[54:55], v[46:47]
	s_delay_alu instid0(VALU_DEP_2) | instskip(NEXT) | instid1(VALU_DEP_1)
	v_fma_f64 v[2:3], v[4:5], v[50:51], v[2:3]
	v_add_f64_e32 v[56:57], v[2:3], v[56:57]
	ds_load_b128 v[2:5], v66 offset:80
	;; [unrolled: 39-line block ×27, first 2 shown]
	ds_load_b128 v[46:49], v67 offset:15360
	s_wait_dscnt 0x0
	v_mul_f64_e32 v[50:51], v[4:5], v[48:49]
	v_mul_f64_e32 v[52:53], v[2:3], v[48:49]
	s_delay_alu instid0(VALU_DEP_2) | instskip(NEXT) | instid1(VALU_DEP_2)
	v_fma_f64 v[50:51], v[2:3], v[46:47], -v[50:51]
	v_fma_f64 v[52:53], v[4:5], v[46:47], v[52:53]
	s_delay_alu instid0(VALU_DEP_2) | instskip(NEXT) | instid1(VALU_DEP_2)
	v_add_f64_e32 v[58:59], v[58:59], v[50:51]
	v_add_f64_e32 v[60:61], v[52:53], v[60:61]
	ds_load_b128 v[50:53], v67 offset:15616
	s_wait_dscnt 0x0
	v_mul_f64_e32 v[80:81], v[4:5], v[52:53]
	s_delay_alu instid0(VALU_DEP_1) | instskip(SKIP_1) | instid1(VALU_DEP_2)
	v_fma_f64 v[80:81], v[2:3], v[50:51], -v[80:81]
	v_mul_f64_e32 v[2:3], v[2:3], v[52:53]
	v_add_f64_e32 v[80:81], v[62:63], v[80:81]
	s_delay_alu instid0(VALU_DEP_2) | instskip(NEXT) | instid1(VALU_DEP_1)
	v_fma_f64 v[2:3], v[4:5], v[50:51], v[2:3]
	v_add_f64_e32 v[74:75], v[2:3], v[74:75]
	ds_load_b128 v[2:5], v66 offset:8672
	s_wait_dscnt 0x0
	v_mul_f64_e32 v[62:63], v[4:5], v[48:49]
	v_mul_f64_e32 v[48:49], v[2:3], v[48:49]
	s_delay_alu instid0(VALU_DEP_2) | instskip(NEXT) | instid1(VALU_DEP_2)
	v_fma_f64 v[62:63], v[2:3], v[46:47], -v[62:63]
	v_fma_f64 v[46:47], v[4:5], v[46:47], v[48:49]
	s_delay_alu instid0(VALU_DEP_2) | instskip(NEXT) | instid1(VALU_DEP_2)
	v_add_f64_e32 v[82:83], v[76:77], v[62:63]
	v_add_f64_e32 v[78:79], v[46:47], v[78:79]
	v_mul_f64_e32 v[46:47], v[4:5], v[52:53]
	s_delay_alu instid0(VALU_DEP_1) | instskip(SKIP_1) | instid1(VALU_DEP_1)
	v_fma_f64 v[46:47], v[2:3], v[50:51], -v[46:47]
	v_mul_f64_e32 v[2:3], v[2:3], v[52:53]
	v_fma_f64 v[4:5], v[4:5], v[50:51], v[2:3]
	s_delay_alu instid0(VALU_DEP_3) | instskip(NEXT) | instid1(VALU_DEP_2)
	v_add_f64_e32 v[2:3], v[54:55], v[46:47]
	v_add_f64_e32 v[4:5], v[4:5], v[56:57]
	ds_load_b128 v[46:49], v66 offset:496
	ds_load_b128 v[54:57], v67 offset:15872
	s_wait_dscnt 0x0
	v_mul_f64_e32 v[52:53], v[46:47], v[56:57]
	v_mul_f64_e32 v[50:51], v[48:49], v[56:57]
	s_delay_alu instid0(VALU_DEP_2) | instskip(NEXT) | instid1(VALU_DEP_2)
	v_fma_f64 v[52:53], v[48:49], v[54:55], v[52:53]
	v_fma_f64 v[50:51], v[46:47], v[54:55], -v[50:51]
	s_delay_alu instid0(VALU_DEP_2) | instskip(SKIP_4) | instid1(VALU_DEP_1)
	v_add_f64_e32 v[52:53], v[52:53], v[60:61]
	ds_load_b128 v[60:63], v67 offset:16128
	v_add_f64_e32 v[50:51], v[58:59], v[50:51]
	s_wait_dscnt 0x0
	v_mul_f64_e32 v[58:59], v[48:49], v[62:63]
	v_fma_f64 v[58:59], v[46:47], v[60:61], -v[58:59]
	v_mul_f64_e32 v[46:47], v[46:47], v[62:63]
	s_delay_alu instid0(VALU_DEP_1) | instskip(NEXT) | instid1(VALU_DEP_3)
	v_fma_f64 v[48:49], v[48:49], v[60:61], v[46:47]
	v_add_f64_e32 v[46:47], v[80:81], v[58:59]
	s_delay_alu instid0(VALU_DEP_2)
	v_add_f64_e32 v[48:49], v[48:49], v[74:75]
	ds_load_b128 v[74:77], v66 offset:8688
	s_wait_loadcnt_dscnt 0x0
	s_barrier_signal -1
	s_barrier_wait -1
	global_inv scope:SCOPE_SE
	v_mul_f64_e32 v[58:59], v[76:77], v[56:57]
	v_mul_f64_e32 v[56:57], v[74:75], v[56:57]
	s_delay_alu instid0(VALU_DEP_2) | instskip(NEXT) | instid1(VALU_DEP_2)
	v_fma_f64 v[58:59], v[74:75], v[54:55], -v[58:59]
	v_fma_f64 v[56:57], v[76:77], v[54:55], v[56:57]
	s_delay_alu instid0(VALU_DEP_2) | instskip(SKIP_2) | instid1(VALU_DEP_4)
	v_add_f64_e32 v[54:55], v[82:83], v[58:59]
	v_mul_f64_e32 v[58:59], v[76:77], v[62:63]
	v_mul_f64_e32 v[62:63], v[74:75], v[62:63]
	v_add_f64_e32 v[56:57], v[56:57], v[78:79]
	s_delay_alu instid0(VALU_DEP_3) | instskip(NEXT) | instid1(VALU_DEP_3)
	v_fma_f64 v[58:59], v[74:75], v[60:61], -v[58:59]
	v_fma_f64 v[60:61], v[76:77], v[60:61], v[62:63]
	s_delay_alu instid0(VALU_DEP_2) | instskip(NEXT) | instid1(VALU_DEP_2)
	v_add_f64_e32 v[62:63], v[2:3], v[58:59]
	v_add_f64_e32 v[58:59], v[60:61], v[4:5]
	s_cbranch_scc1 .LBB125_58
.LBB125_10:                             ;   Parent Loop BB125_4 Depth=1
                                        ;     Parent Loop BB125_7 Depth=2
                                        ; =>    This Inner Loop Header: Depth=3
	s_wait_alu 0xfffe
	v_add_co_u32 v4, s5, v64, s16
	s_wait_alu 0xf1ff
	v_add_co_ci_u32_e64 v5, null, 0, s17, s5
	v_cmp_eq_u64_e64 s7, s[16:17], v[32:33]
	s_delay_alu instid0(VALU_DEP_2)
	v_cmp_gt_i64_e64 s5, v[4:5], v[28:29]
	v_cmp_le_i64_e64 s6, s[42:43], v[4:5]
	s_and_b32 s52, s36, s7
	v_add_co_u32 v60, s7, v42, v34
	s_or_b32 s8, vcc_lo, s5
	v_add_co_ci_u32_e64 v61, null, v43, v35, s7
	s_wait_alu 0xfffe
	s_or_b32 s7, s8, s52
	s_wait_alu 0xfffe
	s_nor_b32 s7, s6, s7
	s_wait_alu 0xfffe
	s_and_saveexec_b32 s8, s7
	s_wait_alu 0xfffe
	s_xor_b32 s7, exec_lo, s8
	s_cbranch_execz .LBB125_12
; %bb.11:                               ;   in Loop: Header=BB125_10 Depth=3
	global_load_b128 v[74:77], v[60:61], off offset:-256
	s_wait_loadcnt 0x0
	ds_store_2addr_b64 v68, v[74:75], v[76:77] offset1:1
.LBB125_12:                             ;   in Loop: Header=BB125_10 Depth=3
	s_wait_alu 0xfffe
	s_or_saveexec_b32 s7, s7
	s_xor_b32 s51, s52, -1
	s_wait_alu 0xfffe
	s_xor_b32 exec_lo, exec_lo, s7
	s_cbranch_execz .LBB125_18
; %bb.13:                               ;   in Loop: Header=BB125_10 Depth=3
	s_and_saveexec_b32 s8, s51
	s_wait_alu 0xfffe
	s_xor_b32 s8, exec_lo, s8
; %bb.14:                               ;   in Loop: Header=BB125_10 Depth=3
	v_dual_mov_b32 v74, v0 :: v_dual_mov_b32 v75, v0
	v_dual_mov_b32 v76, v0 :: v_dual_mov_b32 v77, v0
	ds_store_b128 v68, v[74:77]
; %bb.15:                               ;   in Loop: Header=BB125_10 Depth=3
	s_wait_alu 0xfffe
	s_and_not1_saveexec_b32 s8, s8
; %bb.16:                               ;   in Loop: Header=BB125_10 Depth=3
	v_dual_mov_b32 v2, v0 :: v_dual_mov_b32 v3, v0
	ds_store_b128 v68, v[0:3]
; %bb.17:                               ;   in Loop: Header=BB125_10 Depth=3
	s_wait_alu 0xfffe
	s_or_b32 exec_lo, exec_lo, s8
.LBB125_18:                             ;   in Loop: Header=BB125_10 Depth=3
	s_delay_alu instid0(SALU_CYCLE_1) | instskip(SKIP_4) | instid1(VALU_DEP_2)
	s_or_b32 exec_lo, exec_lo, s7
	v_add_co_u32 v2, s7, v4, 16
	s_wait_alu 0xf1ff
	v_add_co_ci_u32_e64 v3, null, 0, v5, s7
	v_cmp_eq_u64_e64 s8, s[16:17], v[38:39]
	v_cmp_gt_i64_e64 s9, v[2:3], v[28:29]
	v_cmp_le_i64_e64 s7, s[42:43], v[2:3]
	s_and_b32 s53, s36, s8
	s_or_b32 s8, vcc_lo, s9
	s_wait_alu 0xfffe
	s_or_b32 s8, s8, s53
	s_wait_alu 0xfffe
	s_nor_b32 s8, s7, s8
	s_wait_alu 0xfffe
	s_and_saveexec_b32 s9, s8
	s_wait_alu 0xfffe
	s_xor_b32 s9, exec_lo, s9
	s_cbranch_execz .LBB125_20
; %bb.19:                               ;   in Loop: Header=BB125_10 Depth=3
	v_add_co_u32 v2, s8, v40, v34
	s_wait_alu 0xf1ff
	v_add_co_ci_u32_e64 v3, null, v41, v35, s8
	global_load_b128 v[74:77], v[2:3], off
	v_add_nc_u32_e32 v2, 0x100, v68
	s_wait_loadcnt 0x0
	ds_store_2addr_b64 v2, v[74:75], v[76:77] offset1:1
.LBB125_20:                             ;   in Loop: Header=BB125_10 Depth=3
	s_wait_alu 0xfffe
	s_and_not1_saveexec_b32 s8, s9
	s_cbranch_execz .LBB125_26
; %bb.21:                               ;   in Loop: Header=BB125_10 Depth=3
	s_xor_b32 s9, s53, -1
	s_wait_alu 0xfffe
	s_and_saveexec_b32 s53, s9
	s_delay_alu instid0(SALU_CYCLE_1)
	s_xor_b32 s9, exec_lo, s53
; %bb.22:                               ;   in Loop: Header=BB125_10 Depth=3
	v_dual_mov_b32 v74, v0 :: v_dual_mov_b32 v75, v0
	v_dual_mov_b32 v76, v0 :: v_dual_mov_b32 v77, v0
	ds_store_b128 v68, v[74:77] offset:256
; %bb.23:                               ;   in Loop: Header=BB125_10 Depth=3
	s_wait_alu 0xfffe
	s_and_not1_saveexec_b32 s9, s9
; %bb.24:                               ;   in Loop: Header=BB125_10 Depth=3
	v_dual_mov_b32 v2, v0 :: v_dual_mov_b32 v3, v0
	ds_store_b128 v68, v[0:3] offset:256
; %bb.25:                               ;   in Loop: Header=BB125_10 Depth=3
	s_wait_alu 0xfffe
	s_or_b32 exec_lo, exec_lo, s9
.LBB125_26:                             ;   in Loop: Header=BB125_10 Depth=3
	s_wait_alu 0xfffe
	s_or_b32 exec_lo, exec_lo, s8
	v_cmp_eq_u64_e64 s8, s[16:17], v[36:37]
	v_cmp_gt_i64_e64 s9, v[4:5], v[30:31]
	s_and_b32 s8, s36, s8
	s_or_b32 s9, s4, s9
	s_wait_alu 0xfffe
	s_or_b32 s9, s9, s8
	s_wait_alu 0xfffe
	s_nor_b32 s6, s6, s9
	s_wait_alu 0xfffe
	s_and_saveexec_b32 s9, s6
	s_wait_alu 0xfffe
	s_xor_b32 s6, exec_lo, s9
	s_cbranch_execz .LBB125_28
; %bb.27:                               ;   in Loop: Header=BB125_10 Depth=3
	global_load_b128 v[2:5], v[60:61], off
	v_add_nc_u32_e32 v27, 0x2000, v68
	s_wait_loadcnt 0x0
	ds_store_2addr_b64 v27, v[2:3], v[4:5] offset1:1
.LBB125_28:                             ;   in Loop: Header=BB125_10 Depth=3
	s_wait_alu 0xfffe
	s_and_not1_saveexec_b32 s6, s6
	s_cbranch_execz .LBB125_34
; %bb.29:                               ;   in Loop: Header=BB125_10 Depth=3
	s_xor_b32 s8, s8, -1
	s_wait_alu 0xfffe
	s_and_saveexec_b32 s9, s8
	s_wait_alu 0xfffe
	s_xor_b32 s8, exec_lo, s9
; %bb.30:                               ;   in Loop: Header=BB125_10 Depth=3
	v_dual_mov_b32 v2, v0 :: v_dual_mov_b32 v3, v0
	v_dual_mov_b32 v4, v0 :: v_dual_mov_b32 v5, v0
	ds_store_b128 v68, v[2:5] offset:8192
; %bb.31:                               ;   in Loop: Header=BB125_10 Depth=3
	s_wait_alu 0xfffe
	s_and_not1_saveexec_b32 s8, s8
; %bb.32:                               ;   in Loop: Header=BB125_10 Depth=3
	v_dual_mov_b32 v2, v0 :: v_dual_mov_b32 v3, v0
	ds_store_b128 v68, v[0:3] offset:8192
; %bb.33:                               ;   in Loop: Header=BB125_10 Depth=3
	s_wait_alu 0xfffe
	s_or_b32 exec_lo, exec_lo, s8
.LBB125_34:                             ;   in Loop: Header=BB125_10 Depth=3
	s_wait_alu 0xfffe
	s_or_b32 exec_lo, exec_lo, s6
	s_or_b32 s5, s4, s5
	s_wait_alu 0xfffe
	s_or_b32 s5, s5, s52
	s_wait_alu 0xfffe
	s_nor_b32 s5, s7, s5
	s_wait_alu 0xfffe
	s_and_saveexec_b32 s6, s5
	s_wait_alu 0xfffe
	s_xor_b32 s6, exec_lo, s6
	s_cbranch_execz .LBB125_36
; %bb.35:                               ;   in Loop: Header=BB125_10 Depth=3
	v_add_co_u32 v2, s5, v40, v34
	s_wait_alu 0xf1ff
	v_add_co_ci_u32_e64 v3, null, v41, v35, s5
	v_add_nc_u32_e32 v27, 0x2100, v68
	global_load_b128 v[2:5], v[2:3], off offset:256
	s_wait_loadcnt 0x0
	ds_store_2addr_b64 v27, v[2:3], v[4:5] offset1:1
.LBB125_36:                             ;   in Loop: Header=BB125_10 Depth=3
	s_wait_alu 0xfffe
	s_and_not1_saveexec_b32 s5, s6
	s_cbranch_execz .LBB125_42
; %bb.37:                               ;   in Loop: Header=BB125_10 Depth=3
	s_and_saveexec_b32 s6, s51
	s_wait_alu 0xfffe
	s_xor_b32 s6, exec_lo, s6
; %bb.38:                               ;   in Loop: Header=BB125_10 Depth=3
	v_dual_mov_b32 v2, v0 :: v_dual_mov_b32 v3, v0
	v_dual_mov_b32 v4, v0 :: v_dual_mov_b32 v5, v0
	ds_store_b128 v68, v[2:5] offset:8448
; %bb.39:                               ;   in Loop: Header=BB125_10 Depth=3
	s_wait_alu 0xfffe
	s_and_not1_saveexec_b32 s6, s6
; %bb.40:                               ;   in Loop: Header=BB125_10 Depth=3
	v_dual_mov_b32 v2, v0 :: v_dual_mov_b32 v3, v0
	ds_store_b128 v68, v[0:3] offset:8448
; %bb.41:                               ;   in Loop: Header=BB125_10 Depth=3
	s_wait_alu 0xfffe
	s_or_b32 exec_lo, exec_lo, s6
.LBB125_42:                             ;   in Loop: Header=BB125_10 Depth=3
	s_wait_alu 0xfffe
	s_or_b32 exec_lo, exec_lo, s5
	v_add_co_u32 v2, s5, v65, s16
	s_wait_alu 0xf1ff
	v_add_co_ci_u32_e64 v3, null, 0, s17, s5
	v_add_co_u32 v4, s6, v44, v8
	s_wait_alu 0xf1ff
	v_add_co_ci_u32_e64 v5, null, v45, v9, s6
	s_delay_alu instid0(VALU_DEP_3)
	v_cmp_le_i64_e64 s5, s[42:43], v[2:3]
	s_nor_b32 s6, s5, s0
	s_wait_alu 0xfffe
	s_and_saveexec_b32 s7, s6
	s_wait_alu 0xfffe
	s_xor_b32 s6, exec_lo, s7
	s_cbranch_execz .LBB125_44
; %bb.43:                               ;   in Loop: Header=BB125_10 Depth=3
	global_load_b128 v[74:77], v[4:5], off offset:-256
	s_wait_loadcnt 0x0
	ds_store_2addr_b64 v69, v[74:75], v[76:77] offset1:1
.LBB125_44:                             ;   in Loop: Header=BB125_10 Depth=3
	s_wait_alu 0xfffe
	s_and_not1_saveexec_b32 s6, s6
; %bb.45:                               ;   in Loop: Header=BB125_10 Depth=3
	v_dual_mov_b32 v74, v0 :: v_dual_mov_b32 v75, v0
	v_dual_mov_b32 v76, v0 :: v_dual_mov_b32 v77, v0
	ds_store_b128 v69, v[74:77]
; %bb.46:                               ;   in Loop: Header=BB125_10 Depth=3
	s_wait_alu 0xfffe
	s_or_b32 exec_lo, exec_lo, s6
	s_nor_b32 s5, s5, s1
	s_wait_alu 0xfffe
	s_and_saveexec_b32 s6, s5
	s_wait_alu 0xfffe
	s_xor_b32 s5, exec_lo, s6
	s_cbranch_execz .LBB125_48
; %bb.47:                               ;   in Loop: Header=BB125_10 Depth=3
	global_load_b128 v[74:77], v[4:5], off
	v_add_nc_u32_e32 v4, 0x100, v69
	s_wait_loadcnt 0x0
	ds_store_2addr_b64 v4, v[74:75], v[76:77] offset1:1
.LBB125_48:                             ;   in Loop: Header=BB125_10 Depth=3
	s_wait_alu 0xfffe
	s_and_not1_saveexec_b32 s5, s5
; %bb.49:                               ;   in Loop: Header=BB125_10 Depth=3
	v_dual_mov_b32 v74, v0 :: v_dual_mov_b32 v75, v0
	v_dual_mov_b32 v76, v0 :: v_dual_mov_b32 v77, v0
	ds_store_b128 v69, v[74:77] offset:256
; %bb.50:                               ;   in Loop: Header=BB125_10 Depth=3
	s_wait_alu 0xfffe
	s_or_b32 exec_lo, exec_lo, s5
	v_cmp_le_i64_e64 s5, s[46:47], v[2:3]
	v_add_co_u32 v2, s6, v44, v6
	s_wait_alu 0xf1ff
	v_add_co_ci_u32_e64 v3, null, v45, v7, s6
	s_nor_b32 s6, s5, s0
	s_wait_alu 0xfffe
	s_and_saveexec_b32 s7, s6
	s_wait_alu 0xfffe
	s_xor_b32 s6, exec_lo, s7
	s_cbranch_execz .LBB125_52
; %bb.51:                               ;   in Loop: Header=BB125_10 Depth=3
	global_load_b128 v[74:77], v[2:3], off offset:-256
	v_add_nc_u32_e32 v4, 0x2000, v69
	s_wait_loadcnt 0x0
	ds_store_2addr_b64 v4, v[74:75], v[76:77] offset1:1
.LBB125_52:                             ;   in Loop: Header=BB125_10 Depth=3
	s_wait_alu 0xfffe
	s_and_not1_saveexec_b32 s6, s6
; %bb.53:                               ;   in Loop: Header=BB125_10 Depth=3
	v_dual_mov_b32 v74, v0 :: v_dual_mov_b32 v75, v0
	v_dual_mov_b32 v76, v0 :: v_dual_mov_b32 v77, v0
	ds_store_b128 v69, v[74:77] offset:8192
; %bb.54:                               ;   in Loop: Header=BB125_10 Depth=3
	s_wait_alu 0xfffe
	s_or_b32 exec_lo, exec_lo, s6
	s_nor_b32 s5, s5, s1
	s_wait_alu 0xfffe
	s_and_saveexec_b32 s6, s5
	s_wait_alu 0xfffe
	s_xor_b32 s5, exec_lo, s6
	s_cbranch_execz .LBB125_56
; %bb.55:                               ;   in Loop: Header=BB125_10 Depth=3
	global_load_b128 v[2:5], v[2:3], off
	s_wait_loadcnt 0x0
	ds_store_2addr_b64 v70, v[2:3], v[4:5] offset1:1
.LBB125_56:                             ;   in Loop: Header=BB125_10 Depth=3
	s_wait_alu 0xfffe
	s_and_not1_saveexec_b32 s5, s5
	s_cbranch_execz .LBB125_9
; %bb.57:                               ;   in Loop: Header=BB125_10 Depth=3
	v_dual_mov_b32 v2, v0 :: v_dual_mov_b32 v3, v0
	v_dual_mov_b32 v4, v0 :: v_dual_mov_b32 v5, v0
	ds_store_b128 v69, v[2:5] offset:8448
	s_branch .LBB125_9
.LBB125_58:                             ;   in Loop: Header=BB125_7 Depth=2
	v_mul_lo_u32 v4, s25, v28
	s_delay_alu instid0(VALU_DEP_2) | instskip(SKIP_2) | instid1(VALU_DEP_2)
	v_mul_lo_u32 v5, s24, v29
	v_mad_co_u64_u32 v[2:3], null, s24, v28, 0
	v_cmp_gt_i32_e32 vcc_lo, s38, v28
	v_add3_u32 v3, v3, v5, v4
	s_delay_alu instid0(VALU_DEP_1) | instskip(NEXT) | instid1(VALU_DEP_1)
	v_lshlrev_b64_e32 v[2:3], 4, v[2:3]
	v_add_co_u32 v2, s4, s14, v2
	s_wait_alu 0xf1ff
	s_delay_alu instid0(VALU_DEP_2)
	v_add_co_ci_u32_e64 v3, null, s15, v3, s4
	s_and_b32 s4, s2, vcc_lo
	s_wait_alu 0xfffe
	s_and_saveexec_b32 s5, s4
	s_cbranch_execz .LBB125_60
; %bb.59:                               ;   in Loop: Header=BB125_7 Depth=2
	v_add_co_u32 v4, s4, v2, v10
	s_wait_alu 0xf1ff
	v_add_co_ci_u32_e64 v5, null, v3, v11, s4
	v_mul_f64_e32 v[33:34], s[30:31], v[52:53]
	v_mul_f64_e32 v[35:36], s[28:29], v[52:53]
	global_load_b128 v[29:32], v[4:5], off
	v_fma_f64 v[33:34], s[28:29], v[50:51], -v[33:34]
	v_fma_f64 v[35:36], s[30:31], v[50:51], v[35:36]
	s_wait_loadcnt 0x0
	s_delay_alu instid0(VALU_DEP_2) | instskip(NEXT) | instid1(VALU_DEP_2)
	v_add_f64_e32 v[29:30], v[29:30], v[33:34]
	v_add_f64_e32 v[31:32], v[35:36], v[31:32]
	global_store_b128 v[4:5], v[29:32], off
.LBB125_60:                             ;   in Loop: Header=BB125_7 Depth=2
	s_wait_alu 0xfffe
	s_or_b32 exec_lo, exec_lo, s5
	s_and_b32 s5, s3, vcc_lo
	s_wait_alu 0xfffe
	s_and_saveexec_b32 s4, s5
	s_cbranch_execz .LBB125_62
; %bb.61:                               ;   in Loop: Header=BB125_7 Depth=2
	v_add_co_u32 v29, vcc_lo, v2, v18
	s_wait_alu 0xfffd
	v_add_co_ci_u32_e64 v30, null, v3, v19, vcc_lo
	v_mul_f64_e32 v[31:32], s[30:31], v[48:49]
	v_mul_f64_e32 v[33:34], s[28:29], v[48:49]
	global_load_b128 v[2:5], v[29:30], off
	v_fma_f64 v[31:32], s[28:29], v[46:47], -v[31:32]
	v_fma_f64 v[33:34], s[30:31], v[46:47], v[33:34]
	s_wait_loadcnt 0x0
	s_delay_alu instid0(VALU_DEP_2) | instskip(NEXT) | instid1(VALU_DEP_2)
	v_add_f64_e32 v[2:3], v[2:3], v[31:32]
	v_add_f64_e32 v[4:5], v[33:34], v[4:5]
	global_store_b128 v[29:30], v[2:5], off
.LBB125_62:                             ;   in Loop: Header=BB125_7 Depth=2
	s_wait_alu 0xfffe
	s_or_b32 exec_lo, exec_lo, s4
	v_add_nc_u32_e32 v4, 16, v28
	s_delay_alu instid0(VALU_DEP_1) | instskip(SKIP_3) | instid1(VALU_DEP_4)
	v_ashrrev_i32_e32 v5, 31, v4
	v_mul_lo_u32 v27, s25, v4
	v_mad_co_u64_u32 v[2:3], null, s24, v4, 0
	v_cmp_gt_i32_e32 vcc_lo, s38, v4
	v_mul_lo_u32 v5, s24, v5
	s_delay_alu instid0(VALU_DEP_1) | instskip(NEXT) | instid1(VALU_DEP_1)
	v_add3_u32 v3, v3, v5, v27
	v_lshlrev_b64_e32 v[2:3], 4, v[2:3]
	s_delay_alu instid0(VALU_DEP_1) | instskip(SKIP_1) | instid1(VALU_DEP_2)
	v_add_co_u32 v2, s4, s14, v2
	s_wait_alu 0xf1ff
	v_add_co_ci_u32_e64 v3, null, s15, v3, s4
	s_and_b32 s4, s2, vcc_lo
	s_wait_alu 0xfffe
	s_and_saveexec_b32 s5, s4
	s_cbranch_execz .LBB125_64
; %bb.63:                               ;   in Loop: Header=BB125_7 Depth=2
	v_add_co_u32 v4, s4, v2, v10
	s_wait_alu 0xf1ff
	v_add_co_ci_u32_e64 v5, null, v3, v11, s4
	v_mul_f64_e32 v[31:32], s[30:31], v[56:57]
	v_mul_f64_e32 v[33:34], s[28:29], v[56:57]
	global_load_b128 v[27:30], v[4:5], off
	v_fma_f64 v[31:32], s[28:29], v[54:55], -v[31:32]
	v_fma_f64 v[33:34], s[30:31], v[54:55], v[33:34]
	s_wait_loadcnt 0x0
	s_delay_alu instid0(VALU_DEP_2) | instskip(NEXT) | instid1(VALU_DEP_2)
	v_add_f64_e32 v[27:28], v[27:28], v[31:32]
	v_add_f64_e32 v[29:30], v[33:34], v[29:30]
	global_store_b128 v[4:5], v[27:30], off
.LBB125_64:                             ;   in Loop: Header=BB125_7 Depth=2
	s_wait_alu 0xfffe
	s_or_b32 exec_lo, exec_lo, s5
	s_and_b32 s5, s3, vcc_lo
	s_wait_alu 0xfffe
	s_and_saveexec_b32 s4, s5
	s_cbranch_execz .LBB125_6
; %bb.65:                               ;   in Loop: Header=BB125_7 Depth=2
	v_add_co_u32 v27, vcc_lo, v2, v18
	s_wait_alu 0xfffd
	v_add_co_ci_u32_e64 v28, null, v3, v19, vcc_lo
	v_mul_f64_e32 v[29:30], s[30:31], v[58:59]
	v_mul_f64_e32 v[31:32], s[28:29], v[58:59]
	global_load_b128 v[2:5], v[27:28], off
	v_fma_f64 v[29:30], s[28:29], v[62:63], -v[29:30]
	v_fma_f64 v[31:32], s[30:31], v[62:63], v[31:32]
	s_wait_loadcnt 0x0
	s_delay_alu instid0(VALU_DEP_2) | instskip(NEXT) | instid1(VALU_DEP_2)
	v_add_f64_e32 v[2:3], v[2:3], v[29:30]
	v_add_f64_e32 v[4:5], v[31:32], v[4:5]
	global_store_b128 v[27:28], v[2:5], off
	s_branch .LBB125_6
.LBB125_66:
	s_endpgm
	.section	.rodata,"a",@progbits
	.p2align	6, 0x0
	.amdhsa_kernel _ZL30rocblas_trmm_outofplace_kernelI19rocblas_complex_numIdELi32ELi2ELb0ELb0ELb1ELb0ES1_KS1_S1_Ev17rocblas_diagonal_iiT6_lPT7_lllS6_lllPT8_llli
		.amdhsa_group_segment_fixed_size 32768
		.amdhsa_private_segment_fixed_size 0
		.amdhsa_kernarg_size 400
		.amdhsa_user_sgpr_count 2
		.amdhsa_user_sgpr_dispatch_ptr 0
		.amdhsa_user_sgpr_queue_ptr 0
		.amdhsa_user_sgpr_kernarg_segment_ptr 1
		.amdhsa_user_sgpr_dispatch_id 0
		.amdhsa_user_sgpr_private_segment_size 0
		.amdhsa_wavefront_size32 1
		.amdhsa_uses_dynamic_stack 0
		.amdhsa_enable_private_segment 0
		.amdhsa_system_sgpr_workgroup_id_x 1
		.amdhsa_system_sgpr_workgroup_id_y 1
		.amdhsa_system_sgpr_workgroup_id_z 1
		.amdhsa_system_sgpr_workgroup_info 0
		.amdhsa_system_vgpr_workitem_id 1
		.amdhsa_next_free_vgpr 94
		.amdhsa_next_free_sgpr 54
		.amdhsa_reserve_vcc 1
		.amdhsa_float_round_mode_32 0
		.amdhsa_float_round_mode_16_64 0
		.amdhsa_float_denorm_mode_32 3
		.amdhsa_float_denorm_mode_16_64 3
		.amdhsa_fp16_overflow 0
		.amdhsa_workgroup_processor_mode 1
		.amdhsa_memory_ordered 1
		.amdhsa_forward_progress 1
		.amdhsa_inst_pref_size 76
		.amdhsa_round_robin_scheduling 0
		.amdhsa_exception_fp_ieee_invalid_op 0
		.amdhsa_exception_fp_denorm_src 0
		.amdhsa_exception_fp_ieee_div_zero 0
		.amdhsa_exception_fp_ieee_overflow 0
		.amdhsa_exception_fp_ieee_underflow 0
		.amdhsa_exception_fp_ieee_inexact 0
		.amdhsa_exception_int_div_zero 0
	.end_amdhsa_kernel
	.section	.text._ZL30rocblas_trmm_outofplace_kernelI19rocblas_complex_numIdELi32ELi2ELb0ELb0ELb1ELb0ES1_KS1_S1_Ev17rocblas_diagonal_iiT6_lPT7_lllS6_lllPT8_llli,"axG",@progbits,_ZL30rocblas_trmm_outofplace_kernelI19rocblas_complex_numIdELi32ELi2ELb0ELb0ELb1ELb0ES1_KS1_S1_Ev17rocblas_diagonal_iiT6_lPT7_lllS6_lllPT8_llli,comdat
.Lfunc_end125:
	.size	_ZL30rocblas_trmm_outofplace_kernelI19rocblas_complex_numIdELi32ELi2ELb0ELb0ELb1ELb0ES1_KS1_S1_Ev17rocblas_diagonal_iiT6_lPT7_lllS6_lllPT8_llli, .Lfunc_end125-_ZL30rocblas_trmm_outofplace_kernelI19rocblas_complex_numIdELi32ELi2ELb0ELb0ELb1ELb0ES1_KS1_S1_Ev17rocblas_diagonal_iiT6_lPT7_lllS6_lllPT8_llli
                                        ; -- End function
	.set _ZL30rocblas_trmm_outofplace_kernelI19rocblas_complex_numIdELi32ELi2ELb0ELb0ELb1ELb0ES1_KS1_S1_Ev17rocblas_diagonal_iiT6_lPT7_lllS6_lllPT8_llli.num_vgpr, 94
	.set _ZL30rocblas_trmm_outofplace_kernelI19rocblas_complex_numIdELi32ELi2ELb0ELb0ELb1ELb0ES1_KS1_S1_Ev17rocblas_diagonal_iiT6_lPT7_lllS6_lllPT8_llli.num_agpr, 0
	.set _ZL30rocblas_trmm_outofplace_kernelI19rocblas_complex_numIdELi32ELi2ELb0ELb0ELb1ELb0ES1_KS1_S1_Ev17rocblas_diagonal_iiT6_lPT7_lllS6_lllPT8_llli.numbered_sgpr, 54
	.set _ZL30rocblas_trmm_outofplace_kernelI19rocblas_complex_numIdELi32ELi2ELb0ELb0ELb1ELb0ES1_KS1_S1_Ev17rocblas_diagonal_iiT6_lPT7_lllS6_lllPT8_llli.num_named_barrier, 0
	.set _ZL30rocblas_trmm_outofplace_kernelI19rocblas_complex_numIdELi32ELi2ELb0ELb0ELb1ELb0ES1_KS1_S1_Ev17rocblas_diagonal_iiT6_lPT7_lllS6_lllPT8_llli.private_seg_size, 0
	.set _ZL30rocblas_trmm_outofplace_kernelI19rocblas_complex_numIdELi32ELi2ELb0ELb0ELb1ELb0ES1_KS1_S1_Ev17rocblas_diagonal_iiT6_lPT7_lllS6_lllPT8_llli.uses_vcc, 1
	.set _ZL30rocblas_trmm_outofplace_kernelI19rocblas_complex_numIdELi32ELi2ELb0ELb0ELb1ELb0ES1_KS1_S1_Ev17rocblas_diagonal_iiT6_lPT7_lllS6_lllPT8_llli.uses_flat_scratch, 0
	.set _ZL30rocblas_trmm_outofplace_kernelI19rocblas_complex_numIdELi32ELi2ELb0ELb0ELb1ELb0ES1_KS1_S1_Ev17rocblas_diagonal_iiT6_lPT7_lllS6_lllPT8_llli.has_dyn_sized_stack, 0
	.set _ZL30rocblas_trmm_outofplace_kernelI19rocblas_complex_numIdELi32ELi2ELb0ELb0ELb1ELb0ES1_KS1_S1_Ev17rocblas_diagonal_iiT6_lPT7_lllS6_lllPT8_llli.has_recursion, 0
	.set _ZL30rocblas_trmm_outofplace_kernelI19rocblas_complex_numIdELi32ELi2ELb0ELb0ELb1ELb0ES1_KS1_S1_Ev17rocblas_diagonal_iiT6_lPT7_lllS6_lllPT8_llli.has_indirect_call, 0
	.section	.AMDGPU.csdata,"",@progbits
; Kernel info:
; codeLenInByte = 9620
; TotalNumSgprs: 56
; NumVgprs: 94
; ScratchSize: 0
; MemoryBound: 0
; FloatMode: 240
; IeeeMode: 1
; LDSByteSize: 32768 bytes/workgroup (compile time only)
; SGPRBlocks: 0
; VGPRBlocks: 11
; NumSGPRsForWavesPerEU: 56
; NumVGPRsForWavesPerEU: 94
; Occupancy: 16
; WaveLimiterHint : 0
; COMPUTE_PGM_RSRC2:SCRATCH_EN: 0
; COMPUTE_PGM_RSRC2:USER_SGPR: 2
; COMPUTE_PGM_RSRC2:TRAP_HANDLER: 0
; COMPUTE_PGM_RSRC2:TGID_X_EN: 1
; COMPUTE_PGM_RSRC2:TGID_Y_EN: 1
; COMPUTE_PGM_RSRC2:TGID_Z_EN: 1
; COMPUTE_PGM_RSRC2:TIDIG_COMP_CNT: 1
	.section	.text._ZL30rocblas_trmm_outofplace_kernelI19rocblas_complex_numIdELi32ELi2ELb0ELb1ELb1ELb0EPKS1_S2_S1_Ev17rocblas_diagonal_iiT6_lPT7_lllS7_lllPT8_llli,"axG",@progbits,_ZL30rocblas_trmm_outofplace_kernelI19rocblas_complex_numIdELi32ELi2ELb0ELb1ELb1ELb0EPKS1_S2_S1_Ev17rocblas_diagonal_iiT6_lPT7_lllS7_lllPT8_llli,comdat
	.globl	_ZL30rocblas_trmm_outofplace_kernelI19rocblas_complex_numIdELi32ELi2ELb0ELb1ELb1ELb0EPKS1_S2_S1_Ev17rocblas_diagonal_iiT6_lPT7_lllS7_lllPT8_llli ; -- Begin function _ZL30rocblas_trmm_outofplace_kernelI19rocblas_complex_numIdELi32ELi2ELb0ELb1ELb1ELb0EPKS1_S2_S1_Ev17rocblas_diagonal_iiT6_lPT7_lllS7_lllPT8_llli
	.p2align	8
	.type	_ZL30rocblas_trmm_outofplace_kernelI19rocblas_complex_numIdELi32ELi2ELb0ELb1ELb1ELb0EPKS1_S2_S1_Ev17rocblas_diagonal_iiT6_lPT7_lllS7_lllPT8_llli,@function
_ZL30rocblas_trmm_outofplace_kernelI19rocblas_complex_numIdELi32ELi2ELb0ELb1ELb1ELb0EPKS1_S2_S1_Ev17rocblas_diagonal_iiT6_lPT7_lllS7_lllPT8_llli: ; @_ZL30rocblas_trmm_outofplace_kernelI19rocblas_complex_numIdELi32ELi2ELb0ELb1ELb1ELb0EPKS1_S2_S1_Ev17rocblas_diagonal_iiT6_lPT7_lllS7_lllPT8_llli
; %bb.0:
	s_load_b32 s11, s[0:1], 0x80
	s_lshr_b32 s34, ttmp7, 16
	s_wait_kmcnt 0x0
	s_cmp_ge_u32 s34, s11
	s_cbranch_scc1 .LBB126_68
; %bb.1:
	s_clause 0x3
	s_load_b96 s[8:10], s[0:1], 0x0
	s_load_b256 s[36:43], s[0:1], 0x50
	s_load_b512 s[12:27], s[0:1], 0x10
	s_load_b128 s[28:31], s[0:1], 0x70
	v_and_b32_e32 v4, 0x3ff, v0
	s_add_nc_u64 s[44:45], s[0:1], 0x88
	v_bfe_u32 v62, v0, 10, 10
	s_and_b32 s33, ttmp7, 0xffff
	s_mov_b32 s35, 0
	v_lshl_add_u32 v0, ttmp9, 5, v4
	v_lshlrev_b32_e32 v2, 4, v4
	v_lshlrev_b32_e32 v63, 9, v62
	s_delay_alu instid0(VALU_DEP_3) | instskip(NEXT) | instid1(VALU_DEP_3)
	v_ashrrev_i32_e32 v1, 31, v0
	v_or_b32_e32 v64, 0x4000, v2
	s_delay_alu instid0(VALU_DEP_3) | instskip(SKIP_1) | instid1(VALU_DEP_4)
	v_add_nc_u32_e32 v65, v63, v2
	v_add_nc_u32_e32 v12, 16, v0
	v_lshlrev_b64_e32 v[14:15], 4, v[0:1]
	s_delay_alu instid0(VALU_DEP_3)
	v_add_nc_u32_e32 v67, 0x2100, v65
	s_wait_kmcnt 0x0
	s_add_co_i32 s2, s10, -1
	v_sub_co_u32 v2, vcc_lo, s9, v0
	s_ashr_i32 s0, s2, 31
	v_ashrrev_i32_e32 v13, 31, v12
	s_wait_alu 0xfffe
	s_lshr_b32 s3, s0, 27
	s_lshl_b64 s[0:1], s[42:43], 4
	s_add_co_i32 s2, s2, s3
	s_wait_alu 0xfffe
	s_add_nc_u64 s[40:41], s[40:41], s[0:1]
	s_ashr_i32 s60, s2, 5
	v_cmp_gt_i32_e64 s2, s9, v0
	s_cmp_le_i32 s33, s60
	v_mov_b32_e32 v0, 0
	s_cselect_b32 s61, -1, 0
	s_cmp_eq_u32 s8, 0x84
	v_add_nc_u32_e32 v66, v64, v63
	s_cselect_b32 s62, -1, 0
	s_ashr_i32 s0, s9, 31
	s_lshl_b32 s4, s33, 5
	s_wait_alu 0xfffe
	v_sub_co_ci_u32_e64 v3, null, s0, v1, vcc_lo
	v_add_nc_u32_e32 v71, s4, v4
	v_add_nc_u32_e32 v72, s4, v62
	s_lshl_b64 s[4:5], s[26:27], 4
	s_delay_alu instid0(VALU_DEP_3)
	v_cmp_gt_i64_e64 s0, 1, v[2:3]
	s_wait_alu 0xfffe
	s_add_nc_u64 s[4:5], s[24:25], s[4:5]
	v_cmp_gt_i64_e64 s1, 17, v[2:3]
	s_wait_alu 0xfffe
	v_add_co_u32 v16, vcc_lo, s4, v14
	s_lshl_b64 s[6:7], s[18:19], 4
	v_add_nc_u32_e32 v68, 0x100, v66
	v_add_nc_u32_e32 v69, 0x2000, v66
	;; [unrolled: 1-line block ×3, first 2 shown]
	v_cmp_gt_i32_e64 s3, s9, v12
	s_wait_alu 0xfffd
	v_add_co_ci_u32_e64 v17, null, s5, v15, vcc_lo
	v_mov_b32_e32 v1, 0x3ff00000
	s_mov_b32 s42, s10
	s_ashr_i32 s43, s10, 31
	s_add_nc_u64 s[16:17], s[16:17], s[6:7]
	s_lshl_b64 s[46:47], s[20:21], 9
	s_lshl_b64 s[48:49], s[36:37], 9
	s_add_nc_u64 s[50:51], s[42:43], -16
	s_lshl_b64 s[26:27], s[36:37], 4
	s_lshl_b64 s[18:19], s[38:39], 4
	s_add_nc_u64 s[24:25], s[16:17], 0x100
	s_lshl_b64 s[22:23], s[22:23], 4
	s_lshl_b64 s[38:39], s[20:21], 4
	s_branch .LBB126_4
.LBB126_2:                              ;   in Loop: Header=BB126_4 Depth=1
	s_add_co_i32 s34, s34, 0x10000
	s_wait_alu 0xfffe
	s_cmp_ge_u32 s34, s11
	s_cselect_b32 s4, -1, 0
.LBB126_3:                              ;   in Loop: Header=BB126_4 Depth=1
	s_wait_alu 0xfffe
	s_and_b32 vcc_lo, exec_lo, s4
	s_wait_alu 0xfffe
	s_cbranch_vccnz .LBB126_68
.LBB126_4:                              ; =>This Loop Header: Depth=1
                                        ;     Child Loop BB126_8 Depth 2
                                        ;       Child Loop BB126_11 Depth 3
	s_mul_u64 s[4:5], s[14:15], s[34:35]
	s_wait_alu 0xfffe
	s_lshl_b64 s[4:5], s[4:5], 4
	s_wait_alu 0xfffe
	s_add_nc_u64 s[4:5], s[12:13], s[4:5]
	global_load_b128 v[4:7], v0, s[4:5]
	s_wait_loadcnt 0x0
	v_cmp_eq_f64_e32 vcc_lo, 0, v[4:5]
	v_cmp_eq_f64_e64 s4, 0, v[6:7]
	s_wait_alu 0xfffe
	s_and_b32 s4, vcc_lo, s4
	s_wait_alu 0xfffe
	s_and_b32 vcc_lo, exec_lo, s4
	s_mov_b32 s4, -1
	s_wait_alu 0xfffe
	s_cbranch_vccnz .LBB126_3
; %bb.5:                                ;   in Loop: Header=BB126_4 Depth=1
	s_and_not1_b32 vcc_lo, exec_lo, s61
	s_wait_alu 0xfffe
	s_cbranch_vccnz .LBB126_2
; %bb.6:                                ;   in Loop: Header=BB126_4 Depth=1
	v_mad_co_u64_u32 v[18:19], null, s18, s34, v[16:17]
	s_load_b32 s63, s[44:45], 0x4
	s_mul_u64 s[4:5], s[30:31], s[34:35]
	v_mov_b32_e32 v22, v71
	s_mul_u64 s[6:7], s[22:23], s[34:35]
	s_wait_alu 0xfffe
	s_lshl_b64 s[4:5], s[4:5], 4
	s_add_nc_u64 s[54:55], s[24:25], s[6:7]
	v_mov_b32_e32 v2, v19
	s_wait_alu 0xfffe
	s_add_nc_u64 s[52:53], s[40:41], s[4:5]
	s_add_nc_u64 s[56:57], s[16:17], s[6:7]
	s_mov_b32 s65, s33
	v_mad_co_u64_u32 v[2:3], null, s19, s34, v[2:3]
	s_delay_alu instid0(VALU_DEP_1)
	v_dual_mov_b32 v20, v72 :: v_dual_mov_b32 v19, v2
	s_wait_kmcnt 0x0
	s_lshl_b32 s64, s63, 5
	s_branch .LBB126_8
.LBB126_7:                              ;   in Loop: Header=BB126_8 Depth=2
	s_wait_alu 0xfffe
	s_or_b32 exec_lo, exec_lo, s4
	v_add_nc_u32_e32 v22, s64, v22
	v_add_nc_u32_e32 v20, s64, v20
	s_add_co_i32 s65, s63, s65
	s_wait_alu 0xfffe
	s_cmp_gt_i32 s65, s60
	s_cbranch_scc1 .LBB126_2
.LBB126_8:                              ;   Parent Loop BB126_4 Depth=1
                                        ; =>  This Loop Header: Depth=2
                                        ;       Child Loop BB126_11 Depth 3
	s_wait_alu 0xfffe
	s_lshl_b32 s4, s65, 5
	v_ashrrev_i32_e32 v23, 31, v22
	s_wait_alu 0xfffe
	v_add_nc_u32_e32 v24, s4, v62
	v_ashrrev_i32_e32 v21, 31, v20
	s_sub_co_i32 s66, s10, s4
	s_delay_alu instid0(SALU_CYCLE_1) | instskip(NEXT) | instid1(VALU_DEP_2)
	s_cmp_lt_i32 s66, 1
	v_ashrrev_i32_e32 v25, 31, v24
	s_cbranch_scc1 .LBB126_59
; %bb.9:                                ;   in Loop: Header=BB126_8 Depth=2
	v_lshlrev_b64_e32 v[26:27], 4, v[20:21]
	v_lshlrev_b64_e32 v[2:3], 4, v[22:23]
	v_sub_co_u32 v28, vcc_lo, v20, v22
	s_wait_alu 0xfffd
	v_sub_co_ci_u32_e64 v29, null, v21, v23, vcc_lo
	s_delay_alu instid0(VALU_DEP_4)
	v_add_co_u32 v8, vcc_lo, 0x100, v26
	s_wait_alu 0xfffd
	v_add_co_ci_u32_e64 v9, null, 0, v27, vcc_lo
	v_add_co_u32 v2, vcc_lo, 0x100, v2
	s_wait_alu 0xfffd
	v_add_co_ci_u32_e64 v3, null, 0, v3, vcc_lo
	s_delay_alu instid0(VALU_DEP_3)
	v_mul_lo_u32 v9, s36, v9
	v_mul_lo_u32 v40, s37, v8
	v_mad_co_u64_u32 v[32:33], null, s36, v8, 0x100
	v_mad_co_u64_u32 v[34:35], null, s38, v22, s[54:55]
	v_mul_lo_u32 v8, s38, v23
	v_mul_lo_u32 v41, s39, v22
	;; [unrolled: 1-line block ×4, first 2 shown]
	v_mad_co_u64_u32 v[36:37], null, s20, v2, s[56:57]
	v_mad_co_u64_u32 v[30:31], null, s26, v20, 0x100
	v_mul_lo_u32 v10, s26, v21
	v_mul_lo_u32 v11, s27, v20
	v_add_co_u32 v38, vcc_lo, v24, 16
	s_wait_alu 0xfffd
	v_add_co_ci_u32_e64 v39, null, 0, v25, vcc_lo
	v_add3_u32 v33, v40, v33, v9
	v_add_co_u32 v40, s5, v28, 16
	v_add3_u32 v35, v41, v35, v8
	v_add3_u32 v37, v42, v37, v3
	s_wait_alu 0xf1ff
	v_add_co_ci_u32_e64 v41, null, 0, v29, s5
	v_add_co_u32 v42, s5, v28, -16
	v_mov_b32_e32 v58, 0
	v_mov_b32_e32 v56, 0
	;; [unrolled: 1-line block ×4, first 2 shown]
	v_cmp_le_i64_e64 s4, s[42:43], v[38:39]
	v_dual_mov_b32 v59, 0 :: v_dual_mov_b32 v60, 0
	v_dual_mov_b32 v57, 0 :: v_dual_mov_b32 v54, 0
	;; [unrolled: 1-line block ×4, first 2 shown]
	v_add3_u32 v31, v11, v31, v10
	s_wait_alu 0xf1ff
	v_add_co_ci_u32_e64 v43, null, -1, v29, s5
	v_mov_b32_e32 v61, 0
	v_mov_b32_e32 v55, 0
	;; [unrolled: 1-line block ×4, first 2 shown]
	v_dual_mov_b32 v45, v19 :: v_dual_mov_b32 v44, v18
	s_mov_b64 s[58:59], 0
	v_cmp_le_i32_e32 vcc_lo, s10, v24
	s_branch .LBB126_11
.LBB126_10:                             ;   in Loop: Header=BB126_11 Depth=3
	s_wait_alu 0xfffe
	s_or_b32 exec_lo, exec_lo, s5
	s_wait_dscnt 0x0
	s_barrier_signal -1
	s_barrier_wait -1
	global_inv scope:SCOPE_SE
	ds_load_b128 v[73:76], v63
	ds_load_b128 v[77:80], v63 offset:16
	ds_load_b128 v[81:84], v63 offset:32
	;; [unrolled: 1-line block ×3, first 2 shown]
	ds_load_b128 v[85:88], v64
	v_add_co_u32 v44, s5, v44, s48
	s_wait_alu 0xf1ff
	v_add_co_ci_u32_e64 v45, null, s49, v45, s5
	v_add_co_u32 v34, s5, v34, s46
	s_wait_alu 0xf1ff
	v_add_co_ci_u32_e64 v35, null, s47, v35, s5
	v_add_co_u32 v36, s5, v36, s46
	s_wait_alu 0xf1ff
	v_add_co_ci_u32_e64 v37, null, s47, v37, s5
	s_add_nc_u64 s[58:59], s[58:59], 32
	s_wait_alu 0xfffe
	s_cmp_ge_i32 s58, s66
	s_wait_dscnt 0x0
	v_mul_f64_e32 v[2:3], v[75:76], v[87:88]
	v_mul_f64_e32 v[89:90], v[73:74], v[87:88]
	s_delay_alu instid0(VALU_DEP_2) | instskip(NEXT) | instid1(VALU_DEP_2)
	v_fma_f64 v[2:3], v[73:74], v[85:86], -v[2:3]
	v_fma_f64 v[89:90], v[75:76], v[85:86], v[89:90]
	s_delay_alu instid0(VALU_DEP_2) | instskip(NEXT) | instid1(VALU_DEP_2)
	v_add_f64_e32 v[2:3], v[50:51], v[2:3]
	v_add_f64_e32 v[89:90], v[89:90], v[52:53]
	ds_load_b128 v[50:53], v64 offset:256
	s_wait_dscnt 0x0
	v_mul_f64_e32 v[91:92], v[75:76], v[52:53]
	s_delay_alu instid0(VALU_DEP_1) | instskip(SKIP_1) | instid1(VALU_DEP_1)
	v_fma_f64 v[91:92], v[73:74], v[50:51], -v[91:92]
	v_mul_f64_e32 v[73:74], v[73:74], v[52:53]
	v_fma_f64 v[73:74], v[75:76], v[50:51], v[73:74]
	s_delay_alu instid0(VALU_DEP_3) | instskip(NEXT) | instid1(VALU_DEP_2)
	v_add_f64_e32 v[75:76], v[46:47], v[91:92]
	v_add_f64_e32 v[73:74], v[73:74], v[48:49]
	ds_load_b128 v[46:49], v63 offset:8192
	s_wait_dscnt 0x0
	v_mul_f64_e32 v[91:92], v[48:49], v[87:88]
	v_mul_f64_e32 v[87:88], v[46:47], v[87:88]
	s_delay_alu instid0(VALU_DEP_2) | instskip(NEXT) | instid1(VALU_DEP_2)
	v_fma_f64 v[91:92], v[46:47], v[85:86], -v[91:92]
	v_fma_f64 v[85:86], v[48:49], v[85:86], v[87:88]
	s_delay_alu instid0(VALU_DEP_2) | instskip(SKIP_1) | instid1(VALU_DEP_3)
	v_add_f64_e32 v[87:88], v[54:55], v[91:92]
	v_mul_f64_e32 v[54:55], v[48:49], v[52:53]
	v_add_f64_e32 v[85:86], v[85:86], v[56:57]
	s_delay_alu instid0(VALU_DEP_2) | instskip(SKIP_1) | instid1(VALU_DEP_2)
	v_fma_f64 v[54:55], v[46:47], v[50:51], -v[54:55]
	v_mul_f64_e32 v[46:47], v[46:47], v[52:53]
	v_add_f64_e32 v[60:61], v[60:61], v[54:55]
	s_delay_alu instid0(VALU_DEP_2) | instskip(NEXT) | instid1(VALU_DEP_1)
	v_fma_f64 v[46:47], v[48:49], v[50:51], v[46:47]
	v_add_f64_e32 v[58:59], v[46:47], v[58:59]
	ds_load_b128 v[46:49], v64 offset:512
	s_wait_dscnt 0x0
	v_mul_f64_e32 v[50:51], v[79:80], v[48:49]
	v_mul_f64_e32 v[52:53], v[77:78], v[48:49]
	s_delay_alu instid0(VALU_DEP_2) | instskip(NEXT) | instid1(VALU_DEP_2)
	v_fma_f64 v[50:51], v[77:78], v[46:47], -v[50:51]
	v_fma_f64 v[52:53], v[79:80], v[46:47], v[52:53]
	s_delay_alu instid0(VALU_DEP_2) | instskip(NEXT) | instid1(VALU_DEP_2)
	v_add_f64_e32 v[2:3], v[2:3], v[50:51]
	v_add_f64_e32 v[89:90], v[52:53], v[89:90]
	ds_load_b128 v[50:53], v64 offset:768
	s_wait_dscnt 0x0
	v_mul_f64_e32 v[54:55], v[79:80], v[52:53]
	v_mul_f64_e32 v[56:57], v[77:78], v[52:53]
	s_delay_alu instid0(VALU_DEP_2) | instskip(NEXT) | instid1(VALU_DEP_2)
	v_fma_f64 v[54:55], v[77:78], v[50:51], -v[54:55]
	v_fma_f64 v[56:57], v[79:80], v[50:51], v[56:57]
	s_delay_alu instid0(VALU_DEP_2) | instskip(NEXT) | instid1(VALU_DEP_2)
	v_add_f64_e32 v[75:76], v[75:76], v[54:55]
	v_add_f64_e32 v[73:74], v[56:57], v[73:74]
	ds_load_b128 v[54:57], v63 offset:8208
	s_wait_dscnt 0x0
	v_mul_f64_e32 v[77:78], v[56:57], v[48:49]
	v_mul_f64_e32 v[48:49], v[54:55], v[48:49]
	s_delay_alu instid0(VALU_DEP_2) | instskip(NEXT) | instid1(VALU_DEP_2)
	v_fma_f64 v[77:78], v[54:55], v[46:47], -v[77:78]
	v_fma_f64 v[46:47], v[56:57], v[46:47], v[48:49]
	v_mul_f64_e32 v[48:49], v[54:55], v[52:53]
	s_delay_alu instid0(VALU_DEP_3) | instskip(NEXT) | instid1(VALU_DEP_3)
	v_add_f64_e32 v[77:78], v[87:88], v[77:78]
	v_add_f64_e32 v[79:80], v[46:47], v[85:86]
	v_mul_f64_e32 v[46:47], v[56:57], v[52:53]
	s_delay_alu instid0(VALU_DEP_4) | instskip(NEXT) | instid1(VALU_DEP_2)
	v_fma_f64 v[48:49], v[56:57], v[50:51], v[48:49]
	v_fma_f64 v[46:47], v[54:55], v[50:51], -v[46:47]
	s_delay_alu instid0(VALU_DEP_2) | instskip(NEXT) | instid1(VALU_DEP_2)
	v_add_f64_e32 v[58:59], v[48:49], v[58:59]
	v_add_f64_e32 v[60:61], v[60:61], v[46:47]
	ds_load_b128 v[46:49], v64 offset:1024
	s_wait_dscnt 0x0
	v_mul_f64_e32 v[50:51], v[83:84], v[48:49]
	v_mul_f64_e32 v[52:53], v[81:82], v[48:49]
	s_delay_alu instid0(VALU_DEP_2) | instskip(NEXT) | instid1(VALU_DEP_2)
	v_fma_f64 v[50:51], v[81:82], v[46:47], -v[50:51]
	v_fma_f64 v[52:53], v[83:84], v[46:47], v[52:53]
	s_delay_alu instid0(VALU_DEP_2) | instskip(NEXT) | instid1(VALU_DEP_2)
	v_add_f64_e32 v[2:3], v[2:3], v[50:51]
	v_add_f64_e32 v[85:86], v[52:53], v[89:90]
	ds_load_b128 v[50:53], v64 offset:1280
	s_wait_dscnt 0x0
	v_mul_f64_e32 v[54:55], v[83:84], v[52:53]
	v_mul_f64_e32 v[56:57], v[81:82], v[52:53]
	s_delay_alu instid0(VALU_DEP_2) | instskip(NEXT) | instid1(VALU_DEP_2)
	v_fma_f64 v[54:55], v[81:82], v[50:51], -v[54:55]
	v_fma_f64 v[56:57], v[83:84], v[50:51], v[56:57]
	;; [unrolled: 10-line block ×3, first 2 shown]
	v_mul_f64_e32 v[48:49], v[54:55], v[52:53]
	s_delay_alu instid0(VALU_DEP_3) | instskip(NEXT) | instid1(VALU_DEP_3)
	v_add_f64_e32 v[77:78], v[77:78], v[81:82]
	v_add_f64_e32 v[79:80], v[46:47], v[79:80]
	v_mul_f64_e32 v[46:47], v[56:57], v[52:53]
	s_delay_alu instid0(VALU_DEP_4) | instskip(NEXT) | instid1(VALU_DEP_2)
	v_fma_f64 v[48:49], v[56:57], v[50:51], v[48:49]
	v_fma_f64 v[46:47], v[54:55], v[50:51], -v[46:47]
	s_delay_alu instid0(VALU_DEP_2) | instskip(NEXT) | instid1(VALU_DEP_2)
	v_add_f64_e32 v[56:57], v[48:49], v[58:59]
	v_add_f64_e32 v[54:55], v[60:61], v[46:47]
	ds_load_b128 v[46:49], v64 offset:1536
	s_wait_dscnt 0x0
	v_mul_f64_e32 v[50:51], v[10:11], v[48:49]
	v_mul_f64_e32 v[52:53], v[8:9], v[48:49]
	s_delay_alu instid0(VALU_DEP_2) | instskip(NEXT) | instid1(VALU_DEP_2)
	v_fma_f64 v[50:51], v[8:9], v[46:47], -v[50:51]
	v_fma_f64 v[52:53], v[10:11], v[46:47], v[52:53]
	s_delay_alu instid0(VALU_DEP_2) | instskip(NEXT) | instid1(VALU_DEP_2)
	v_add_f64_e32 v[2:3], v[2:3], v[50:51]
	v_add_f64_e32 v[58:59], v[52:53], v[85:86]
	ds_load_b128 v[50:53], v64 offset:1792
	s_wait_dscnt 0x0
	v_mul_f64_e32 v[60:61], v[10:11], v[52:53]
	s_delay_alu instid0(VALU_DEP_1) | instskip(SKIP_1) | instid1(VALU_DEP_2)
	v_fma_f64 v[60:61], v[8:9], v[50:51], -v[60:61]
	v_mul_f64_e32 v[8:9], v[8:9], v[52:53]
	v_add_f64_e32 v[60:61], v[75:76], v[60:61]
	s_delay_alu instid0(VALU_DEP_2) | instskip(NEXT) | instid1(VALU_DEP_1)
	v_fma_f64 v[8:9], v[10:11], v[50:51], v[8:9]
	v_add_f64_e32 v[73:74], v[8:9], v[73:74]
	ds_load_b128 v[8:11], v63 offset:8240
	s_wait_dscnt 0x0
	v_mul_f64_e32 v[75:76], v[10:11], v[48:49]
	v_mul_f64_e32 v[48:49], v[8:9], v[48:49]
	s_delay_alu instid0(VALU_DEP_2) | instskip(NEXT) | instid1(VALU_DEP_2)
	v_fma_f64 v[75:76], v[8:9], v[46:47], -v[75:76]
	v_fma_f64 v[46:47], v[10:11], v[46:47], v[48:49]
	s_delay_alu instid0(VALU_DEP_2) | instskip(NEXT) | instid1(VALU_DEP_2)
	v_add_f64_e32 v[75:76], v[77:78], v[75:76]
	v_add_f64_e32 v[77:78], v[46:47], v[79:80]
	v_mul_f64_e32 v[46:47], v[10:11], v[52:53]
	s_delay_alu instid0(VALU_DEP_1) | instskip(SKIP_1) | instid1(VALU_DEP_2)
	v_fma_f64 v[46:47], v[8:9], v[50:51], -v[46:47]
	v_mul_f64_e32 v[8:9], v[8:9], v[52:53]
	v_add_f64_e32 v[54:55], v[54:55], v[46:47]
	s_delay_alu instid0(VALU_DEP_2) | instskip(NEXT) | instid1(VALU_DEP_1)
	v_fma_f64 v[8:9], v[10:11], v[50:51], v[8:9]
	v_add_f64_e32 v[56:57], v[8:9], v[56:57]
	ds_load_b128 v[8:11], v63 offset:64
	ds_load_b128 v[46:49], v64 offset:2048
	s_wait_dscnt 0x0
	v_mul_f64_e32 v[50:51], v[10:11], v[48:49]
	v_mul_f64_e32 v[52:53], v[8:9], v[48:49]
	s_delay_alu instid0(VALU_DEP_2) | instskip(NEXT) | instid1(VALU_DEP_2)
	v_fma_f64 v[50:51], v[8:9], v[46:47], -v[50:51]
	v_fma_f64 v[52:53], v[10:11], v[46:47], v[52:53]
	s_delay_alu instid0(VALU_DEP_2) | instskip(NEXT) | instid1(VALU_DEP_2)
	v_add_f64_e32 v[2:3], v[2:3], v[50:51]
	v_add_f64_e32 v[58:59], v[52:53], v[58:59]
	ds_load_b128 v[50:53], v64 offset:2304
	s_wait_dscnt 0x0
	v_mul_f64_e32 v[79:80], v[10:11], v[52:53]
	s_delay_alu instid0(VALU_DEP_1) | instskip(SKIP_1) | instid1(VALU_DEP_2)
	v_fma_f64 v[79:80], v[8:9], v[50:51], -v[79:80]
	v_mul_f64_e32 v[8:9], v[8:9], v[52:53]
	v_add_f64_e32 v[60:61], v[60:61], v[79:80]
	s_delay_alu instid0(VALU_DEP_2) | instskip(NEXT) | instid1(VALU_DEP_1)
	v_fma_f64 v[8:9], v[10:11], v[50:51], v[8:9]
	v_add_f64_e32 v[73:74], v[8:9], v[73:74]
	ds_load_b128 v[8:11], v63 offset:8256
	s_wait_dscnt 0x0
	v_mul_f64_e32 v[79:80], v[10:11], v[48:49]
	v_mul_f64_e32 v[48:49], v[8:9], v[48:49]
	s_delay_alu instid0(VALU_DEP_2) | instskip(NEXT) | instid1(VALU_DEP_2)
	v_fma_f64 v[79:80], v[8:9], v[46:47], -v[79:80]
	v_fma_f64 v[46:47], v[10:11], v[46:47], v[48:49]
	s_delay_alu instid0(VALU_DEP_2) | instskip(NEXT) | instid1(VALU_DEP_2)
	v_add_f64_e32 v[75:76], v[75:76], v[79:80]
	v_add_f64_e32 v[77:78], v[46:47], v[77:78]
	v_mul_f64_e32 v[46:47], v[10:11], v[52:53]
	s_delay_alu instid0(VALU_DEP_1) | instskip(SKIP_1) | instid1(VALU_DEP_2)
	v_fma_f64 v[46:47], v[8:9], v[50:51], -v[46:47]
	v_mul_f64_e32 v[8:9], v[8:9], v[52:53]
	v_add_f64_e32 v[54:55], v[54:55], v[46:47]
	s_delay_alu instid0(VALU_DEP_2) | instskip(NEXT) | instid1(VALU_DEP_1)
	v_fma_f64 v[8:9], v[10:11], v[50:51], v[8:9]
	v_add_f64_e32 v[56:57], v[8:9], v[56:57]
	ds_load_b128 v[8:11], v63 offset:80
	;; [unrolled: 39-line block ×27, first 2 shown]
	ds_load_b128 v[46:49], v64 offset:15360
	s_wait_dscnt 0x0
	v_mul_f64_e32 v[50:51], v[10:11], v[48:49]
	v_mul_f64_e32 v[52:53], v[8:9], v[48:49]
	s_delay_alu instid0(VALU_DEP_2) | instskip(NEXT) | instid1(VALU_DEP_2)
	v_fma_f64 v[50:51], v[8:9], v[46:47], -v[50:51]
	v_fma_f64 v[52:53], v[10:11], v[46:47], v[52:53]
	s_delay_alu instid0(VALU_DEP_2) | instskip(NEXT) | instid1(VALU_DEP_2)
	v_add_f64_e32 v[79:80], v[2:3], v[50:51]
	v_add_f64_e32 v[58:59], v[52:53], v[58:59]
	ds_load_b128 v[50:53], v64 offset:15616
	s_wait_dscnt 0x0
	v_mul_f64_e32 v[2:3], v[10:11], v[52:53]
	s_delay_alu instid0(VALU_DEP_1) | instskip(SKIP_1) | instid1(VALU_DEP_2)
	v_fma_f64 v[2:3], v[8:9], v[50:51], -v[2:3]
	v_mul_f64_e32 v[8:9], v[8:9], v[52:53]
	v_add_f64_e32 v[81:82], v[60:61], v[2:3]
	s_delay_alu instid0(VALU_DEP_2) | instskip(NEXT) | instid1(VALU_DEP_1)
	v_fma_f64 v[8:9], v[10:11], v[50:51], v[8:9]
	v_add_f64_e32 v[73:74], v[8:9], v[73:74]
	ds_load_b128 v[8:11], v63 offset:8672
	s_wait_dscnt 0x0
	v_mul_f64_e32 v[2:3], v[10:11], v[48:49]
	v_mul_f64_e32 v[48:49], v[8:9], v[48:49]
	s_delay_alu instid0(VALU_DEP_2) | instskip(NEXT) | instid1(VALU_DEP_2)
	v_fma_f64 v[2:3], v[8:9], v[46:47], -v[2:3]
	v_fma_f64 v[46:47], v[10:11], v[46:47], v[48:49]
	s_delay_alu instid0(VALU_DEP_2) | instskip(SKIP_1) | instid1(VALU_DEP_3)
	v_add_f64_e32 v[83:84], v[75:76], v[2:3]
	v_mul_f64_e32 v[2:3], v[10:11], v[52:53]
	v_add_f64_e32 v[77:78], v[46:47], v[77:78]
	s_delay_alu instid0(VALU_DEP_2) | instskip(SKIP_1) | instid1(VALU_DEP_2)
	v_fma_f64 v[2:3], v[8:9], v[50:51], -v[2:3]
	v_mul_f64_e32 v[8:9], v[8:9], v[52:53]
	v_add_f64_e32 v[2:3], v[54:55], v[2:3]
	s_delay_alu instid0(VALU_DEP_2) | instskip(NEXT) | instid1(VALU_DEP_1)
	v_fma_f64 v[8:9], v[10:11], v[50:51], v[8:9]
	v_add_f64_e32 v[8:9], v[8:9], v[56:57]
	ds_load_b128 v[46:49], v63 offset:496
	ds_load_b128 v[54:57], v64 offset:15872
	s_wait_dscnt 0x0
	v_mul_f64_e32 v[50:51], v[46:47], v[56:57]
	v_mul_f64_e32 v[10:11], v[48:49], v[56:57]
	s_delay_alu instid0(VALU_DEP_2) | instskip(NEXT) | instid1(VALU_DEP_2)
	v_fma_f64 v[52:53], v[48:49], v[54:55], v[50:51]
	v_fma_f64 v[10:11], v[46:47], v[54:55], -v[10:11]
	s_delay_alu instid0(VALU_DEP_2) | instskip(SKIP_4) | instid1(VALU_DEP_1)
	v_add_f64_e32 v[52:53], v[52:53], v[58:59]
	ds_load_b128 v[58:61], v64 offset:16128
	v_add_f64_e32 v[50:51], v[79:80], v[10:11]
	s_wait_dscnt 0x0
	v_mul_f64_e32 v[10:11], v[48:49], v[60:61]
	v_fma_f64 v[10:11], v[46:47], v[58:59], -v[10:11]
	v_mul_f64_e32 v[46:47], v[46:47], v[60:61]
	s_delay_alu instid0(VALU_DEP_1) | instskip(NEXT) | instid1(VALU_DEP_3)
	v_fma_f64 v[48:49], v[48:49], v[58:59], v[46:47]
	v_add_f64_e32 v[46:47], v[81:82], v[10:11]
	s_delay_alu instid0(VALU_DEP_2)
	v_add_f64_e32 v[48:49], v[48:49], v[73:74]
	ds_load_b128 v[73:76], v63 offset:8688
	s_wait_loadcnt_dscnt 0x0
	s_barrier_signal -1
	s_barrier_wait -1
	global_inv scope:SCOPE_SE
	v_mul_f64_e32 v[10:11], v[75:76], v[56:57]
	v_mul_f64_e32 v[56:57], v[73:74], v[56:57]
	s_delay_alu instid0(VALU_DEP_2) | instskip(NEXT) | instid1(VALU_DEP_2)
	v_fma_f64 v[10:11], v[73:74], v[54:55], -v[10:11]
	v_fma_f64 v[56:57], v[75:76], v[54:55], v[56:57]
	s_delay_alu instid0(VALU_DEP_2) | instskip(SKIP_2) | instid1(VALU_DEP_4)
	v_add_f64_e32 v[54:55], v[83:84], v[10:11]
	v_mul_f64_e32 v[10:11], v[75:76], v[60:61]
	v_mul_f64_e32 v[60:61], v[73:74], v[60:61]
	v_add_f64_e32 v[56:57], v[56:57], v[77:78]
	s_delay_alu instid0(VALU_DEP_3) | instskip(NEXT) | instid1(VALU_DEP_3)
	v_fma_f64 v[10:11], v[73:74], v[58:59], -v[10:11]
	v_fma_f64 v[58:59], v[75:76], v[58:59], v[60:61]
	s_delay_alu instid0(VALU_DEP_2) | instskip(NEXT) | instid1(VALU_DEP_2)
	v_add_f64_e32 v[60:61], v[2:3], v[10:11]
	v_add_f64_e32 v[58:59], v[58:59], v[8:9]
	s_cbranch_scc1 .LBB126_60
.LBB126_11:                             ;   Parent Loop BB126_4 Depth=1
                                        ;     Parent Loop BB126_8 Depth=2
                                        ; =>    This Inner Loop Header: Depth=3
	s_wait_alu 0xfffe
	v_add_co_u32 v8, s5, v22, s58
	s_wait_alu 0xf1ff
	v_add_co_ci_u32_e64 v9, null, s59, v23, s5
	v_cmp_eq_u64_e64 s7, s[58:59], v[28:29]
	v_add_co_u32 v10, s8, v34, v26
	s_delay_alu instid0(VALU_DEP_3)
	v_cmp_lt_i64_e64 s5, v[8:9], v[24:25]
	v_cmp_le_i64_e64 s6, s[42:43], v[8:9]
	s_wait_alu 0xf1ff
	v_add_co_ci_u32_e64 v11, null, v35, v27, s8
	s_and_b32 s68, s62, s7
	s_or_b32 s8, vcc_lo, s5
	s_wait_alu 0xfffe
	s_or_b32 s7, s6, s8
	s_wait_alu 0xfffe
	s_nor_b32 s7, s7, s68
	s_wait_alu 0xfffe
	s_and_saveexec_b32 s8, s7
	s_wait_alu 0xfffe
	s_xor_b32 s7, exec_lo, s8
	s_cbranch_execz .LBB126_13
; %bb.12:                               ;   in Loop: Header=BB126_11 Depth=3
	global_load_b128 v[73:76], v[10:11], off offset:-256
	s_wait_loadcnt 0x0
	ds_store_2addr_b64 v65, v[73:74], v[75:76] offset1:1
.LBB126_13:                             ;   in Loop: Header=BB126_11 Depth=3
	s_wait_alu 0xfffe
	s_or_saveexec_b32 s7, s7
	s_xor_b32 s67, s68, -1
	s_wait_alu 0xfffe
	s_xor_b32 exec_lo, exec_lo, s7
	s_cbranch_execz .LBB126_19
; %bb.14:                               ;   in Loop: Header=BB126_11 Depth=3
	s_and_saveexec_b32 s8, s67
	s_wait_alu 0xfffe
	s_xor_b32 s8, exec_lo, s8
; %bb.15:                               ;   in Loop: Header=BB126_11 Depth=3
	v_dual_mov_b32 v73, v0 :: v_dual_mov_b32 v74, v0
	v_dual_mov_b32 v75, v0 :: v_dual_mov_b32 v76, v0
	ds_store_b128 v65, v[73:76]
; %bb.16:                               ;   in Loop: Header=BB126_11 Depth=3
	s_wait_alu 0xfffe
	s_and_not1_saveexec_b32 s8, s8
; %bb.17:                               ;   in Loop: Header=BB126_11 Depth=3
	v_dual_mov_b32 v2, v0 :: v_dual_mov_b32 v3, v0
	ds_store_b128 v65, v[0:3]
; %bb.18:                               ;   in Loop: Header=BB126_11 Depth=3
	s_wait_alu 0xfffe
	s_or_b32 exec_lo, exec_lo, s8
.LBB126_19:                             ;   in Loop: Header=BB126_11 Depth=3
	s_delay_alu instid0(SALU_CYCLE_1) | instskip(SKIP_4) | instid1(VALU_DEP_2)
	s_or_b32 exec_lo, exec_lo, s7
	v_add_co_u32 v2, s7, v8, 16
	s_wait_alu 0xf1ff
	v_add_co_ci_u32_e64 v3, null, 0, v9, s7
	v_cmp_eq_u64_e64 s9, s[58:59], v[42:43]
	v_cmp_lt_i64_e64 s8, v[2:3], v[24:25]
	v_cmp_le_i64_e64 s7, s[42:43], v[2:3]
	s_and_b32 s9, s62, s9
	s_or_b32 s8, vcc_lo, s8
	s_wait_alu 0xfffe
	s_or_b32 s8, s7, s8
	s_wait_alu 0xfffe
	s_nor_b32 s8, s8, s9
	s_wait_alu 0xfffe
	s_and_saveexec_b32 s69, s8
	s_delay_alu instid0(SALU_CYCLE_1)
	s_xor_b32 s69, exec_lo, s69
	s_cbranch_execz .LBB126_21
; %bb.20:                               ;   in Loop: Header=BB126_11 Depth=3
	v_add_co_u32 v2, s8, v36, v26
	s_wait_alu 0xf1ff
	v_add_co_ci_u32_e64 v3, null, v37, v27, s8
	global_load_b128 v[73:76], v[2:3], off
	v_add_nc_u32_e32 v2, 0x100, v65
	s_wait_loadcnt 0x0
	ds_store_2addr_b64 v2, v[73:74], v[75:76] offset1:1
.LBB126_21:                             ;   in Loop: Header=BB126_11 Depth=3
	s_and_not1_saveexec_b32 s8, s69
	s_cbranch_execz .LBB126_27
; %bb.22:                               ;   in Loop: Header=BB126_11 Depth=3
	s_xor_b32 s9, s9, -1
	s_wait_alu 0xfffe
	s_and_saveexec_b32 s69, s9
	s_delay_alu instid0(SALU_CYCLE_1)
	s_xor_b32 s9, exec_lo, s69
; %bb.23:                               ;   in Loop: Header=BB126_11 Depth=3
	v_dual_mov_b32 v73, v0 :: v_dual_mov_b32 v74, v0
	v_dual_mov_b32 v75, v0 :: v_dual_mov_b32 v76, v0
	ds_store_b128 v65, v[73:76] offset:256
; %bb.24:                               ;   in Loop: Header=BB126_11 Depth=3
	s_wait_alu 0xfffe
	s_and_not1_saveexec_b32 s9, s9
; %bb.25:                               ;   in Loop: Header=BB126_11 Depth=3
	v_dual_mov_b32 v2, v0 :: v_dual_mov_b32 v3, v0
	ds_store_b128 v65, v[0:3] offset:256
; %bb.26:                               ;   in Loop: Header=BB126_11 Depth=3
	s_wait_alu 0xfffe
	s_or_b32 exec_lo, exec_lo, s9
.LBB126_27:                             ;   in Loop: Header=BB126_11 Depth=3
	s_wait_alu 0xfffe
	s_or_b32 exec_lo, exec_lo, s8
	v_cmp_eq_u64_e64 s8, s[58:59], v[40:41]
	v_cmp_lt_i64_e64 s9, v[8:9], v[38:39]
	s_and_b32 s8, s62, s8
	s_or_b32 s9, s4, s9
	s_wait_alu 0xfffe
	s_or_b32 s9, s9, s8
	s_wait_alu 0xfffe
	s_nor_b32 s6, s6, s9
	s_wait_alu 0xfffe
	s_and_saveexec_b32 s9, s6
	s_wait_alu 0xfffe
	s_xor_b32 s6, exec_lo, s9
	s_cbranch_execz .LBB126_29
; %bb.28:                               ;   in Loop: Header=BB126_11 Depth=3
	global_load_b128 v[8:11], v[10:11], off
	v_add_nc_u32_e32 v2, 0x2000, v65
	s_wait_loadcnt 0x0
	ds_store_2addr_b64 v2, v[8:9], v[10:11] offset1:1
.LBB126_29:                             ;   in Loop: Header=BB126_11 Depth=3
	s_wait_alu 0xfffe
	s_and_not1_saveexec_b32 s6, s6
	s_cbranch_execz .LBB126_35
; %bb.30:                               ;   in Loop: Header=BB126_11 Depth=3
	s_xor_b32 s8, s8, -1
	s_wait_alu 0xfffe
	s_and_saveexec_b32 s9, s8
	s_wait_alu 0xfffe
	s_xor_b32 s8, exec_lo, s9
; %bb.31:                               ;   in Loop: Header=BB126_11 Depth=3
	v_dual_mov_b32 v8, v0 :: v_dual_mov_b32 v9, v0
	v_dual_mov_b32 v10, v0 :: v_dual_mov_b32 v11, v0
	ds_store_b128 v65, v[8:11] offset:8192
; %bb.32:                               ;   in Loop: Header=BB126_11 Depth=3
	s_wait_alu 0xfffe
	s_and_not1_saveexec_b32 s8, s8
; %bb.33:                               ;   in Loop: Header=BB126_11 Depth=3
	v_dual_mov_b32 v2, v0 :: v_dual_mov_b32 v3, v0
	ds_store_b128 v65, v[0:3] offset:8192
; %bb.34:                               ;   in Loop: Header=BB126_11 Depth=3
	s_wait_alu 0xfffe
	s_or_b32 exec_lo, exec_lo, s8
.LBB126_35:                             ;   in Loop: Header=BB126_11 Depth=3
	s_wait_alu 0xfffe
	s_or_b32 exec_lo, exec_lo, s6
	s_or_b32 s5, s4, s5
	s_wait_alu 0xfffe
	s_or_b32 s5, s7, s5
	s_wait_alu 0xfffe
	s_nor_b32 s5, s5, s68
	s_wait_alu 0xfffe
	s_and_saveexec_b32 s6, s5
	s_wait_alu 0xfffe
	s_xor_b32 s6, exec_lo, s6
	s_cbranch_execz .LBB126_37
; %bb.36:                               ;   in Loop: Header=BB126_11 Depth=3
	v_add_co_u32 v2, s5, v36, v26
	s_wait_alu 0xf1ff
	v_add_co_ci_u32_e64 v3, null, v37, v27, s5
	global_load_b128 v[8:11], v[2:3], off offset:256
	s_wait_loadcnt 0x0
	ds_store_2addr_b64 v67, v[8:9], v[10:11] offset1:1
.LBB126_37:                             ;   in Loop: Header=BB126_11 Depth=3
	s_wait_alu 0xfffe
	s_and_not1_saveexec_b32 s5, s6
	s_cbranch_execz .LBB126_43
; %bb.38:                               ;   in Loop: Header=BB126_11 Depth=3
	s_and_saveexec_b32 s6, s67
	s_wait_alu 0xfffe
	s_xor_b32 s6, exec_lo, s6
; %bb.39:                               ;   in Loop: Header=BB126_11 Depth=3
	v_dual_mov_b32 v8, v0 :: v_dual_mov_b32 v9, v0
	v_dual_mov_b32 v10, v0 :: v_dual_mov_b32 v11, v0
	ds_store_b128 v65, v[8:11] offset:8448
; %bb.40:                               ;   in Loop: Header=BB126_11 Depth=3
	s_wait_alu 0xfffe
	s_and_not1_saveexec_b32 s6, s6
; %bb.41:                               ;   in Loop: Header=BB126_11 Depth=3
	v_dual_mov_b32 v2, v0 :: v_dual_mov_b32 v3, v0
	ds_store_b128 v65, v[0:3] offset:8448
; %bb.42:                               ;   in Loop: Header=BB126_11 Depth=3
	s_wait_alu 0xfffe
	s_or_b32 exec_lo, exec_lo, s6
.LBB126_43:                             ;   in Loop: Header=BB126_11 Depth=3
	s_wait_alu 0xfffe
	s_or_b32 exec_lo, exec_lo, s5
	v_add_co_u32 v2, s5, v20, s58
	s_wait_alu 0xf1ff
	v_add_co_ci_u32_e64 v3, null, s59, v21, s5
	v_add_co_u32 v8, s6, v44, v30
	s_wait_alu 0xf1ff
	v_add_co_ci_u32_e64 v9, null, v45, v31, s6
	s_delay_alu instid0(VALU_DEP_3)
	v_cmp_le_i64_e64 s5, s[42:43], v[2:3]
	s_nor_b32 s6, s5, s0
	s_wait_alu 0xfffe
	s_and_saveexec_b32 s7, s6
	s_wait_alu 0xfffe
	s_xor_b32 s6, exec_lo, s7
	s_cbranch_execz .LBB126_45
; %bb.44:                               ;   in Loop: Header=BB126_11 Depth=3
	global_load_b128 v[73:76], v[8:9], off offset:-256
	s_wait_loadcnt 0x0
	ds_store_2addr_b64 v66, v[73:74], v[75:76] offset1:1
.LBB126_45:                             ;   in Loop: Header=BB126_11 Depth=3
	s_wait_alu 0xfffe
	s_and_not1_saveexec_b32 s6, s6
; %bb.46:                               ;   in Loop: Header=BB126_11 Depth=3
	v_dual_mov_b32 v73, v0 :: v_dual_mov_b32 v74, v0
	v_dual_mov_b32 v75, v0 :: v_dual_mov_b32 v76, v0
	ds_store_b128 v66, v[73:76]
; %bb.47:                               ;   in Loop: Header=BB126_11 Depth=3
	s_wait_alu 0xfffe
	s_or_b32 exec_lo, exec_lo, s6
	s_nor_b32 s5, s5, s1
	s_wait_alu 0xfffe
	s_and_saveexec_b32 s6, s5
	s_wait_alu 0xfffe
	s_xor_b32 s5, exec_lo, s6
	s_cbranch_execz .LBB126_49
; %bb.48:                               ;   in Loop: Header=BB126_11 Depth=3
	global_load_b128 v[8:11], v[8:9], off
	s_wait_loadcnt 0x0
	ds_store_2addr_b64 v68, v[8:9], v[10:11] offset1:1
.LBB126_49:                             ;   in Loop: Header=BB126_11 Depth=3
	s_wait_alu 0xfffe
	s_and_not1_saveexec_b32 s5, s5
; %bb.50:                               ;   in Loop: Header=BB126_11 Depth=3
	v_dual_mov_b32 v8, v0 :: v_dual_mov_b32 v9, v0
	v_dual_mov_b32 v10, v0 :: v_dual_mov_b32 v11, v0
	ds_store_b128 v66, v[8:11] offset:256
; %bb.51:                               ;   in Loop: Header=BB126_11 Depth=3
	s_wait_alu 0xfffe
	s_or_b32 exec_lo, exec_lo, s5
	v_cmp_le_i64_e64 s5, s[50:51], v[2:3]
	v_add_co_u32 v2, s6, v44, v32
	s_wait_alu 0xf1ff
	v_add_co_ci_u32_e64 v3, null, v45, v33, s6
	s_nor_b32 s6, s5, s0
	s_wait_alu 0xfffe
	s_and_saveexec_b32 s7, s6
	s_wait_alu 0xfffe
	s_xor_b32 s6, exec_lo, s7
	s_cbranch_execz .LBB126_53
; %bb.52:                               ;   in Loop: Header=BB126_11 Depth=3
	global_load_b128 v[8:11], v[2:3], off offset:-256
	s_wait_loadcnt 0x0
	ds_store_2addr_b64 v69, v[8:9], v[10:11] offset1:1
.LBB126_53:                             ;   in Loop: Header=BB126_11 Depth=3
	s_wait_alu 0xfffe
	s_and_not1_saveexec_b32 s6, s6
; %bb.54:                               ;   in Loop: Header=BB126_11 Depth=3
	v_dual_mov_b32 v8, v0 :: v_dual_mov_b32 v9, v0
	v_dual_mov_b32 v10, v0 :: v_dual_mov_b32 v11, v0
	ds_store_b128 v66, v[8:11] offset:8192
; %bb.55:                               ;   in Loop: Header=BB126_11 Depth=3
	s_wait_alu 0xfffe
	s_or_b32 exec_lo, exec_lo, s6
	s_nor_b32 s5, s5, s1
	s_wait_alu 0xfffe
	s_and_saveexec_b32 s6, s5
	s_wait_alu 0xfffe
	s_xor_b32 s5, exec_lo, s6
	s_cbranch_execz .LBB126_57
; %bb.56:                               ;   in Loop: Header=BB126_11 Depth=3
	global_load_b128 v[8:11], v[2:3], off
	s_wait_loadcnt 0x0
	ds_store_2addr_b64 v70, v[8:9], v[10:11] offset1:1
.LBB126_57:                             ;   in Loop: Header=BB126_11 Depth=3
	s_wait_alu 0xfffe
	s_and_not1_saveexec_b32 s5, s5
	s_cbranch_execz .LBB126_10
; %bb.58:                               ;   in Loop: Header=BB126_11 Depth=3
	v_dual_mov_b32 v8, v0 :: v_dual_mov_b32 v9, v0
	v_dual_mov_b32 v10, v0 :: v_dual_mov_b32 v11, v0
	ds_store_b128 v66, v[8:11] offset:8448
	s_branch .LBB126_10
.LBB126_59:                             ;   in Loop: Header=BB126_8 Depth=2
	v_mov_b32_e32 v50, 0
	v_mov_b32_e32 v46, 0
	;; [unrolled: 1-line block ×3, first 2 shown]
	v_dual_mov_b32 v60, 0 :: v_dual_mov_b32 v51, 0
	v_dual_mov_b32 v52, 0 :: v_dual_mov_b32 v47, 0
	;; [unrolled: 1-line block ×5, first 2 shown]
	v_mov_b32_e32 v49, 0
	v_mov_b32_e32 v57, 0
	;; [unrolled: 1-line block ×3, first 2 shown]
.LBB126_60:                             ;   in Loop: Header=BB126_8 Depth=2
	v_mul_lo_u32 v8, s29, v24
	v_mul_lo_u32 v9, s28, v25
	v_mad_co_u64_u32 v[2:3], null, s28, v24, 0
	v_cmp_gt_i32_e32 vcc_lo, s10, v24
	s_delay_alu instid0(VALU_DEP_2) | instskip(NEXT) | instid1(VALU_DEP_1)
	v_add3_u32 v3, v3, v9, v8
	v_lshlrev_b64_e32 v[2:3], 4, v[2:3]
	s_delay_alu instid0(VALU_DEP_1) | instskip(SKIP_1) | instid1(VALU_DEP_2)
	v_add_co_u32 v2, s4, s52, v2
	s_wait_alu 0xf1ff
	v_add_co_ci_u32_e64 v3, null, s53, v3, s4
	s_and_b32 s4, s2, vcc_lo
	s_wait_alu 0xfffe
	s_and_saveexec_b32 s5, s4
	s_cbranch_execz .LBB126_62
; %bb.61:                               ;   in Loop: Header=BB126_8 Depth=2
	v_add_co_u32 v25, s4, v2, v14
	s_wait_alu 0xf1ff
	v_add_co_ci_u32_e64 v26, null, v3, v15, s4
	v_mul_f64_e32 v[27:28], v[6:7], v[52:53]
	v_mul_f64_e32 v[29:30], v[4:5], v[52:53]
	global_load_b128 v[8:11], v[25:26], off
	v_fma_f64 v[27:28], v[4:5], v[50:51], -v[27:28]
	v_fma_f64 v[29:30], v[6:7], v[50:51], v[29:30]
	s_wait_loadcnt 0x0
	s_delay_alu instid0(VALU_DEP_2) | instskip(NEXT) | instid1(VALU_DEP_2)
	v_add_f64_e32 v[8:9], v[8:9], v[27:28]
	v_add_f64_e32 v[10:11], v[29:30], v[10:11]
	global_store_b128 v[25:26], v[8:11], off
.LBB126_62:                             ;   in Loop: Header=BB126_8 Depth=2
	s_wait_alu 0xfffe
	s_or_b32 exec_lo, exec_lo, s5
	s_and_b32 s5, s3, vcc_lo
	s_wait_alu 0xfffe
	s_and_saveexec_b32 s4, s5
	s_cbranch_execz .LBB126_64
; %bb.63:                               ;   in Loop: Header=BB126_8 Depth=2
	v_lshlrev_b64_e32 v[8:9], 4, v[12:13]
	v_mul_f64_e32 v[25:26], v[6:7], v[48:49]
	v_mul_f64_e32 v[27:28], v[4:5], v[48:49]
	s_delay_alu instid0(VALU_DEP_3) | instskip(SKIP_1) | instid1(VALU_DEP_4)
	v_add_co_u32 v2, vcc_lo, v2, v8
	s_wait_alu 0xfffd
	v_add_co_ci_u32_e64 v3, null, v3, v9, vcc_lo
	global_load_b128 v[8:11], v[2:3], off
	v_fma_f64 v[25:26], v[4:5], v[46:47], -v[25:26]
	v_fma_f64 v[27:28], v[6:7], v[46:47], v[27:28]
	s_wait_loadcnt 0x0
	s_delay_alu instid0(VALU_DEP_2) | instskip(NEXT) | instid1(VALU_DEP_2)
	v_add_f64_e32 v[8:9], v[8:9], v[25:26]
	v_add_f64_e32 v[10:11], v[27:28], v[10:11]
	global_store_b128 v[2:3], v[8:11], off
.LBB126_64:                             ;   in Loop: Header=BB126_8 Depth=2
	s_wait_alu 0xfffe
	s_or_b32 exec_lo, exec_lo, s4
	v_add_nc_u32_e32 v8, 16, v24
	s_delay_alu instid0(VALU_DEP_1) | instskip(SKIP_3) | instid1(VALU_DEP_4)
	v_ashrrev_i32_e32 v9, 31, v8
	v_mul_lo_u32 v10, s29, v8
	v_mad_co_u64_u32 v[2:3], null, s28, v8, 0
	v_cmp_gt_i32_e32 vcc_lo, s10, v8
	v_mul_lo_u32 v9, s28, v9
	s_delay_alu instid0(VALU_DEP_1) | instskip(NEXT) | instid1(VALU_DEP_1)
	v_add3_u32 v3, v3, v9, v10
	v_lshlrev_b64_e32 v[2:3], 4, v[2:3]
	s_delay_alu instid0(VALU_DEP_1) | instskip(SKIP_1) | instid1(VALU_DEP_2)
	v_add_co_u32 v2, s4, s52, v2
	s_wait_alu 0xf1ff
	v_add_co_ci_u32_e64 v3, null, s53, v3, s4
	s_and_b32 s4, s2, vcc_lo
	s_wait_alu 0xfffe
	s_and_saveexec_b32 s5, s4
	s_cbranch_execz .LBB126_66
; %bb.65:                               ;   in Loop: Header=BB126_8 Depth=2
	v_add_co_u32 v23, s4, v2, v14
	s_wait_alu 0xf1ff
	v_add_co_ci_u32_e64 v24, null, v3, v15, s4
	v_mul_f64_e32 v[25:26], v[6:7], v[56:57]
	v_mul_f64_e32 v[27:28], v[4:5], v[56:57]
	global_load_b128 v[8:11], v[23:24], off
	v_fma_f64 v[25:26], v[4:5], v[54:55], -v[25:26]
	v_fma_f64 v[27:28], v[6:7], v[54:55], v[27:28]
	s_wait_loadcnt 0x0
	s_delay_alu instid0(VALU_DEP_2) | instskip(NEXT) | instid1(VALU_DEP_2)
	v_add_f64_e32 v[8:9], v[8:9], v[25:26]
	v_add_f64_e32 v[10:11], v[27:28], v[10:11]
	global_store_b128 v[23:24], v[8:11], off
.LBB126_66:                             ;   in Loop: Header=BB126_8 Depth=2
	s_wait_alu 0xfffe
	s_or_b32 exec_lo, exec_lo, s5
	s_and_b32 s5, s3, vcc_lo
	s_wait_alu 0xfffe
	s_and_saveexec_b32 s4, s5
	s_cbranch_execz .LBB126_7
; %bb.67:                               ;   in Loop: Header=BB126_8 Depth=2
	v_lshlrev_b64_e32 v[8:9], 4, v[12:13]
	v_mul_f64_e32 v[23:24], v[6:7], v[58:59]
	v_mul_f64_e32 v[25:26], v[4:5], v[58:59]
	s_delay_alu instid0(VALU_DEP_3) | instskip(SKIP_1) | instid1(VALU_DEP_4)
	v_add_co_u32 v2, vcc_lo, v2, v8
	s_wait_alu 0xfffd
	v_add_co_ci_u32_e64 v3, null, v3, v9, vcc_lo
	global_load_b128 v[8:11], v[2:3], off
	v_fma_f64 v[23:24], v[4:5], v[60:61], -v[23:24]
	v_fma_f64 v[25:26], v[6:7], v[60:61], v[25:26]
	s_wait_loadcnt 0x0
	s_delay_alu instid0(VALU_DEP_2) | instskip(NEXT) | instid1(VALU_DEP_2)
	v_add_f64_e32 v[8:9], v[8:9], v[23:24]
	v_add_f64_e32 v[10:11], v[25:26], v[10:11]
	global_store_b128 v[2:3], v[8:11], off
	s_branch .LBB126_7
.LBB126_68:
	s_endpgm
	.section	.rodata,"a",@progbits
	.p2align	6, 0x0
	.amdhsa_kernel _ZL30rocblas_trmm_outofplace_kernelI19rocblas_complex_numIdELi32ELi2ELb0ELb1ELb1ELb0EPKS1_S2_S1_Ev17rocblas_diagonal_iiT6_lPT7_lllS7_lllPT8_llli
		.amdhsa_group_segment_fixed_size 32768
		.amdhsa_private_segment_fixed_size 0
		.amdhsa_kernarg_size 392
		.amdhsa_user_sgpr_count 2
		.amdhsa_user_sgpr_dispatch_ptr 0
		.amdhsa_user_sgpr_queue_ptr 0
		.amdhsa_user_sgpr_kernarg_segment_ptr 1
		.amdhsa_user_sgpr_dispatch_id 0
		.amdhsa_user_sgpr_private_segment_size 0
		.amdhsa_wavefront_size32 1
		.amdhsa_uses_dynamic_stack 0
		.amdhsa_enable_private_segment 0
		.amdhsa_system_sgpr_workgroup_id_x 1
		.amdhsa_system_sgpr_workgroup_id_y 1
		.amdhsa_system_sgpr_workgroup_id_z 1
		.amdhsa_system_sgpr_workgroup_info 0
		.amdhsa_system_vgpr_workitem_id 1
		.amdhsa_next_free_vgpr 93
		.amdhsa_next_free_sgpr 70
		.amdhsa_reserve_vcc 1
		.amdhsa_float_round_mode_32 0
		.amdhsa_float_round_mode_16_64 0
		.amdhsa_float_denorm_mode_32 3
		.amdhsa_float_denorm_mode_16_64 3
		.amdhsa_fp16_overflow 0
		.amdhsa_workgroup_processor_mode 1
		.amdhsa_memory_ordered 1
		.amdhsa_forward_progress 1
		.amdhsa_inst_pref_size 76
		.amdhsa_round_robin_scheduling 0
		.amdhsa_exception_fp_ieee_invalid_op 0
		.amdhsa_exception_fp_denorm_src 0
		.amdhsa_exception_fp_ieee_div_zero 0
		.amdhsa_exception_fp_ieee_overflow 0
		.amdhsa_exception_fp_ieee_underflow 0
		.amdhsa_exception_fp_ieee_inexact 0
		.amdhsa_exception_int_div_zero 0
	.end_amdhsa_kernel
	.section	.text._ZL30rocblas_trmm_outofplace_kernelI19rocblas_complex_numIdELi32ELi2ELb0ELb1ELb1ELb0EPKS1_S2_S1_Ev17rocblas_diagonal_iiT6_lPT7_lllS7_lllPT8_llli,"axG",@progbits,_ZL30rocblas_trmm_outofplace_kernelI19rocblas_complex_numIdELi32ELi2ELb0ELb1ELb1ELb0EPKS1_S2_S1_Ev17rocblas_diagonal_iiT6_lPT7_lllS7_lllPT8_llli,comdat
.Lfunc_end126:
	.size	_ZL30rocblas_trmm_outofplace_kernelI19rocblas_complex_numIdELi32ELi2ELb0ELb1ELb1ELb0EPKS1_S2_S1_Ev17rocblas_diagonal_iiT6_lPT7_lllS7_lllPT8_llli, .Lfunc_end126-_ZL30rocblas_trmm_outofplace_kernelI19rocblas_complex_numIdELi32ELi2ELb0ELb1ELb1ELb0EPKS1_S2_S1_Ev17rocblas_diagonal_iiT6_lPT7_lllS7_lllPT8_llli
                                        ; -- End function
	.set _ZL30rocblas_trmm_outofplace_kernelI19rocblas_complex_numIdELi32ELi2ELb0ELb1ELb1ELb0EPKS1_S2_S1_Ev17rocblas_diagonal_iiT6_lPT7_lllS7_lllPT8_llli.num_vgpr, 93
	.set _ZL30rocblas_trmm_outofplace_kernelI19rocblas_complex_numIdELi32ELi2ELb0ELb1ELb1ELb0EPKS1_S2_S1_Ev17rocblas_diagonal_iiT6_lPT7_lllS7_lllPT8_llli.num_agpr, 0
	.set _ZL30rocblas_trmm_outofplace_kernelI19rocblas_complex_numIdELi32ELi2ELb0ELb1ELb1ELb0EPKS1_S2_S1_Ev17rocblas_diagonal_iiT6_lPT7_lllS7_lllPT8_llli.numbered_sgpr, 70
	.set _ZL30rocblas_trmm_outofplace_kernelI19rocblas_complex_numIdELi32ELi2ELb0ELb1ELb1ELb0EPKS1_S2_S1_Ev17rocblas_diagonal_iiT6_lPT7_lllS7_lllPT8_llli.num_named_barrier, 0
	.set _ZL30rocblas_trmm_outofplace_kernelI19rocblas_complex_numIdELi32ELi2ELb0ELb1ELb1ELb0EPKS1_S2_S1_Ev17rocblas_diagonal_iiT6_lPT7_lllS7_lllPT8_llli.private_seg_size, 0
	.set _ZL30rocblas_trmm_outofplace_kernelI19rocblas_complex_numIdELi32ELi2ELb0ELb1ELb1ELb0EPKS1_S2_S1_Ev17rocblas_diagonal_iiT6_lPT7_lllS7_lllPT8_llli.uses_vcc, 1
	.set _ZL30rocblas_trmm_outofplace_kernelI19rocblas_complex_numIdELi32ELi2ELb0ELb1ELb1ELb0EPKS1_S2_S1_Ev17rocblas_diagonal_iiT6_lPT7_lllS7_lllPT8_llli.uses_flat_scratch, 0
	.set _ZL30rocblas_trmm_outofplace_kernelI19rocblas_complex_numIdELi32ELi2ELb0ELb1ELb1ELb0EPKS1_S2_S1_Ev17rocblas_diagonal_iiT6_lPT7_lllS7_lllPT8_llli.has_dyn_sized_stack, 0
	.set _ZL30rocblas_trmm_outofplace_kernelI19rocblas_complex_numIdELi32ELi2ELb0ELb1ELb1ELb0EPKS1_S2_S1_Ev17rocblas_diagonal_iiT6_lPT7_lllS7_lllPT8_llli.has_recursion, 0
	.set _ZL30rocblas_trmm_outofplace_kernelI19rocblas_complex_numIdELi32ELi2ELb0ELb1ELb1ELb0EPKS1_S2_S1_Ev17rocblas_diagonal_iiT6_lPT7_lllS7_lllPT8_llli.has_indirect_call, 0
	.section	.AMDGPU.csdata,"",@progbits
; Kernel info:
; codeLenInByte = 9668
; TotalNumSgprs: 72
; NumVgprs: 93
; ScratchSize: 0
; MemoryBound: 0
; FloatMode: 240
; IeeeMode: 1
; LDSByteSize: 32768 bytes/workgroup (compile time only)
; SGPRBlocks: 0
; VGPRBlocks: 11
; NumSGPRsForWavesPerEU: 72
; NumVGPRsForWavesPerEU: 93
; Occupancy: 16
; WaveLimiterHint : 0
; COMPUTE_PGM_RSRC2:SCRATCH_EN: 0
; COMPUTE_PGM_RSRC2:USER_SGPR: 2
; COMPUTE_PGM_RSRC2:TRAP_HANDLER: 0
; COMPUTE_PGM_RSRC2:TGID_X_EN: 1
; COMPUTE_PGM_RSRC2:TGID_Y_EN: 1
; COMPUTE_PGM_RSRC2:TGID_Z_EN: 1
; COMPUTE_PGM_RSRC2:TIDIG_COMP_CNT: 1
	.section	.text._ZL30rocblas_trmm_outofplace_kernelI19rocblas_complex_numIdELi32ELi2ELb0ELb1ELb1ELb0ES1_KS1_S1_Ev17rocblas_diagonal_iiT6_lPT7_lllS6_lllPT8_llli,"axG",@progbits,_ZL30rocblas_trmm_outofplace_kernelI19rocblas_complex_numIdELi32ELi2ELb0ELb1ELb1ELb0ES1_KS1_S1_Ev17rocblas_diagonal_iiT6_lPT7_lllS6_lllPT8_llli,comdat
	.globl	_ZL30rocblas_trmm_outofplace_kernelI19rocblas_complex_numIdELi32ELi2ELb0ELb1ELb1ELb0ES1_KS1_S1_Ev17rocblas_diagonal_iiT6_lPT7_lllS6_lllPT8_llli ; -- Begin function _ZL30rocblas_trmm_outofplace_kernelI19rocblas_complex_numIdELi32ELi2ELb0ELb1ELb1ELb0ES1_KS1_S1_Ev17rocblas_diagonal_iiT6_lPT7_lllS6_lllPT8_llli
	.p2align	8
	.type	_ZL30rocblas_trmm_outofplace_kernelI19rocblas_complex_numIdELi32ELi2ELb0ELb1ELb1ELb0ES1_KS1_S1_Ev17rocblas_diagonal_iiT6_lPT7_lllS6_lllPT8_llli,@function
_ZL30rocblas_trmm_outofplace_kernelI19rocblas_complex_numIdELi32ELi2ELb0ELb1ELb1ELb0ES1_KS1_S1_Ev17rocblas_diagonal_iiT6_lPT7_lllS6_lllPT8_llli: ; @_ZL30rocblas_trmm_outofplace_kernelI19rocblas_complex_numIdELi32ELi2ELb0ELb1ELb1ELb0ES1_KS1_S1_Ev17rocblas_diagonal_iiT6_lPT7_lllS6_lllPT8_llli
; %bb.0:
	s_load_b32 s33, s[0:1], 0x88
	s_lshr_b32 s34, ttmp7, 16
	s_wait_kmcnt 0x0
	s_cmp_ge_u32 s34, s33
	s_cbranch_scc1 .LBB127_67
; %bb.1:
	s_load_b128 s[36:39], s[0:1], 0x10
	s_wait_kmcnt 0x0
	v_cmp_eq_f64_e64 s2, s[36:37], 0
	v_cmp_eq_f64_e64 s3, s[38:39], 0
	s_and_b32 s2, s2, s3
	s_delay_alu instid0(SALU_CYCLE_1)
	s_and_b32 vcc_lo, exec_lo, s2
	s_cbranch_vccnz .LBB127_67
; %bb.2:
	s_clause 0x1
	s_load_b96 s[40:42], s[0:1], 0x0
	s_load_b512 s[8:23], s[0:1], 0x28
	s_add_nc_u64 s[44:45], s[0:1], 0x90
	s_load_b256 s[24:31], s[0:1], 0x68
	v_and_b32_e32 v6, 0x3ff, v0
	v_bfe_u32 v58, v0, 10, 10
	s_and_b32 s43, ttmp7, 0xffff
	s_mov_b32 s35, 0
	s_delay_alu instid0(VALU_DEP_2) | instskip(SKIP_2) | instid1(VALU_DEP_3)
	v_lshl_add_u32 v0, ttmp9, 5, v6
	v_lshlrev_b32_e32 v2, 4, v6
	v_lshlrev_b32_e32 v59, 9, v58
	v_ashrrev_i32_e32 v1, 31, v0
	s_delay_alu instid0(VALU_DEP_3) | instskip(NEXT) | instid1(VALU_DEP_3)
	v_or_b32_e32 v60, 0x4000, v2
	v_add_nc_u32_e32 v61, v59, v2
	v_add_nc_u32_e32 v4, 16, v0
	s_wait_kmcnt 0x0
	s_add_co_i32 s0, s42, -1
	v_sub_co_u32 v2, vcc_lo, s41, v0
	s_wait_alu 0xfffe
	s_ashr_i32 s1, s0, 31
	v_cmp_gt_i32_e64 s2, s41, v0
	s_wait_alu 0xfffe
	s_lshr_b32 s1, s1, 27
	v_add_nc_u32_e32 v63, 0x100, v61
	s_wait_alu 0xfffe
	s_add_co_i32 s0, s0, s1
	v_add_nc_u32_e32 v64, 0x2000, v61
	s_wait_alu 0xfffe
	s_ashr_i32 s60, s0, 5
	v_add_nc_u32_e32 v65, 0x2100, v61
	s_cmp_le_i32 s43, s60
	v_cmp_gt_i32_e64 s3, s41, v4
	s_cselect_b32 s61, -1, 0
	s_cmp_eq_u32 s40, 0x84
	v_ashrrev_i32_e32 v5, 31, v4
	s_cselect_b32 s62, -1, 0
	s_lshl_b32 s4, s43, 5
	s_ashr_i32 s0, s41, 31
	v_add_nc_u32_e32 v69, s4, v6
	v_lshlrev_b64_e32 v[6:7], 4, v[0:1]
	s_wait_alu 0xfffe
	v_sub_co_ci_u32_e64 v3, null, s0, v1, vcc_lo
	v_add_nc_u32_e32 v70, s4, v58
	s_lshl_b64 s[4:5], s[18:19], 4
	v_mov_b32_e32 v0, 0
	v_add_nc_u32_e32 v62, v60, v59
	s_wait_alu 0xfffe
	s_add_nc_u64 s[4:5], s[16:17], s[4:5]
	s_lshl_b64 s[0:1], s[26:27], 4
	s_wait_alu 0xfffe
	v_add_co_u32 v8, vcc_lo, s4, v6
	s_add_nc_u64 s[24:25], s[24:25], s[0:1]
	v_cmp_gt_i64_e64 s0, 1, v[2:3]
	v_cmp_gt_i64_e64 s1, 17, v[2:3]
	s_lshl_b64 s[6:7], s[10:11], 4
	v_add_nc_u32_e32 v66, 0x100, v62
	v_add_nc_u32_e32 v67, 0x2000, v62
	;; [unrolled: 1-line block ×3, first 2 shown]
	s_wait_alu 0xfffd
	v_add_co_ci_u32_e64 v9, null, s5, v7, vcc_lo
	v_mov_b32_e32 v1, 0x3ff00000
	s_mov_b32 s46, s42
	s_ashr_i32 s47, s42, 31
	s_add_nc_u64 s[10:11], s[8:9], s[6:7]
	s_lshl_b64 s[48:49], s[12:13], 9
	s_lshl_b64 s[26:27], s[20:21], 9
	s_add_nc_u64 s[50:51], s[46:47], -16
	s_lshl_b64 s[18:19], s[20:21], 4
	s_lshl_b64 s[16:17], s[22:23], 4
	s_add_nc_u64 s[22:23], s[10:11], 0x100
	s_lshl_b64 s[14:15], s[14:15], 4
	s_lshl_b64 s[40:41], s[12:13], 4
	s_branch .LBB127_4
.LBB127_3:                              ;   in Loop: Header=BB127_4 Depth=1
	s_add_co_i32 s34, s34, 0x10000
	s_wait_alu 0xfffe
	s_cmp_ge_u32 s34, s33
	s_cbranch_scc1 .LBB127_67
.LBB127_4:                              ; =>This Loop Header: Depth=1
                                        ;     Child Loop BB127_7 Depth 2
                                        ;       Child Loop BB127_10 Depth 3
	s_and_not1_b32 vcc_lo, exec_lo, s61
	s_wait_alu 0xfffe
	s_cbranch_vccnz .LBB127_3
; %bb.5:                                ;   in Loop: Header=BB127_4 Depth=1
	v_mad_co_u64_u32 v[10:11], null, s16, s34, v[8:9]
	s_load_b32 s63, s[44:45], 0x4
	s_mul_u64 s[4:5], s[30:31], s[34:35]
	v_mov_b32_e32 v14, v69
	s_mul_u64 s[6:7], s[14:15], s[34:35]
	s_wait_alu 0xfffe
	s_lshl_b64 s[4:5], s[4:5], 4
	s_add_nc_u64 s[54:55], s[22:23], s[6:7]
	v_mov_b32_e32 v2, v11
	s_wait_alu 0xfffe
	s_add_nc_u64 s[52:53], s[24:25], s[4:5]
	s_add_nc_u64 s[56:57], s[10:11], s[6:7]
	s_mov_b32 s65, s43
	v_mad_co_u64_u32 v[2:3], null, s17, s34, v[2:3]
	s_delay_alu instid0(VALU_DEP_1)
	v_dual_mov_b32 v12, v70 :: v_dual_mov_b32 v11, v2
	s_wait_kmcnt 0x0
	s_lshl_b32 s64, s63, 5
	s_branch .LBB127_7
.LBB127_6:                              ;   in Loop: Header=BB127_7 Depth=2
	s_wait_alu 0xfffe
	s_or_b32 exec_lo, exec_lo, s4
	v_add_nc_u32_e32 v14, s64, v14
	v_add_nc_u32_e32 v12, s64, v12
	s_add_co_i32 s65, s63, s65
	s_wait_alu 0xfffe
	s_cmp_gt_i32 s65, s60
	s_cbranch_scc1 .LBB127_3
.LBB127_7:                              ;   Parent Loop BB127_4 Depth=1
                                        ; =>  This Loop Header: Depth=2
                                        ;       Child Loop BB127_10 Depth 3
	s_wait_alu 0xfffe
	s_lshl_b32 s4, s65, 5
	v_ashrrev_i32_e32 v15, 31, v14
	s_wait_alu 0xfffe
	v_add_nc_u32_e32 v16, s4, v58
	v_ashrrev_i32_e32 v13, 31, v12
	s_sub_co_i32 s66, s42, s4
	s_delay_alu instid0(SALU_CYCLE_1) | instskip(NEXT) | instid1(VALU_DEP_2)
	s_cmp_lt_i32 s66, 1
	v_ashrrev_i32_e32 v17, 31, v16
	s_cbranch_scc1 .LBB127_58
; %bb.8:                                ;   in Loop: Header=BB127_7 Depth=2
	v_lshlrev_b64_e32 v[18:19], 4, v[12:13]
	v_sub_co_u32 v20, vcc_lo, v12, v14
	v_lshlrev_b64_e32 v[2:3], 4, v[14:15]
	s_wait_alu 0xfffd
	v_sub_co_ci_u32_e64 v21, null, v13, v15, vcc_lo
	s_delay_alu instid0(VALU_DEP_4)
	v_add_co_u32 v24, vcc_lo, 0x100, v18
	s_wait_alu 0xfffd
	v_add_co_ci_u32_e64 v25, null, 0, v19, vcc_lo
	v_mad_co_u64_u32 v[22:23], null, s18, v12, 0x100
	v_mul_lo_u32 v30, s18, v13
	v_mul_lo_u32 v31, s19, v12
	v_add_co_u32 v2, vcc_lo, 0x100, v2
	s_wait_alu 0xfffd
	v_add_co_ci_u32_e64 v3, null, 0, v3, vcc_lo
	v_mul_lo_u32 v32, s20, v25
	v_mul_lo_u32 v33, s21, v24
	v_mad_co_u64_u32 v[24:25], null, s20, v24, 0x100
	v_mad_co_u64_u32 v[26:27], null, s40, v14, s[54:55]
	v_mul_lo_u32 v34, s40, v15
	v_mul_lo_u32 v35, s41, v14
	;; [unrolled: 1-line block ×4, first 2 shown]
	v_mad_co_u64_u32 v[28:29], null, s12, v2, s[56:57]
	v_add3_u32 v23, v31, v23, v30
	v_add_co_u32 v30, vcc_lo, v16, 16
	s_wait_alu 0xfffd
	v_add_co_ci_u32_e64 v31, null, 0, v17, vcc_lo
	v_add3_u32 v25, v33, v25, v32
	v_add_co_u32 v32, s5, v20, 16
	v_add3_u32 v27, v35, v27, v34
	s_wait_alu 0xf1ff
	v_add_co_ci_u32_e64 v33, null, 0, v21, s5
	v_add_co_u32 v34, s5, v20, -16
	v_mov_b32_e32 v50, 0
	v_mov_b32_e32 v44, 0
	;; [unrolled: 1-line block ×4, first 2 shown]
	v_cmp_le_i64_e64 s4, s[46:47], v[30:31]
	v_dual_mov_b32 v51, 0 :: v_dual_mov_b32 v52, 0
	v_dual_mov_b32 v45, 0 :: v_dual_mov_b32 v42, 0
	;; [unrolled: 1-line block ×4, first 2 shown]
	v_add3_u32 v29, v36, v29, v3
	s_wait_alu 0xf1ff
	v_add_co_ci_u32_e64 v35, null, -1, v21, s5
	v_mov_b32_e32 v53, 0
	v_mov_b32_e32 v43, 0
	;; [unrolled: 1-line block ×4, first 2 shown]
	v_dual_mov_b32 v37, v11 :: v_dual_mov_b32 v36, v10
	s_mov_b64 s[58:59], 0
	v_cmp_le_i32_e32 vcc_lo, s42, v16
	s_branch .LBB127_10
.LBB127_9:                              ;   in Loop: Header=BB127_10 Depth=3
	s_wait_alu 0xfffe
	s_or_b32 exec_lo, exec_lo, s5
	s_wait_dscnt 0x0
	s_barrier_signal -1
	s_barrier_wait -1
	global_inv scope:SCOPE_SE
	ds_load_b128 v[54:57], v59
	ds_load_b128 v[71:74], v59 offset:16
	ds_load_b128 v[75:78], v59 offset:32
	;; [unrolled: 1-line block ×3, first 2 shown]
	ds_load_b128 v[83:86], v60
	v_add_co_u32 v36, s5, v36, s26
	s_wait_alu 0xf1ff
	v_add_co_ci_u32_e64 v37, null, s27, v37, s5
	v_add_co_u32 v26, s5, v26, s48
	s_wait_alu 0xf1ff
	v_add_co_ci_u32_e64 v27, null, s49, v27, s5
	;; [unrolled: 3-line block ×3, first 2 shown]
	s_add_nc_u64 s[58:59], s[58:59], 32
	s_wait_alu 0xfffe
	s_cmp_ge_i32 s58, s66
	s_wait_dscnt 0x0
	v_mul_f64_e32 v[2:3], v[56:57], v[85:86]
	v_mul_f64_e32 v[87:88], v[54:55], v[85:86]
	s_delay_alu instid0(VALU_DEP_2) | instskip(NEXT) | instid1(VALU_DEP_2)
	v_fma_f64 v[2:3], v[54:55], v[83:84], -v[2:3]
	v_fma_f64 v[87:88], v[56:57], v[83:84], v[87:88]
	s_delay_alu instid0(VALU_DEP_2) | instskip(NEXT) | instid1(VALU_DEP_2)
	v_add_f64_e32 v[2:3], v[46:47], v[2:3]
	v_add_f64_e32 v[87:88], v[87:88], v[48:49]
	ds_load_b128 v[46:49], v60 offset:256
	s_wait_dscnt 0x0
	v_mul_f64_e32 v[89:90], v[56:57], v[48:49]
	s_delay_alu instid0(VALU_DEP_1) | instskip(SKIP_1) | instid1(VALU_DEP_1)
	v_fma_f64 v[89:90], v[54:55], v[46:47], -v[89:90]
	v_mul_f64_e32 v[54:55], v[54:55], v[48:49]
	v_fma_f64 v[54:55], v[56:57], v[46:47], v[54:55]
	s_delay_alu instid0(VALU_DEP_3) | instskip(NEXT) | instid1(VALU_DEP_2)
	v_add_f64_e32 v[56:57], v[38:39], v[89:90]
	v_add_f64_e32 v[54:55], v[54:55], v[40:41]
	ds_load_b128 v[38:41], v59 offset:8192
	s_wait_dscnt 0x0
	v_mul_f64_e32 v[89:90], v[40:41], v[85:86]
	v_mul_f64_e32 v[85:86], v[38:39], v[85:86]
	s_delay_alu instid0(VALU_DEP_2) | instskip(NEXT) | instid1(VALU_DEP_2)
	v_fma_f64 v[89:90], v[38:39], v[83:84], -v[89:90]
	v_fma_f64 v[83:84], v[40:41], v[83:84], v[85:86]
	s_delay_alu instid0(VALU_DEP_2) | instskip(SKIP_1) | instid1(VALU_DEP_3)
	v_add_f64_e32 v[85:86], v[42:43], v[89:90]
	v_mul_f64_e32 v[42:43], v[40:41], v[48:49]
	v_add_f64_e32 v[83:84], v[83:84], v[44:45]
	s_delay_alu instid0(VALU_DEP_2) | instskip(SKIP_1) | instid1(VALU_DEP_2)
	v_fma_f64 v[42:43], v[38:39], v[46:47], -v[42:43]
	v_mul_f64_e32 v[38:39], v[38:39], v[48:49]
	v_add_f64_e32 v[52:53], v[52:53], v[42:43]
	s_delay_alu instid0(VALU_DEP_2) | instskip(NEXT) | instid1(VALU_DEP_1)
	v_fma_f64 v[38:39], v[40:41], v[46:47], v[38:39]
	v_add_f64_e32 v[50:51], v[38:39], v[50:51]
	ds_load_b128 v[38:41], v60 offset:512
	s_wait_dscnt 0x0
	v_mul_f64_e32 v[42:43], v[73:74], v[40:41]
	v_mul_f64_e32 v[44:45], v[71:72], v[40:41]
	s_delay_alu instid0(VALU_DEP_2) | instskip(NEXT) | instid1(VALU_DEP_2)
	v_fma_f64 v[42:43], v[71:72], v[38:39], -v[42:43]
	v_fma_f64 v[44:45], v[73:74], v[38:39], v[44:45]
	s_delay_alu instid0(VALU_DEP_2) | instskip(NEXT) | instid1(VALU_DEP_2)
	v_add_f64_e32 v[2:3], v[2:3], v[42:43]
	v_add_f64_e32 v[87:88], v[44:45], v[87:88]
	ds_load_b128 v[42:45], v60 offset:768
	s_wait_dscnt 0x0
	v_mul_f64_e32 v[46:47], v[73:74], v[44:45]
	v_mul_f64_e32 v[48:49], v[71:72], v[44:45]
	s_delay_alu instid0(VALU_DEP_2) | instskip(NEXT) | instid1(VALU_DEP_2)
	v_fma_f64 v[46:47], v[71:72], v[42:43], -v[46:47]
	v_fma_f64 v[48:49], v[73:74], v[42:43], v[48:49]
	s_delay_alu instid0(VALU_DEP_2) | instskip(NEXT) | instid1(VALU_DEP_2)
	v_add_f64_e32 v[56:57], v[56:57], v[46:47]
	v_add_f64_e32 v[54:55], v[48:49], v[54:55]
	ds_load_b128 v[46:49], v59 offset:8208
	s_wait_dscnt 0x0
	v_mul_f64_e32 v[71:72], v[48:49], v[40:41]
	v_mul_f64_e32 v[40:41], v[46:47], v[40:41]
	s_delay_alu instid0(VALU_DEP_2) | instskip(NEXT) | instid1(VALU_DEP_2)
	v_fma_f64 v[71:72], v[46:47], v[38:39], -v[71:72]
	v_fma_f64 v[38:39], v[48:49], v[38:39], v[40:41]
	v_mul_f64_e32 v[40:41], v[46:47], v[44:45]
	s_delay_alu instid0(VALU_DEP_3) | instskip(NEXT) | instid1(VALU_DEP_3)
	v_add_f64_e32 v[71:72], v[85:86], v[71:72]
	v_add_f64_e32 v[73:74], v[38:39], v[83:84]
	v_mul_f64_e32 v[38:39], v[48:49], v[44:45]
	s_delay_alu instid0(VALU_DEP_4) | instskip(NEXT) | instid1(VALU_DEP_2)
	v_fma_f64 v[40:41], v[48:49], v[42:43], v[40:41]
	v_fma_f64 v[38:39], v[46:47], v[42:43], -v[38:39]
	s_delay_alu instid0(VALU_DEP_2) | instskip(NEXT) | instid1(VALU_DEP_2)
	v_add_f64_e32 v[50:51], v[40:41], v[50:51]
	v_add_f64_e32 v[52:53], v[52:53], v[38:39]
	ds_load_b128 v[38:41], v60 offset:1024
	s_wait_dscnt 0x0
	v_mul_f64_e32 v[42:43], v[77:78], v[40:41]
	v_mul_f64_e32 v[44:45], v[75:76], v[40:41]
	s_delay_alu instid0(VALU_DEP_2) | instskip(NEXT) | instid1(VALU_DEP_2)
	v_fma_f64 v[42:43], v[75:76], v[38:39], -v[42:43]
	v_fma_f64 v[44:45], v[77:78], v[38:39], v[44:45]
	s_delay_alu instid0(VALU_DEP_2) | instskip(NEXT) | instid1(VALU_DEP_2)
	v_add_f64_e32 v[2:3], v[2:3], v[42:43]
	v_add_f64_e32 v[83:84], v[44:45], v[87:88]
	ds_load_b128 v[42:45], v60 offset:1280
	s_wait_dscnt 0x0
	v_mul_f64_e32 v[46:47], v[77:78], v[44:45]
	v_mul_f64_e32 v[48:49], v[75:76], v[44:45]
	s_delay_alu instid0(VALU_DEP_2) | instskip(NEXT) | instid1(VALU_DEP_2)
	v_fma_f64 v[46:47], v[75:76], v[42:43], -v[46:47]
	v_fma_f64 v[48:49], v[77:78], v[42:43], v[48:49]
	s_delay_alu instid0(VALU_DEP_2) | instskip(NEXT) | instid1(VALU_DEP_2)
	v_add_f64_e32 v[56:57], v[56:57], v[46:47]
	v_add_f64_e32 v[54:55], v[48:49], v[54:55]
	ds_load_b128 v[46:49], v59 offset:8224
	s_wait_dscnt 0x0
	v_mul_f64_e32 v[75:76], v[48:49], v[40:41]
	v_mul_f64_e32 v[40:41], v[46:47], v[40:41]
	s_delay_alu instid0(VALU_DEP_2) | instskip(NEXT) | instid1(VALU_DEP_2)
	v_fma_f64 v[75:76], v[46:47], v[38:39], -v[75:76]
	v_fma_f64 v[38:39], v[48:49], v[38:39], v[40:41]
	v_mul_f64_e32 v[40:41], v[46:47], v[44:45]
	s_delay_alu instid0(VALU_DEP_3) | instskip(NEXT) | instid1(VALU_DEP_3)
	v_add_f64_e32 v[71:72], v[71:72], v[75:76]
	v_add_f64_e32 v[73:74], v[38:39], v[73:74]
	v_mul_f64_e32 v[38:39], v[48:49], v[44:45]
	s_delay_alu instid0(VALU_DEP_4) | instskip(NEXT) | instid1(VALU_DEP_2)
	v_fma_f64 v[40:41], v[48:49], v[42:43], v[40:41]
	v_fma_f64 v[38:39], v[46:47], v[42:43], -v[38:39]
	s_delay_alu instid0(VALU_DEP_2) | instskip(NEXT) | instid1(VALU_DEP_2)
	v_add_f64_e32 v[50:51], v[40:41], v[50:51]
	;; [unrolled: 38-line block ×3, first 2 shown]
	v_add_f64_e32 v[52:53], v[52:53], v[38:39]
	ds_load_b128 v[38:41], v59 offset:64
	ds_load_b128 v[42:45], v60 offset:2048
	s_wait_dscnt 0x0
	v_mul_f64_e32 v[46:47], v[40:41], v[44:45]
	v_mul_f64_e32 v[48:49], v[38:39], v[44:45]
	s_delay_alu instid0(VALU_DEP_2) | instskip(NEXT) | instid1(VALU_DEP_2)
	v_fma_f64 v[46:47], v[38:39], v[42:43], -v[46:47]
	v_fma_f64 v[48:49], v[40:41], v[42:43], v[48:49]
	s_delay_alu instid0(VALU_DEP_2) | instskip(NEXT) | instid1(VALU_DEP_2)
	v_add_f64_e32 v[2:3], v[2:3], v[46:47]
	v_add_f64_e32 v[75:76], v[48:49], v[75:76]
	ds_load_b128 v[46:49], v60 offset:2304
	s_wait_dscnt 0x0
	v_mul_f64_e32 v[77:78], v[40:41], v[48:49]
	s_delay_alu instid0(VALU_DEP_1) | instskip(SKIP_1) | instid1(VALU_DEP_2)
	v_fma_f64 v[77:78], v[38:39], v[46:47], -v[77:78]
	v_mul_f64_e32 v[38:39], v[38:39], v[48:49]
	v_add_f64_e32 v[56:57], v[56:57], v[77:78]
	s_delay_alu instid0(VALU_DEP_2) | instskip(NEXT) | instid1(VALU_DEP_1)
	v_fma_f64 v[38:39], v[40:41], v[46:47], v[38:39]
	v_add_f64_e32 v[54:55], v[38:39], v[54:55]
	ds_load_b128 v[38:41], v59 offset:8256
	s_wait_dscnt 0x0
	v_mul_f64_e32 v[77:78], v[40:41], v[44:45]
	v_mul_f64_e32 v[44:45], v[38:39], v[44:45]
	s_delay_alu instid0(VALU_DEP_2) | instskip(NEXT) | instid1(VALU_DEP_2)
	v_fma_f64 v[77:78], v[38:39], v[42:43], -v[77:78]
	v_fma_f64 v[42:43], v[40:41], v[42:43], v[44:45]
	s_delay_alu instid0(VALU_DEP_2) | instskip(NEXT) | instid1(VALU_DEP_2)
	v_add_f64_e32 v[71:72], v[71:72], v[77:78]
	v_add_f64_e32 v[73:74], v[42:43], v[73:74]
	v_mul_f64_e32 v[42:43], v[40:41], v[48:49]
	s_delay_alu instid0(VALU_DEP_1) | instskip(SKIP_1) | instid1(VALU_DEP_2)
	v_fma_f64 v[42:43], v[38:39], v[46:47], -v[42:43]
	v_mul_f64_e32 v[38:39], v[38:39], v[48:49]
	v_add_f64_e32 v[52:53], v[52:53], v[42:43]
	s_delay_alu instid0(VALU_DEP_2) | instskip(NEXT) | instid1(VALU_DEP_1)
	v_fma_f64 v[38:39], v[40:41], v[46:47], v[38:39]
	v_add_f64_e32 v[50:51], v[38:39], v[50:51]
	ds_load_b128 v[38:41], v59 offset:80
	ds_load_b128 v[42:45], v60 offset:2560
	s_wait_dscnt 0x0
	v_mul_f64_e32 v[46:47], v[40:41], v[44:45]
	v_mul_f64_e32 v[48:49], v[38:39], v[44:45]
	s_delay_alu instid0(VALU_DEP_2) | instskip(NEXT) | instid1(VALU_DEP_2)
	v_fma_f64 v[46:47], v[38:39], v[42:43], -v[46:47]
	v_fma_f64 v[48:49], v[40:41], v[42:43], v[48:49]
	s_delay_alu instid0(VALU_DEP_2) | instskip(NEXT) | instid1(VALU_DEP_2)
	v_add_f64_e32 v[2:3], v[2:3], v[46:47]
	v_add_f64_e32 v[75:76], v[48:49], v[75:76]
	ds_load_b128 v[46:49], v60 offset:2816
	s_wait_dscnt 0x0
	v_mul_f64_e32 v[77:78], v[40:41], v[48:49]
	s_delay_alu instid0(VALU_DEP_1) | instskip(SKIP_1) | instid1(VALU_DEP_2)
	v_fma_f64 v[77:78], v[38:39], v[46:47], -v[77:78]
	v_mul_f64_e32 v[38:39], v[38:39], v[48:49]
	v_add_f64_e32 v[56:57], v[56:57], v[77:78]
	s_delay_alu instid0(VALU_DEP_2) | instskip(NEXT) | instid1(VALU_DEP_1)
	v_fma_f64 v[38:39], v[40:41], v[46:47], v[38:39]
	v_add_f64_e32 v[54:55], v[38:39], v[54:55]
	ds_load_b128 v[38:41], v59 offset:8272
	s_wait_dscnt 0x0
	v_mul_f64_e32 v[77:78], v[40:41], v[44:45]
	v_mul_f64_e32 v[44:45], v[38:39], v[44:45]
	s_delay_alu instid0(VALU_DEP_2) | instskip(NEXT) | instid1(VALU_DEP_2)
	v_fma_f64 v[77:78], v[38:39], v[42:43], -v[77:78]
	v_fma_f64 v[42:43], v[40:41], v[42:43], v[44:45]
	s_delay_alu instid0(VALU_DEP_2) | instskip(NEXT) | instid1(VALU_DEP_2)
	v_add_f64_e32 v[71:72], v[71:72], v[77:78]
	v_add_f64_e32 v[73:74], v[42:43], v[73:74]
	v_mul_f64_e32 v[42:43], v[40:41], v[48:49]
	s_delay_alu instid0(VALU_DEP_1) | instskip(SKIP_1) | instid1(VALU_DEP_2)
	v_fma_f64 v[42:43], v[38:39], v[46:47], -v[42:43]
	v_mul_f64_e32 v[38:39], v[38:39], v[48:49]
	v_add_f64_e32 v[52:53], v[52:53], v[42:43]
	s_delay_alu instid0(VALU_DEP_2) | instskip(NEXT) | instid1(VALU_DEP_1)
	v_fma_f64 v[38:39], v[40:41], v[46:47], v[38:39]
	;; [unrolled: 39-line block ×26, first 2 shown]
	v_add_f64_e32 v[50:51], v[38:39], v[50:51]
	ds_load_b128 v[38:41], v59 offset:480
	ds_load_b128 v[42:45], v60 offset:15360
	s_wait_dscnt 0x0
	v_mul_f64_e32 v[46:47], v[40:41], v[44:45]
	v_mul_f64_e32 v[48:49], v[38:39], v[44:45]
	s_delay_alu instid0(VALU_DEP_2) | instskip(NEXT) | instid1(VALU_DEP_2)
	v_fma_f64 v[46:47], v[38:39], v[42:43], -v[46:47]
	v_fma_f64 v[48:49], v[40:41], v[42:43], v[48:49]
	s_delay_alu instid0(VALU_DEP_2) | instskip(NEXT) | instid1(VALU_DEP_2)
	v_add_f64_e32 v[77:78], v[2:3], v[46:47]
	v_add_f64_e32 v[75:76], v[48:49], v[75:76]
	ds_load_b128 v[46:49], v60 offset:15616
	s_wait_dscnt 0x0
	v_mul_f64_e32 v[2:3], v[40:41], v[48:49]
	s_delay_alu instid0(VALU_DEP_1) | instskip(SKIP_1) | instid1(VALU_DEP_2)
	v_fma_f64 v[2:3], v[38:39], v[46:47], -v[2:3]
	v_mul_f64_e32 v[38:39], v[38:39], v[48:49]
	v_add_f64_e32 v[56:57], v[56:57], v[2:3]
	s_delay_alu instid0(VALU_DEP_2) | instskip(NEXT) | instid1(VALU_DEP_1)
	v_fma_f64 v[38:39], v[40:41], v[46:47], v[38:39]
	v_add_f64_e32 v[79:80], v[38:39], v[54:55]
	ds_load_b128 v[38:41], v59 offset:8672
	s_wait_dscnt 0x0
	v_mul_f64_e32 v[2:3], v[40:41], v[44:45]
	v_mul_f64_e32 v[44:45], v[38:39], v[44:45]
	s_delay_alu instid0(VALU_DEP_2) | instskip(NEXT) | instid1(VALU_DEP_2)
	v_fma_f64 v[2:3], v[38:39], v[42:43], -v[2:3]
	v_fma_f64 v[42:43], v[40:41], v[42:43], v[44:45]
	s_delay_alu instid0(VALU_DEP_2) | instskip(SKIP_1) | instid1(VALU_DEP_3)
	v_add_f64_e32 v[81:82], v[71:72], v[2:3]
	v_mul_f64_e32 v[2:3], v[40:41], v[48:49]
	v_add_f64_e32 v[83:84], v[42:43], v[73:74]
	s_delay_alu instid0(VALU_DEP_2) | instskip(SKIP_1) | instid1(VALU_DEP_2)
	v_fma_f64 v[2:3], v[38:39], v[46:47], -v[2:3]
	v_mul_f64_e32 v[38:39], v[38:39], v[48:49]
	v_add_f64_e32 v[2:3], v[52:53], v[2:3]
	s_delay_alu instid0(VALU_DEP_2) | instskip(NEXT) | instid1(VALU_DEP_1)
	v_fma_f64 v[38:39], v[40:41], v[46:47], v[38:39]
	v_add_f64_e32 v[50:51], v[38:39], v[50:51]
	ds_load_b128 v[38:41], v59 offset:496
	ds_load_b128 v[42:45], v60 offset:15872
	;; [unrolled: 1-line block ×3, first 2 shown]
	s_wait_dscnt 0x1
	v_mul_f64_e32 v[46:47], v[40:41], v[44:45]
	s_wait_dscnt 0x0
	v_mul_f64_e32 v[71:72], v[40:41], v[54:55]
	v_mul_f64_e32 v[48:49], v[38:39], v[44:45]
	s_delay_alu instid0(VALU_DEP_3) | instskip(NEXT) | instid1(VALU_DEP_3)
	v_fma_f64 v[46:47], v[38:39], v[42:43], -v[46:47]
	v_fma_f64 v[71:72], v[38:39], v[52:53], -v[71:72]
	v_mul_f64_e32 v[38:39], v[38:39], v[54:55]
	s_delay_alu instid0(VALU_DEP_4) | instskip(NEXT) | instid1(VALU_DEP_4)
	v_fma_f64 v[48:49], v[40:41], v[42:43], v[48:49]
	v_add_f64_e32 v[46:47], v[77:78], v[46:47]
	s_delay_alu instid0(VALU_DEP_3)
	v_fma_f64 v[40:41], v[40:41], v[52:53], v[38:39]
	v_add_f64_e32 v[38:39], v[56:57], v[71:72]
	ds_load_b128 v[71:74], v59 offset:8688
	v_add_f64_e32 v[48:49], v[48:49], v[75:76]
	s_wait_loadcnt_dscnt 0x0
	s_barrier_signal -1
	s_barrier_wait -1
	global_inv scope:SCOPE_SE
	v_mul_f64_e32 v[56:57], v[73:74], v[44:45]
	v_mul_f64_e32 v[44:45], v[71:72], v[44:45]
	v_add_f64_e32 v[40:41], v[40:41], v[79:80]
	s_delay_alu instid0(VALU_DEP_3) | instskip(NEXT) | instid1(VALU_DEP_3)
	v_fma_f64 v[56:57], v[71:72], v[42:43], -v[56:57]
	v_fma_f64 v[44:45], v[73:74], v[42:43], v[44:45]
	s_delay_alu instid0(VALU_DEP_2) | instskip(SKIP_2) | instid1(VALU_DEP_4)
	v_add_f64_e32 v[42:43], v[81:82], v[56:57]
	v_mul_f64_e32 v[56:57], v[73:74], v[54:55]
	v_mul_f64_e32 v[54:55], v[71:72], v[54:55]
	v_add_f64_e32 v[44:45], v[44:45], v[83:84]
	s_delay_alu instid0(VALU_DEP_3) | instskip(NEXT) | instid1(VALU_DEP_3)
	v_fma_f64 v[56:57], v[71:72], v[52:53], -v[56:57]
	v_fma_f64 v[54:55], v[73:74], v[52:53], v[54:55]
	s_delay_alu instid0(VALU_DEP_2) | instskip(NEXT) | instid1(VALU_DEP_2)
	v_add_f64_e32 v[52:53], v[2:3], v[56:57]
	v_add_f64_e32 v[50:51], v[54:55], v[50:51]
	s_cbranch_scc1 .LBB127_59
.LBB127_10:                             ;   Parent Loop BB127_4 Depth=1
                                        ;     Parent Loop BB127_7 Depth=2
                                        ; =>    This Inner Loop Header: Depth=3
	s_wait_alu 0xfffe
	v_add_co_u32 v54, s5, v14, s58
	s_wait_alu 0xf1ff
	v_add_co_ci_u32_e64 v55, null, s59, v15, s5
	v_cmp_eq_u64_e64 s7, s[58:59], v[20:21]
	v_add_co_u32 v56, s8, v26, v18
	s_delay_alu instid0(VALU_DEP_3)
	v_cmp_lt_i64_e64 s5, v[54:55], v[16:17]
	v_cmp_le_i64_e64 s6, s[46:47], v[54:55]
	s_wait_alu 0xf1ff
	v_add_co_ci_u32_e64 v57, null, v27, v19, s8
	s_and_b32 s68, s62, s7
	s_or_b32 s8, vcc_lo, s5
	s_wait_alu 0xfffe
	s_or_b32 s7, s6, s8
	s_wait_alu 0xfffe
	s_nor_b32 s7, s7, s68
	s_wait_alu 0xfffe
	s_and_saveexec_b32 s8, s7
	s_wait_alu 0xfffe
	s_xor_b32 s7, exec_lo, s8
	s_cbranch_execz .LBB127_12
; %bb.11:                               ;   in Loop: Header=BB127_10 Depth=3
	global_load_b128 v[71:74], v[56:57], off offset:-256
	s_wait_loadcnt 0x0
	ds_store_2addr_b64 v61, v[71:72], v[73:74] offset1:1
.LBB127_12:                             ;   in Loop: Header=BB127_10 Depth=3
	s_wait_alu 0xfffe
	s_or_saveexec_b32 s7, s7
	s_xor_b32 s67, s68, -1
	s_wait_alu 0xfffe
	s_xor_b32 exec_lo, exec_lo, s7
	s_cbranch_execz .LBB127_18
; %bb.13:                               ;   in Loop: Header=BB127_10 Depth=3
	s_and_saveexec_b32 s8, s67
	s_wait_alu 0xfffe
	s_xor_b32 s8, exec_lo, s8
; %bb.14:                               ;   in Loop: Header=BB127_10 Depth=3
	v_dual_mov_b32 v71, v0 :: v_dual_mov_b32 v72, v0
	v_dual_mov_b32 v73, v0 :: v_dual_mov_b32 v74, v0
	ds_store_b128 v61, v[71:74]
; %bb.15:                               ;   in Loop: Header=BB127_10 Depth=3
	s_wait_alu 0xfffe
	s_and_not1_saveexec_b32 s8, s8
; %bb.16:                               ;   in Loop: Header=BB127_10 Depth=3
	v_dual_mov_b32 v2, v0 :: v_dual_mov_b32 v3, v0
	ds_store_b128 v61, v[0:3]
; %bb.17:                               ;   in Loop: Header=BB127_10 Depth=3
	s_wait_alu 0xfffe
	s_or_b32 exec_lo, exec_lo, s8
.LBB127_18:                             ;   in Loop: Header=BB127_10 Depth=3
	s_delay_alu instid0(SALU_CYCLE_1) | instskip(SKIP_4) | instid1(VALU_DEP_2)
	s_or_b32 exec_lo, exec_lo, s7
	v_add_co_u32 v2, s7, v54, 16
	s_wait_alu 0xf1ff
	v_add_co_ci_u32_e64 v3, null, 0, v55, s7
	v_cmp_eq_u64_e64 s9, s[58:59], v[34:35]
	v_cmp_lt_i64_e64 s8, v[2:3], v[16:17]
	v_cmp_le_i64_e64 s7, s[46:47], v[2:3]
	s_and_b32 s9, s62, s9
	s_or_b32 s8, vcc_lo, s8
	s_wait_alu 0xfffe
	s_or_b32 s8, s7, s8
	s_wait_alu 0xfffe
	s_nor_b32 s8, s8, s9
	s_wait_alu 0xfffe
	s_and_saveexec_b32 s69, s8
	s_delay_alu instid0(SALU_CYCLE_1)
	s_xor_b32 s69, exec_lo, s69
	s_cbranch_execz .LBB127_20
; %bb.19:                               ;   in Loop: Header=BB127_10 Depth=3
	v_add_co_u32 v2, s8, v28, v18
	s_wait_alu 0xf1ff
	v_add_co_ci_u32_e64 v3, null, v29, v19, s8
	global_load_b128 v[71:74], v[2:3], off
	s_wait_loadcnt 0x0
	ds_store_2addr_b64 v63, v[71:72], v[73:74] offset1:1
.LBB127_20:                             ;   in Loop: Header=BB127_10 Depth=3
	s_and_not1_saveexec_b32 s8, s69
	s_cbranch_execz .LBB127_26
; %bb.21:                               ;   in Loop: Header=BB127_10 Depth=3
	s_xor_b32 s9, s9, -1
	s_wait_alu 0xfffe
	s_and_saveexec_b32 s69, s9
	s_delay_alu instid0(SALU_CYCLE_1)
	s_xor_b32 s9, exec_lo, s69
; %bb.22:                               ;   in Loop: Header=BB127_10 Depth=3
	v_dual_mov_b32 v71, v0 :: v_dual_mov_b32 v72, v0
	v_dual_mov_b32 v73, v0 :: v_dual_mov_b32 v74, v0
	ds_store_b128 v61, v[71:74] offset:256
; %bb.23:                               ;   in Loop: Header=BB127_10 Depth=3
	s_wait_alu 0xfffe
	s_and_not1_saveexec_b32 s9, s9
; %bb.24:                               ;   in Loop: Header=BB127_10 Depth=3
	v_dual_mov_b32 v2, v0 :: v_dual_mov_b32 v3, v0
	ds_store_b128 v61, v[0:3] offset:256
; %bb.25:                               ;   in Loop: Header=BB127_10 Depth=3
	s_wait_alu 0xfffe
	s_or_b32 exec_lo, exec_lo, s9
.LBB127_26:                             ;   in Loop: Header=BB127_10 Depth=3
	s_wait_alu 0xfffe
	s_or_b32 exec_lo, exec_lo, s8
	v_cmp_eq_u64_e64 s8, s[58:59], v[32:33]
	v_cmp_lt_i64_e64 s9, v[54:55], v[30:31]
	s_and_b32 s8, s62, s8
	s_or_b32 s9, s4, s9
	s_wait_alu 0xfffe
	s_or_b32 s9, s9, s8
	s_wait_alu 0xfffe
	s_nor_b32 s6, s6, s9
	s_wait_alu 0xfffe
	s_and_saveexec_b32 s9, s6
	s_wait_alu 0xfffe
	s_xor_b32 s6, exec_lo, s9
	s_cbranch_execz .LBB127_28
; %bb.27:                               ;   in Loop: Header=BB127_10 Depth=3
	global_load_b128 v[54:57], v[56:57], off
	s_wait_loadcnt 0x0
	ds_store_2addr_b64 v64, v[54:55], v[56:57] offset1:1
.LBB127_28:                             ;   in Loop: Header=BB127_10 Depth=3
	s_wait_alu 0xfffe
	s_and_not1_saveexec_b32 s6, s6
	s_cbranch_execz .LBB127_34
; %bb.29:                               ;   in Loop: Header=BB127_10 Depth=3
	s_xor_b32 s8, s8, -1
	s_wait_alu 0xfffe
	s_and_saveexec_b32 s9, s8
	s_wait_alu 0xfffe
	s_xor_b32 s8, exec_lo, s9
; %bb.30:                               ;   in Loop: Header=BB127_10 Depth=3
	v_dual_mov_b32 v54, v0 :: v_dual_mov_b32 v55, v0
	v_dual_mov_b32 v56, v0 :: v_dual_mov_b32 v57, v0
	ds_store_b128 v61, v[54:57] offset:8192
; %bb.31:                               ;   in Loop: Header=BB127_10 Depth=3
	s_wait_alu 0xfffe
	s_and_not1_saveexec_b32 s8, s8
; %bb.32:                               ;   in Loop: Header=BB127_10 Depth=3
	v_dual_mov_b32 v2, v0 :: v_dual_mov_b32 v3, v0
	ds_store_b128 v61, v[0:3] offset:8192
; %bb.33:                               ;   in Loop: Header=BB127_10 Depth=3
	s_wait_alu 0xfffe
	s_or_b32 exec_lo, exec_lo, s8
.LBB127_34:                             ;   in Loop: Header=BB127_10 Depth=3
	s_wait_alu 0xfffe
	s_or_b32 exec_lo, exec_lo, s6
	s_or_b32 s5, s4, s5
	s_wait_alu 0xfffe
	s_or_b32 s5, s7, s5
	s_wait_alu 0xfffe
	s_nor_b32 s5, s5, s68
	s_wait_alu 0xfffe
	s_and_saveexec_b32 s6, s5
	s_wait_alu 0xfffe
	s_xor_b32 s6, exec_lo, s6
	s_cbranch_execz .LBB127_36
; %bb.35:                               ;   in Loop: Header=BB127_10 Depth=3
	v_add_co_u32 v2, s5, v28, v18
	s_wait_alu 0xf1ff
	v_add_co_ci_u32_e64 v3, null, v29, v19, s5
	global_load_b128 v[54:57], v[2:3], off offset:256
	s_wait_loadcnt 0x0
	ds_store_2addr_b64 v65, v[54:55], v[56:57] offset1:1
.LBB127_36:                             ;   in Loop: Header=BB127_10 Depth=3
	s_wait_alu 0xfffe
	s_and_not1_saveexec_b32 s5, s6
	s_cbranch_execz .LBB127_42
; %bb.37:                               ;   in Loop: Header=BB127_10 Depth=3
	s_and_saveexec_b32 s6, s67
	s_wait_alu 0xfffe
	s_xor_b32 s6, exec_lo, s6
; %bb.38:                               ;   in Loop: Header=BB127_10 Depth=3
	v_dual_mov_b32 v54, v0 :: v_dual_mov_b32 v55, v0
	v_dual_mov_b32 v56, v0 :: v_dual_mov_b32 v57, v0
	ds_store_b128 v61, v[54:57] offset:8448
; %bb.39:                               ;   in Loop: Header=BB127_10 Depth=3
	s_wait_alu 0xfffe
	s_and_not1_saveexec_b32 s6, s6
; %bb.40:                               ;   in Loop: Header=BB127_10 Depth=3
	v_dual_mov_b32 v2, v0 :: v_dual_mov_b32 v3, v0
	ds_store_b128 v61, v[0:3] offset:8448
; %bb.41:                               ;   in Loop: Header=BB127_10 Depth=3
	s_wait_alu 0xfffe
	s_or_b32 exec_lo, exec_lo, s6
.LBB127_42:                             ;   in Loop: Header=BB127_10 Depth=3
	s_wait_alu 0xfffe
	s_or_b32 exec_lo, exec_lo, s5
	v_add_co_u32 v2, s5, v12, s58
	s_wait_alu 0xf1ff
	v_add_co_ci_u32_e64 v3, null, s59, v13, s5
	v_add_co_u32 v54, s6, v36, v22
	s_wait_alu 0xf1ff
	v_add_co_ci_u32_e64 v55, null, v37, v23, s6
	s_delay_alu instid0(VALU_DEP_3)
	v_cmp_le_i64_e64 s5, s[46:47], v[2:3]
	s_nor_b32 s6, s5, s0
	s_wait_alu 0xfffe
	s_and_saveexec_b32 s7, s6
	s_wait_alu 0xfffe
	s_xor_b32 s6, exec_lo, s7
	s_cbranch_execz .LBB127_44
; %bb.43:                               ;   in Loop: Header=BB127_10 Depth=3
	global_load_b128 v[71:74], v[54:55], off offset:-256
	s_wait_loadcnt 0x0
	ds_store_2addr_b64 v62, v[71:72], v[73:74] offset1:1
.LBB127_44:                             ;   in Loop: Header=BB127_10 Depth=3
	s_wait_alu 0xfffe
	s_and_not1_saveexec_b32 s6, s6
; %bb.45:                               ;   in Loop: Header=BB127_10 Depth=3
	v_dual_mov_b32 v71, v0 :: v_dual_mov_b32 v72, v0
	v_dual_mov_b32 v73, v0 :: v_dual_mov_b32 v74, v0
	ds_store_b128 v62, v[71:74]
; %bb.46:                               ;   in Loop: Header=BB127_10 Depth=3
	s_wait_alu 0xfffe
	s_or_b32 exec_lo, exec_lo, s6
	s_nor_b32 s5, s5, s1
	s_wait_alu 0xfffe
	s_and_saveexec_b32 s6, s5
	s_wait_alu 0xfffe
	s_xor_b32 s5, exec_lo, s6
	s_cbranch_execz .LBB127_48
; %bb.47:                               ;   in Loop: Header=BB127_10 Depth=3
	global_load_b128 v[54:57], v[54:55], off
	s_wait_loadcnt 0x0
	ds_store_2addr_b64 v66, v[54:55], v[56:57] offset1:1
.LBB127_48:                             ;   in Loop: Header=BB127_10 Depth=3
	s_wait_alu 0xfffe
	s_and_not1_saveexec_b32 s5, s5
; %bb.49:                               ;   in Loop: Header=BB127_10 Depth=3
	v_dual_mov_b32 v54, v0 :: v_dual_mov_b32 v55, v0
	v_dual_mov_b32 v56, v0 :: v_dual_mov_b32 v57, v0
	ds_store_b128 v62, v[54:57] offset:256
; %bb.50:                               ;   in Loop: Header=BB127_10 Depth=3
	s_wait_alu 0xfffe
	s_or_b32 exec_lo, exec_lo, s5
	v_cmp_le_i64_e64 s5, s[50:51], v[2:3]
	v_add_co_u32 v2, s6, v36, v24
	s_wait_alu 0xf1ff
	v_add_co_ci_u32_e64 v3, null, v37, v25, s6
	s_nor_b32 s6, s5, s0
	s_wait_alu 0xfffe
	s_and_saveexec_b32 s7, s6
	s_wait_alu 0xfffe
	s_xor_b32 s6, exec_lo, s7
	s_cbranch_execz .LBB127_52
; %bb.51:                               ;   in Loop: Header=BB127_10 Depth=3
	global_load_b128 v[54:57], v[2:3], off offset:-256
	s_wait_loadcnt 0x0
	ds_store_2addr_b64 v67, v[54:55], v[56:57] offset1:1
.LBB127_52:                             ;   in Loop: Header=BB127_10 Depth=3
	s_wait_alu 0xfffe
	s_and_not1_saveexec_b32 s6, s6
; %bb.53:                               ;   in Loop: Header=BB127_10 Depth=3
	v_dual_mov_b32 v54, v0 :: v_dual_mov_b32 v55, v0
	v_dual_mov_b32 v56, v0 :: v_dual_mov_b32 v57, v0
	ds_store_b128 v62, v[54:57] offset:8192
; %bb.54:                               ;   in Loop: Header=BB127_10 Depth=3
	s_wait_alu 0xfffe
	s_or_b32 exec_lo, exec_lo, s6
	s_nor_b32 s5, s5, s1
	s_wait_alu 0xfffe
	s_and_saveexec_b32 s6, s5
	s_wait_alu 0xfffe
	s_xor_b32 s5, exec_lo, s6
	s_cbranch_execz .LBB127_56
; %bb.55:                               ;   in Loop: Header=BB127_10 Depth=3
	global_load_b128 v[54:57], v[2:3], off
	s_wait_loadcnt 0x0
	ds_store_2addr_b64 v68, v[54:55], v[56:57] offset1:1
.LBB127_56:                             ;   in Loop: Header=BB127_10 Depth=3
	s_wait_alu 0xfffe
	s_and_not1_saveexec_b32 s5, s5
	s_cbranch_execz .LBB127_9
; %bb.57:                               ;   in Loop: Header=BB127_10 Depth=3
	v_dual_mov_b32 v54, v0 :: v_dual_mov_b32 v55, v0
	v_dual_mov_b32 v56, v0 :: v_dual_mov_b32 v57, v0
	ds_store_b128 v62, v[54:57] offset:8448
	s_branch .LBB127_9
.LBB127_58:                             ;   in Loop: Header=BB127_7 Depth=2
	v_mov_b32_e32 v46, 0
	v_mov_b32_e32 v38, 0
	;; [unrolled: 1-line block ×3, first 2 shown]
	v_dual_mov_b32 v52, 0 :: v_dual_mov_b32 v47, 0
	v_dual_mov_b32 v48, 0 :: v_dual_mov_b32 v39, 0
	;; [unrolled: 1-line block ×5, first 2 shown]
	v_mov_b32_e32 v41, 0
	v_mov_b32_e32 v45, 0
	;; [unrolled: 1-line block ×3, first 2 shown]
.LBB127_59:                             ;   in Loop: Header=BB127_7 Depth=2
	v_mul_lo_u32 v13, s29, v16
	v_mul_lo_u32 v15, s28, v17
	v_mad_co_u64_u32 v[2:3], null, s28, v16, 0
	v_cmp_gt_i32_e32 vcc_lo, s42, v16
	s_delay_alu instid0(VALU_DEP_2) | instskip(NEXT) | instid1(VALU_DEP_1)
	v_add3_u32 v3, v3, v15, v13
	v_lshlrev_b64_e32 v[2:3], 4, v[2:3]
	s_delay_alu instid0(VALU_DEP_1) | instskip(SKIP_1) | instid1(VALU_DEP_2)
	v_add_co_u32 v2, s4, s52, v2
	s_wait_alu 0xf1ff
	v_add_co_ci_u32_e64 v3, null, s53, v3, s4
	s_and_b32 s4, s2, vcc_lo
	s_wait_alu 0xfffe
	s_and_saveexec_b32 s5, s4
	s_cbranch_execz .LBB127_61
; %bb.60:                               ;   in Loop: Header=BB127_7 Depth=2
	v_add_co_u32 v21, s4, v2, v6
	s_wait_alu 0xf1ff
	v_add_co_ci_u32_e64 v22, null, v3, v7, s4
	v_mul_f64_e32 v[23:24], s[38:39], v[48:49]
	v_mul_f64_e32 v[25:26], s[36:37], v[48:49]
	global_load_b128 v[17:20], v[21:22], off
	v_fma_f64 v[23:24], s[36:37], v[46:47], -v[23:24]
	v_fma_f64 v[25:26], s[38:39], v[46:47], v[25:26]
	s_wait_loadcnt 0x0
	s_delay_alu instid0(VALU_DEP_2) | instskip(NEXT) | instid1(VALU_DEP_2)
	v_add_f64_e32 v[17:18], v[17:18], v[23:24]
	v_add_f64_e32 v[19:20], v[25:26], v[19:20]
	global_store_b128 v[21:22], v[17:20], off
.LBB127_61:                             ;   in Loop: Header=BB127_7 Depth=2
	s_wait_alu 0xfffe
	s_or_b32 exec_lo, exec_lo, s5
	s_and_b32 s5, s3, vcc_lo
	s_wait_alu 0xfffe
	s_and_saveexec_b32 s4, s5
	s_cbranch_execz .LBB127_63
; %bb.62:                               ;   in Loop: Header=BB127_7 Depth=2
	v_lshlrev_b64_e32 v[17:18], 4, v[4:5]
	v_mul_f64_e32 v[21:22], s[38:39], v[40:41]
	v_mul_f64_e32 v[23:24], s[36:37], v[40:41]
	s_delay_alu instid0(VALU_DEP_3) | instskip(SKIP_1) | instid1(VALU_DEP_4)
	v_add_co_u32 v2, vcc_lo, v2, v17
	s_wait_alu 0xfffd
	v_add_co_ci_u32_e64 v3, null, v3, v18, vcc_lo
	global_load_b128 v[17:20], v[2:3], off
	v_fma_f64 v[21:22], s[36:37], v[38:39], -v[21:22]
	v_fma_f64 v[23:24], s[38:39], v[38:39], v[23:24]
	s_wait_loadcnt 0x0
	s_delay_alu instid0(VALU_DEP_2) | instskip(NEXT) | instid1(VALU_DEP_2)
	v_add_f64_e32 v[17:18], v[17:18], v[21:22]
	v_add_f64_e32 v[19:20], v[23:24], v[19:20]
	global_store_b128 v[2:3], v[17:20], off
.LBB127_63:                             ;   in Loop: Header=BB127_7 Depth=2
	s_wait_alu 0xfffe
	s_or_b32 exec_lo, exec_lo, s4
	v_add_nc_u32_e32 v13, 16, v16
	s_delay_alu instid0(VALU_DEP_1) | instskip(SKIP_3) | instid1(VALU_DEP_4)
	v_ashrrev_i32_e32 v15, 31, v13
	v_mul_lo_u32 v16, s29, v13
	v_mad_co_u64_u32 v[2:3], null, s28, v13, 0
	v_cmp_gt_i32_e32 vcc_lo, s42, v13
	v_mul_lo_u32 v15, s28, v15
	s_delay_alu instid0(VALU_DEP_1) | instskip(NEXT) | instid1(VALU_DEP_1)
	v_add3_u32 v3, v3, v15, v16
	v_lshlrev_b64_e32 v[2:3], 4, v[2:3]
	s_delay_alu instid0(VALU_DEP_1) | instskip(SKIP_1) | instid1(VALU_DEP_2)
	v_add_co_u32 v2, s4, s52, v2
	s_wait_alu 0xf1ff
	v_add_co_ci_u32_e64 v3, null, s53, v3, s4
	s_and_b32 s4, s2, vcc_lo
	s_wait_alu 0xfffe
	s_and_saveexec_b32 s5, s4
	s_cbranch_execz .LBB127_65
; %bb.64:                               ;   in Loop: Header=BB127_7 Depth=2
	v_add_co_u32 v19, s4, v2, v6
	s_wait_alu 0xf1ff
	v_add_co_ci_u32_e64 v20, null, v3, v7, s4
	v_mul_f64_e32 v[21:22], s[38:39], v[44:45]
	v_mul_f64_e32 v[23:24], s[36:37], v[44:45]
	global_load_b128 v[15:18], v[19:20], off
	v_fma_f64 v[21:22], s[36:37], v[42:43], -v[21:22]
	v_fma_f64 v[23:24], s[38:39], v[42:43], v[23:24]
	s_wait_loadcnt 0x0
	s_delay_alu instid0(VALU_DEP_2) | instskip(NEXT) | instid1(VALU_DEP_2)
	v_add_f64_e32 v[15:16], v[15:16], v[21:22]
	v_add_f64_e32 v[17:18], v[23:24], v[17:18]
	global_store_b128 v[19:20], v[15:18], off
.LBB127_65:                             ;   in Loop: Header=BB127_7 Depth=2
	s_wait_alu 0xfffe
	s_or_b32 exec_lo, exec_lo, s5
	s_and_b32 s5, s3, vcc_lo
	s_wait_alu 0xfffe
	s_and_saveexec_b32 s4, s5
	s_cbranch_execz .LBB127_6
; %bb.66:                               ;   in Loop: Header=BB127_7 Depth=2
	v_lshlrev_b64_e32 v[15:16], 4, v[4:5]
	v_mul_f64_e32 v[19:20], s[38:39], v[50:51]
	v_mul_f64_e32 v[21:22], s[36:37], v[50:51]
	s_delay_alu instid0(VALU_DEP_3) | instskip(SKIP_1) | instid1(VALU_DEP_4)
	v_add_co_u32 v2, vcc_lo, v2, v15
	s_wait_alu 0xfffd
	v_add_co_ci_u32_e64 v3, null, v3, v16, vcc_lo
	global_load_b128 v[15:18], v[2:3], off
	v_fma_f64 v[19:20], s[36:37], v[52:53], -v[19:20]
	v_fma_f64 v[21:22], s[38:39], v[52:53], v[21:22]
	s_wait_loadcnt 0x0
	s_delay_alu instid0(VALU_DEP_2) | instskip(NEXT) | instid1(VALU_DEP_2)
	v_add_f64_e32 v[15:16], v[15:16], v[19:20]
	v_add_f64_e32 v[17:18], v[21:22], v[17:18]
	global_store_b128 v[2:3], v[15:18], off
	s_branch .LBB127_6
.LBB127_67:
	s_endpgm
	.section	.rodata,"a",@progbits
	.p2align	6, 0x0
	.amdhsa_kernel _ZL30rocblas_trmm_outofplace_kernelI19rocblas_complex_numIdELi32ELi2ELb0ELb1ELb1ELb0ES1_KS1_S1_Ev17rocblas_diagonal_iiT6_lPT7_lllS6_lllPT8_llli
		.amdhsa_group_segment_fixed_size 32768
		.amdhsa_private_segment_fixed_size 0
		.amdhsa_kernarg_size 400
		.amdhsa_user_sgpr_count 2
		.amdhsa_user_sgpr_dispatch_ptr 0
		.amdhsa_user_sgpr_queue_ptr 0
		.amdhsa_user_sgpr_kernarg_segment_ptr 1
		.amdhsa_user_sgpr_dispatch_id 0
		.amdhsa_user_sgpr_private_segment_size 0
		.amdhsa_wavefront_size32 1
		.amdhsa_uses_dynamic_stack 0
		.amdhsa_enable_private_segment 0
		.amdhsa_system_sgpr_workgroup_id_x 1
		.amdhsa_system_sgpr_workgroup_id_y 1
		.amdhsa_system_sgpr_workgroup_id_z 1
		.amdhsa_system_sgpr_workgroup_info 0
		.amdhsa_system_vgpr_workitem_id 1
		.amdhsa_next_free_vgpr 91
		.amdhsa_next_free_sgpr 70
		.amdhsa_reserve_vcc 1
		.amdhsa_float_round_mode_32 0
		.amdhsa_float_round_mode_16_64 0
		.amdhsa_float_denorm_mode_32 3
		.amdhsa_float_denorm_mode_16_64 3
		.amdhsa_fp16_overflow 0
		.amdhsa_workgroup_processor_mode 1
		.amdhsa_memory_ordered 1
		.amdhsa_forward_progress 1
		.amdhsa_inst_pref_size 76
		.amdhsa_round_robin_scheduling 0
		.amdhsa_exception_fp_ieee_invalid_op 0
		.amdhsa_exception_fp_denorm_src 0
		.amdhsa_exception_fp_ieee_div_zero 0
		.amdhsa_exception_fp_ieee_overflow 0
		.amdhsa_exception_fp_ieee_underflow 0
		.amdhsa_exception_fp_ieee_inexact 0
		.amdhsa_exception_int_div_zero 0
	.end_amdhsa_kernel
	.section	.text._ZL30rocblas_trmm_outofplace_kernelI19rocblas_complex_numIdELi32ELi2ELb0ELb1ELb1ELb0ES1_KS1_S1_Ev17rocblas_diagonal_iiT6_lPT7_lllS6_lllPT8_llli,"axG",@progbits,_ZL30rocblas_trmm_outofplace_kernelI19rocblas_complex_numIdELi32ELi2ELb0ELb1ELb1ELb0ES1_KS1_S1_Ev17rocblas_diagonal_iiT6_lPT7_lllS6_lllPT8_llli,comdat
.Lfunc_end127:
	.size	_ZL30rocblas_trmm_outofplace_kernelI19rocblas_complex_numIdELi32ELi2ELb0ELb1ELb1ELb0ES1_KS1_S1_Ev17rocblas_diagonal_iiT6_lPT7_lllS6_lllPT8_llli, .Lfunc_end127-_ZL30rocblas_trmm_outofplace_kernelI19rocblas_complex_numIdELi32ELi2ELb0ELb1ELb1ELb0ES1_KS1_S1_Ev17rocblas_diagonal_iiT6_lPT7_lllS6_lllPT8_llli
                                        ; -- End function
	.set _ZL30rocblas_trmm_outofplace_kernelI19rocblas_complex_numIdELi32ELi2ELb0ELb1ELb1ELb0ES1_KS1_S1_Ev17rocblas_diagonal_iiT6_lPT7_lllS6_lllPT8_llli.num_vgpr, 91
	.set _ZL30rocblas_trmm_outofplace_kernelI19rocblas_complex_numIdELi32ELi2ELb0ELb1ELb1ELb0ES1_KS1_S1_Ev17rocblas_diagonal_iiT6_lPT7_lllS6_lllPT8_llli.num_agpr, 0
	.set _ZL30rocblas_trmm_outofplace_kernelI19rocblas_complex_numIdELi32ELi2ELb0ELb1ELb1ELb0ES1_KS1_S1_Ev17rocblas_diagonal_iiT6_lPT7_lllS6_lllPT8_llli.numbered_sgpr, 70
	.set _ZL30rocblas_trmm_outofplace_kernelI19rocblas_complex_numIdELi32ELi2ELb0ELb1ELb1ELb0ES1_KS1_S1_Ev17rocblas_diagonal_iiT6_lPT7_lllS6_lllPT8_llli.num_named_barrier, 0
	.set _ZL30rocblas_trmm_outofplace_kernelI19rocblas_complex_numIdELi32ELi2ELb0ELb1ELb1ELb0ES1_KS1_S1_Ev17rocblas_diagonal_iiT6_lPT7_lllS6_lllPT8_llli.private_seg_size, 0
	.set _ZL30rocblas_trmm_outofplace_kernelI19rocblas_complex_numIdELi32ELi2ELb0ELb1ELb1ELb0ES1_KS1_S1_Ev17rocblas_diagonal_iiT6_lPT7_lllS6_lllPT8_llli.uses_vcc, 1
	.set _ZL30rocblas_trmm_outofplace_kernelI19rocblas_complex_numIdELi32ELi2ELb0ELb1ELb1ELb0ES1_KS1_S1_Ev17rocblas_diagonal_iiT6_lPT7_lllS6_lllPT8_llli.uses_flat_scratch, 0
	.set _ZL30rocblas_trmm_outofplace_kernelI19rocblas_complex_numIdELi32ELi2ELb0ELb1ELb1ELb0ES1_KS1_S1_Ev17rocblas_diagonal_iiT6_lPT7_lllS6_lllPT8_llli.has_dyn_sized_stack, 0
	.set _ZL30rocblas_trmm_outofplace_kernelI19rocblas_complex_numIdELi32ELi2ELb0ELb1ELb1ELb0ES1_KS1_S1_Ev17rocblas_diagonal_iiT6_lPT7_lllS6_lllPT8_llli.has_recursion, 0
	.set _ZL30rocblas_trmm_outofplace_kernelI19rocblas_complex_numIdELi32ELi2ELb0ELb1ELb1ELb0ES1_KS1_S1_Ev17rocblas_diagonal_iiT6_lPT7_lllS6_lllPT8_llli.has_indirect_call, 0
	.section	.AMDGPU.csdata,"",@progbits
; Kernel info:
; codeLenInByte = 9604
; TotalNumSgprs: 72
; NumVgprs: 91
; ScratchSize: 0
; MemoryBound: 0
; FloatMode: 240
; IeeeMode: 1
; LDSByteSize: 32768 bytes/workgroup (compile time only)
; SGPRBlocks: 0
; VGPRBlocks: 11
; NumSGPRsForWavesPerEU: 72
; NumVGPRsForWavesPerEU: 91
; Occupancy: 16
; WaveLimiterHint : 0
; COMPUTE_PGM_RSRC2:SCRATCH_EN: 0
; COMPUTE_PGM_RSRC2:USER_SGPR: 2
; COMPUTE_PGM_RSRC2:TRAP_HANDLER: 0
; COMPUTE_PGM_RSRC2:TGID_X_EN: 1
; COMPUTE_PGM_RSRC2:TGID_Y_EN: 1
; COMPUTE_PGM_RSRC2:TGID_Z_EN: 1
; COMPUTE_PGM_RSRC2:TIDIG_COMP_CNT: 1
	.section	.text._ZL30rocblas_trmm_outofplace_kernelI19rocblas_complex_numIdELi32ELi2ELb0ELb0ELb1ELb1EPKS1_S2_S1_Ev17rocblas_diagonal_iiT6_lPT7_lllS7_lllPT8_llli,"axG",@progbits,_ZL30rocblas_trmm_outofplace_kernelI19rocblas_complex_numIdELi32ELi2ELb0ELb0ELb1ELb1EPKS1_S2_S1_Ev17rocblas_diagonal_iiT6_lPT7_lllS7_lllPT8_llli,comdat
	.globl	_ZL30rocblas_trmm_outofplace_kernelI19rocblas_complex_numIdELi32ELi2ELb0ELb0ELb1ELb1EPKS1_S2_S1_Ev17rocblas_diagonal_iiT6_lPT7_lllS7_lllPT8_llli ; -- Begin function _ZL30rocblas_trmm_outofplace_kernelI19rocblas_complex_numIdELi32ELi2ELb0ELb0ELb1ELb1EPKS1_S2_S1_Ev17rocblas_diagonal_iiT6_lPT7_lllS7_lllPT8_llli
	.p2align	8
	.type	_ZL30rocblas_trmm_outofplace_kernelI19rocblas_complex_numIdELi32ELi2ELb0ELb0ELb1ELb1EPKS1_S2_S1_Ev17rocblas_diagonal_iiT6_lPT7_lllS7_lllPT8_llli,@function
_ZL30rocblas_trmm_outofplace_kernelI19rocblas_complex_numIdELi32ELi2ELb0ELb0ELb1ELb1EPKS1_S2_S1_Ev17rocblas_diagonal_iiT6_lPT7_lllS7_lllPT8_llli: ; @_ZL30rocblas_trmm_outofplace_kernelI19rocblas_complex_numIdELi32ELi2ELb0ELb0ELb1ELb1EPKS1_S2_S1_Ev17rocblas_diagonal_iiT6_lPT7_lllS7_lllPT8_llli
; %bb.0:
	s_load_b32 s33, s[0:1], 0x80
	s_lshr_b32 s34, ttmp7, 16
	s_wait_kmcnt 0x0
	s_cmp_ge_u32 s34, s33
	s_cbranch_scc1 .LBB128_67
; %bb.1:
	s_clause 0x1
	s_load_b96 s[36:38], s[0:1], 0x0
	s_load_b256 s[4:11], s[0:1], 0x50
	v_and_b32_e32 v68, 0x3ff, v0
	s_clause 0x1
	s_load_b512 s[12:27], s[0:1], 0x10
	s_load_b128 s[28:31], s[0:1], 0x70
	s_add_nc_u64 s[40:41], s[0:1], 0x88
	v_bfe_u32 v69, v0, 10, 10
	s_and_b32 s39, ttmp7, 0xffff
	v_lshl_add_u32 v1, ttmp9, 5, v68
	s_mov_b32 s35, 0
	v_mov_b32_e32 v0, 0
	v_lshl_add_u32 v18, v69, 4, 0x100
	v_lshl_add_u32 v79, s39, 5, v69
	v_ashrrev_i32_e32 v2, 31, v1
	s_delay_alu instid0(VALU_DEP_1)
	v_lshlrev_b64_e32 v[12:13], 4, v[1:2]
	s_wait_kmcnt 0x0
	s_add_co_i32 s2, s38, -1
	v_mad_co_u64_u32 v[3:4], null, s4, v69, 0
	s_ashr_i32 s0, s2, 31
	v_sub_co_u32 v5, vcc_lo, s37, v1
	s_wait_alu 0xfffe
	s_lshr_b32 s3, s0, 27
	s_lshl_b64 s[0:1], s[10:11], 4
	s_add_co_i32 s2, s2, s3
	s_wait_alu 0xfffe
	s_add_nc_u64 s[42:43], s[8:9], s[0:1]
	s_ashr_i32 s50, s2, 5
	v_mad_co_u64_u32 v[16:17], null, s20, v68, 0
	s_cmp_le_i32 s39, s50
	v_mad_co_u64_u32 v[10:11], null, s4, v18, 0
	s_cselect_b32 s51, -1, 0
	s_cmp_eq_u32 s36, 0x84
	v_lshlrev_b32_e32 v70, 9, v69
	s_cselect_b32 s36, -1, 0
	s_ashr_i32 s0, s37, 31
	v_cmp_gt_i32_e64 s2, s37, v1
	s_wait_alu 0xfffe
	v_sub_co_ci_u32_e64 v6, null, s0, v2, vcc_lo
	s_lshl_b64 s[18:19], s[18:19], 4
	s_mov_b32 s10, s38
	s_add_nc_u64 s[16:17], s[16:17], s[18:19]
	v_cmp_gt_i64_e64 s0, 1, v[5:6]
	v_cmp_gt_i64_e64 s1, 17, v[5:6]
	v_mad_co_u64_u32 v[4:5], null, s5, v69, v[4:5]
	v_add_nc_u32_e32 v5, 16, v1
	v_mov_b32_e32 v1, v11
	s_ashr_i32 s11, s38, 31
	s_lshl_b64 s[44:45], s[20:21], 9
	s_lshl_b64 s[46:47], s[4:5], 9
	s_add_nc_u64 s[48:49], s[10:11], -16
	s_delay_alu instid0(VALU_DEP_3) | instskip(SKIP_3) | instid1(VALU_DEP_1)
	v_lshlrev_b64_e32 v[8:9], 4, v[3:4]
	v_mov_b32_e32 v3, v17
	v_lshlrev_b32_e32 v7, 4, v68
	v_sub_co_u32 v77, s8, 0, v68
	v_sub_co_ci_u32_e64 v78, null, 0, 0, s8
	s_delay_alu instid0(VALU_DEP_3)
	v_or_b32_e32 v71, 0x4000, v7
	v_mad_co_u64_u32 v[3:4], null, s21, v68, v[3:4]
	v_add_nc_u32_e32 v72, v70, v7
	v_add_nc_u32_e32 v7, 0x100, v7
	s_lshl_b64 s[8:9], s[26:27], 4
	v_add_nc_u32_e32 v73, v71, v70
	s_wait_alu 0xfffe
	s_add_nc_u64 s[8:9], s[24:25], s[8:9]
	s_lshl_b64 s[18:19], s[22:23], 4
	v_mad_co_u64_u32 v[14:15], null, s20, v7, s[16:17]
	v_mov_b32_e32 v17, v3
	s_wait_alu 0xfffe
	v_add_co_u32 v11, vcc_lo, s8, v12
	s_wait_alu 0xfffd
	v_add_co_ci_u32_e64 v20, null, s9, v13, vcc_lo
	s_delay_alu instid0(VALU_DEP_4) | instskip(SKIP_2) | instid1(VALU_DEP_3)
	v_dual_mov_b32 v2, v15 :: v_dual_add_nc_u32 v75, 0x2000, v73
	v_ashrrev_i32_e32 v6, 31, v5
	v_cmp_gt_i32_e64 s3, s37, v5
	v_mad_co_u64_u32 v[3:4], null, s5, v18, v[1:2]
	v_lshlrev_b64_e32 v[18:19], 4, v[16:17]
	v_add_co_u32 v16, vcc_lo, 0x100, v11
	s_wait_alu 0xfffd
	v_add_co_ci_u32_e64 v17, null, 0, v20, vcc_lo
	v_lshlrev_b64_e32 v[20:21], 4, v[5:6]
	v_mad_co_u64_u32 v[1:2], null, s21, v7, v[2:3]
	v_add_co_u32 v18, vcc_lo, s16, v18
	v_dual_mov_b32 v11, v3 :: v_dual_add_nc_u32 v74, 0x100, v73
	v_add_nc_u32_e32 v76, 0x2100, v73
	s_wait_alu 0xfffd
	v_add_co_ci_u32_e64 v19, null, s17, v19, vcc_lo
	v_mov_b32_e32 v15, v1
	v_mov_b32_e32 v1, 0x3ff00000
	s_lshl_b64 s[16:17], s[6:7], 4
	s_branch .LBB128_4
.LBB128_2:                              ;   in Loop: Header=BB128_4 Depth=1
	s_add_co_i32 s34, s34, 0x10000
	s_wait_alu 0xfffe
	s_cmp_ge_u32 s34, s33
	s_cselect_b32 s4, -1, 0
.LBB128_3:                              ;   in Loop: Header=BB128_4 Depth=1
	s_wait_alu 0xfffe
	s_and_b32 vcc_lo, exec_lo, s4
	s_wait_alu 0xfffe
	s_cbranch_vccnz .LBB128_67
.LBB128_4:                              ; =>This Loop Header: Depth=1
                                        ;     Child Loop BB128_8 Depth 2
                                        ;       Child Loop BB128_11 Depth 3
	s_mul_u64 s[4:5], s[14:15], s[34:35]
	s_wait_alu 0xfffe
	s_lshl_b64 s[4:5], s[4:5], 4
	s_wait_alu 0xfffe
	s_add_nc_u64 s[4:5], s[12:13], s[4:5]
	global_load_b128 v[4:7], v0, s[4:5]
	s_wait_loadcnt 0x0
	v_cmp_eq_f64_e32 vcc_lo, 0, v[4:5]
	v_cmp_eq_f64_e64 s4, 0, v[6:7]
	s_wait_alu 0xfffe
	s_and_b32 s4, vcc_lo, s4
	s_wait_alu 0xfffe
	s_and_b32 vcc_lo, exec_lo, s4
	s_mov_b32 s4, -1
	s_wait_alu 0xfffe
	s_cbranch_vccnz .LBB128_3
; %bb.5:                                ;   in Loop: Header=BB128_4 Depth=1
	s_and_not1_b32 vcc_lo, exec_lo, s51
	s_wait_alu 0xfffe
	s_cbranch_vccnz .LBB128_2
; %bb.6:                                ;   in Loop: Header=BB128_4 Depth=1
	v_mad_co_u64_u32 v[22:23], null, s16, s34, v[16:17]
	s_load_b32 s24, s[40:41], 0x4
	v_mad_co_u64_u32 v[24:25], null, s18, s34, v[18:19]
	s_mul_i32 s6, s19, s34
	v_mad_co_u64_u32 v[26:27], null, s18, s34, v[14:15]
	v_mov_b32_e32 v2, v23
	s_mul_u64 s[4:5], s[30:31], s[34:35]
	s_wait_alu 0xfffe
	v_dual_mov_b32 v28, v79 :: v_dual_add_nc_u32 v25, s6, v25
	s_lshl_b64 s[4:5], s[4:5], 4
	v_mad_co_u64_u32 v[2:3], null, s17, s34, v[2:3]
	s_delay_alu instid0(VALU_DEP_4) | instskip(SKIP_3) | instid1(VALU_DEP_2)
	v_add_nc_u32_e32 v27, s6, v27
	s_wait_alu 0xfffe
	s_add_nc_u64 s[20:21], s[42:43], s[4:5]
	s_mov_b32 s26, s39
	v_mov_b32_e32 v23, v2
	s_wait_kmcnt 0x0
	s_lshl_b32 s25, s24, 5
	s_branch .LBB128_8
.LBB128_7:                              ;   in Loop: Header=BB128_8 Depth=2
	s_wait_alu 0xfffe
	s_or_b32 exec_lo, exec_lo, s4
	v_add_nc_u32_e32 v28, s25, v28
	s_add_co_i32 s26, s24, s26
	s_wait_alu 0xfffe
	s_cmp_gt_i32 s26, s50
	s_cbranch_scc1 .LBB128_2
.LBB128_8:                              ;   Parent Loop BB128_4 Depth=1
                                        ; =>  This Loop Header: Depth=2
                                        ;       Child Loop BB128_11 Depth 3
	s_wait_alu 0xfffe
	s_lshl_b32 s27, s26, 5
	v_mov_b32_e32 v56, 0
	s_wait_alu 0xfffe
	v_dual_mov_b32 v57, 0 :: v_dual_add_nc_u32 v30, s27, v69
	v_mov_b32_e32 v58, 0
	v_mov_b32_e32 v48, 0
	;; [unrolled: 1-line block ×6, first 2 shown]
	v_dual_mov_b32 v60, 0 :: v_dual_mov_b32 v59, 0
	v_mov_b32_e32 v49, 0
	v_mov_b32_e32 v51, 0
	;; [unrolled: 1-line block ×6, first 2 shown]
	v_ashrrev_i32_e32 v31, 31, v30
	s_cmp_lt_i32 s26, 0
	s_cbranch_scc1 .LBB128_59
; %bb.9:                                ;   in Loop: Header=BB128_8 Depth=2
	v_ashrrev_i32_e32 v29, 31, v28
	v_add_co_u32 v32, vcc_lo, v30, 16
	s_wait_alu 0xfffd
	v_add_co_ci_u32_e64 v33, null, 0, v31, vcc_lo
	v_add_co_u32 v34, vcc_lo, v77, v28
	s_wait_alu 0xfffd
	v_add_co_ci_u32_e64 v35, null, v78, v29, vcc_lo
	v_mov_b32_e32 v62, 0
	s_delay_alu instid0(VALU_DEP_3) | instskip(SKIP_1) | instid1(VALU_DEP_3)
	v_add_co_u32 v38, s5, v34, 16
	s_wait_alu 0xf1ff
	v_add_co_ci_u32_e64 v39, null, 0, v35, s5
	v_add_co_u32 v40, s5, v34, -16
	v_mov_b32_e32 v52, 0
	v_mov_b32_e32 v48, 0
	v_lshlrev_b64_e32 v[36:37], 4, v[28:29]
	v_cmp_le_i64_e64 s4, s[10:11], v[32:33]
	v_dual_mov_b32 v60, 0 :: v_dual_mov_b32 v43, v27
	v_dual_mov_b32 v63, 0 :: v_dual_mov_b32 v54, 0
	;; [unrolled: 1-line block ×5, first 2 shown]
	s_wait_alu 0xf1ff
	v_add_co_ci_u32_e64 v41, null, -1, v35, s5
	v_dual_mov_b32 v61, 0 :: v_dual_mov_b32 v42, v26
	v_dual_mov_b32 v45, v25 :: v_dual_mov_b32 v44, v24
	v_mov_b32_e32 v55, 0
	v_mov_b32_e32 v51, 0
	;; [unrolled: 1-line block ×3, first 2 shown]
	v_dual_mov_b32 v57, 0 :: v_dual_mov_b32 v46, v22
	s_mov_b64 s[22:23], 0
	v_cmp_le_i32_e32 vcc_lo, s38, v30
	s_branch .LBB128_11
.LBB128_10:                             ;   in Loop: Header=BB128_11 Depth=3
	s_wait_alu 0xfffe
	s_or_b32 exec_lo, exec_lo, s5
	s_wait_dscnt 0x0
	s_barrier_signal -1
	s_barrier_wait -1
	global_inv scope:SCOPE_SE
	ds_load_b128 v[64:67], v70
	ds_load_b128 v[80:83], v70 offset:16
	ds_load_b128 v[84:87], v70 offset:32
	ds_load_b128 v[88:91], v70 offset:48
	ds_load_b128 v[92:95], v71
	v_add_co_u32 v46, s5, v46, s46
	s_wait_alu 0xf1ff
	v_add_co_ci_u32_e64 v47, null, s47, v47, s5
	v_add_co_u32 v44, s5, v44, s44
	s_wait_alu 0xf1ff
	v_add_co_ci_u32_e64 v45, null, s45, v45, s5
	v_add_co_u32 v42, s5, v42, s44
	s_add_nc_u64 s[22:23], s[22:23], 32
	v_add_co_ci_u32_e64 v43, null, s45, v43, s5
	s_wait_alu 0xfffe
	s_sub_co_i32 s6, s22, 32
	s_wait_alu 0xfffe
	s_cmp_ge_i32 s6, s27
	s_wait_dscnt 0x0
	v_mul_f64_e32 v[2:3], v[66:67], v[94:95]
	v_mul_f64_e32 v[96:97], v[64:65], v[94:95]
	s_delay_alu instid0(VALU_DEP_2) | instskip(NEXT) | instid1(VALU_DEP_2)
	v_fma_f64 v[2:3], v[64:65], v[92:93], -v[2:3]
	v_fma_f64 v[96:97], v[66:67], v[92:93], v[96:97]
	s_delay_alu instid0(VALU_DEP_2) | instskip(NEXT) | instid1(VALU_DEP_2)
	v_add_f64_e32 v[2:3], v[56:57], v[2:3]
	v_add_f64_e32 v[96:97], v[96:97], v[58:59]
	ds_load_b128 v[56:59], v71 offset:256
	s_wait_dscnt 0x0
	v_mul_f64_e32 v[98:99], v[66:67], v[58:59]
	s_delay_alu instid0(VALU_DEP_1) | instskip(SKIP_1) | instid1(VALU_DEP_1)
	v_fma_f64 v[98:99], v[64:65], v[56:57], -v[98:99]
	v_mul_f64_e32 v[64:65], v[64:65], v[58:59]
	v_fma_f64 v[64:65], v[66:67], v[56:57], v[64:65]
	s_delay_alu instid0(VALU_DEP_3) | instskip(NEXT) | instid1(VALU_DEP_2)
	v_add_f64_e32 v[66:67], v[48:49], v[98:99]
	v_add_f64_e32 v[64:65], v[64:65], v[50:51]
	ds_load_b128 v[48:51], v70 offset:8192
	s_wait_dscnt 0x0
	v_mul_f64_e32 v[98:99], v[50:51], v[94:95]
	v_mul_f64_e32 v[94:95], v[48:49], v[94:95]
	s_delay_alu instid0(VALU_DEP_2) | instskip(NEXT) | instid1(VALU_DEP_2)
	v_fma_f64 v[98:99], v[48:49], v[92:93], -v[98:99]
	v_fma_f64 v[92:93], v[50:51], v[92:93], v[94:95]
	s_delay_alu instid0(VALU_DEP_2) | instskip(SKIP_1) | instid1(VALU_DEP_3)
	v_add_f64_e32 v[94:95], v[52:53], v[98:99]
	v_mul_f64_e32 v[52:53], v[50:51], v[58:59]
	v_add_f64_e32 v[92:93], v[92:93], v[54:55]
	s_delay_alu instid0(VALU_DEP_2) | instskip(SKIP_1) | instid1(VALU_DEP_2)
	v_fma_f64 v[52:53], v[48:49], v[56:57], -v[52:53]
	v_mul_f64_e32 v[48:49], v[48:49], v[58:59]
	v_add_f64_e32 v[62:63], v[62:63], v[52:53]
	s_delay_alu instid0(VALU_DEP_2) | instskip(NEXT) | instid1(VALU_DEP_1)
	v_fma_f64 v[48:49], v[50:51], v[56:57], v[48:49]
	v_add_f64_e32 v[60:61], v[48:49], v[60:61]
	ds_load_b128 v[48:51], v71 offset:512
	s_wait_dscnt 0x0
	v_mul_f64_e32 v[52:53], v[82:83], v[50:51]
	v_mul_f64_e32 v[54:55], v[80:81], v[50:51]
	s_delay_alu instid0(VALU_DEP_2) | instskip(NEXT) | instid1(VALU_DEP_2)
	v_fma_f64 v[52:53], v[80:81], v[48:49], -v[52:53]
	v_fma_f64 v[54:55], v[82:83], v[48:49], v[54:55]
	s_delay_alu instid0(VALU_DEP_2) | instskip(NEXT) | instid1(VALU_DEP_2)
	v_add_f64_e32 v[2:3], v[2:3], v[52:53]
	v_add_f64_e32 v[96:97], v[54:55], v[96:97]
	ds_load_b128 v[52:55], v71 offset:768
	s_wait_dscnt 0x0
	v_mul_f64_e32 v[56:57], v[82:83], v[54:55]
	v_mul_f64_e32 v[58:59], v[80:81], v[54:55]
	s_delay_alu instid0(VALU_DEP_2) | instskip(NEXT) | instid1(VALU_DEP_2)
	v_fma_f64 v[56:57], v[80:81], v[52:53], -v[56:57]
	v_fma_f64 v[58:59], v[82:83], v[52:53], v[58:59]
	s_delay_alu instid0(VALU_DEP_2) | instskip(NEXT) | instid1(VALU_DEP_2)
	v_add_f64_e32 v[66:67], v[66:67], v[56:57]
	v_add_f64_e32 v[64:65], v[58:59], v[64:65]
	ds_load_b128 v[56:59], v70 offset:8208
	s_wait_dscnt 0x0
	v_mul_f64_e32 v[80:81], v[58:59], v[50:51]
	v_mul_f64_e32 v[50:51], v[56:57], v[50:51]
	s_delay_alu instid0(VALU_DEP_2) | instskip(NEXT) | instid1(VALU_DEP_2)
	v_fma_f64 v[80:81], v[56:57], v[48:49], -v[80:81]
	v_fma_f64 v[48:49], v[58:59], v[48:49], v[50:51]
	v_mul_f64_e32 v[50:51], v[56:57], v[54:55]
	s_delay_alu instid0(VALU_DEP_3) | instskip(NEXT) | instid1(VALU_DEP_3)
	v_add_f64_e32 v[80:81], v[94:95], v[80:81]
	v_add_f64_e32 v[82:83], v[48:49], v[92:93]
	v_mul_f64_e32 v[48:49], v[58:59], v[54:55]
	s_delay_alu instid0(VALU_DEP_4) | instskip(NEXT) | instid1(VALU_DEP_2)
	v_fma_f64 v[50:51], v[58:59], v[52:53], v[50:51]
	v_fma_f64 v[48:49], v[56:57], v[52:53], -v[48:49]
	s_delay_alu instid0(VALU_DEP_2) | instskip(NEXT) | instid1(VALU_DEP_2)
	v_add_f64_e32 v[60:61], v[50:51], v[60:61]
	v_add_f64_e32 v[62:63], v[62:63], v[48:49]
	ds_load_b128 v[48:51], v71 offset:1024
	s_wait_dscnt 0x0
	v_mul_f64_e32 v[52:53], v[86:87], v[50:51]
	v_mul_f64_e32 v[54:55], v[84:85], v[50:51]
	s_delay_alu instid0(VALU_DEP_2) | instskip(NEXT) | instid1(VALU_DEP_2)
	v_fma_f64 v[52:53], v[84:85], v[48:49], -v[52:53]
	v_fma_f64 v[54:55], v[86:87], v[48:49], v[54:55]
	s_delay_alu instid0(VALU_DEP_2) | instskip(NEXT) | instid1(VALU_DEP_2)
	v_add_f64_e32 v[2:3], v[2:3], v[52:53]
	v_add_f64_e32 v[92:93], v[54:55], v[96:97]
	ds_load_b128 v[52:55], v71 offset:1280
	s_wait_dscnt 0x0
	v_mul_f64_e32 v[56:57], v[86:87], v[54:55]
	v_mul_f64_e32 v[58:59], v[84:85], v[54:55]
	s_delay_alu instid0(VALU_DEP_2) | instskip(NEXT) | instid1(VALU_DEP_2)
	v_fma_f64 v[56:57], v[84:85], v[52:53], -v[56:57]
	v_fma_f64 v[58:59], v[86:87], v[52:53], v[58:59]
	s_delay_alu instid0(VALU_DEP_2) | instskip(NEXT) | instid1(VALU_DEP_2)
	v_add_f64_e32 v[66:67], v[66:67], v[56:57]
	v_add_f64_e32 v[64:65], v[58:59], v[64:65]
	ds_load_b128 v[56:59], v70 offset:8224
	s_wait_dscnt 0x0
	v_mul_f64_e32 v[84:85], v[58:59], v[50:51]
	v_mul_f64_e32 v[50:51], v[56:57], v[50:51]
	s_delay_alu instid0(VALU_DEP_2) | instskip(NEXT) | instid1(VALU_DEP_2)
	v_fma_f64 v[84:85], v[56:57], v[48:49], -v[84:85]
	v_fma_f64 v[48:49], v[58:59], v[48:49], v[50:51]
	v_mul_f64_e32 v[50:51], v[56:57], v[54:55]
	s_delay_alu instid0(VALU_DEP_3) | instskip(NEXT) | instid1(VALU_DEP_3)
	v_add_f64_e32 v[80:81], v[80:81], v[84:85]
	v_add_f64_e32 v[82:83], v[48:49], v[82:83]
	v_mul_f64_e32 v[48:49], v[58:59], v[54:55]
	s_delay_alu instid0(VALU_DEP_4) | instskip(NEXT) | instid1(VALU_DEP_2)
	v_fma_f64 v[50:51], v[58:59], v[52:53], v[50:51]
	v_fma_f64 v[48:49], v[56:57], v[52:53], -v[48:49]
	s_delay_alu instid0(VALU_DEP_2) | instskip(NEXT) | instid1(VALU_DEP_2)
	v_add_f64_e32 v[60:61], v[50:51], v[60:61]
	v_add_f64_e32 v[62:63], v[62:63], v[48:49]
	ds_load_b128 v[48:51], v71 offset:1536
	s_wait_dscnt 0x0
	v_mul_f64_e32 v[52:53], v[90:91], v[50:51]
	v_mul_f64_e32 v[54:55], v[88:89], v[50:51]
	s_delay_alu instid0(VALU_DEP_2) | instskip(NEXT) | instid1(VALU_DEP_2)
	v_fma_f64 v[52:53], v[88:89], v[48:49], -v[52:53]
	v_fma_f64 v[54:55], v[90:91], v[48:49], v[54:55]
	s_delay_alu instid0(VALU_DEP_2) | instskip(NEXT) | instid1(VALU_DEP_2)
	v_add_f64_e32 v[2:3], v[2:3], v[52:53]
	v_add_f64_e32 v[84:85], v[54:55], v[92:93]
	ds_load_b128 v[52:55], v71 offset:1792
	s_wait_dscnt 0x0
	v_mul_f64_e32 v[56:57], v[90:91], v[54:55]
	v_mul_f64_e32 v[58:59], v[88:89], v[54:55]
	s_delay_alu instid0(VALU_DEP_2) | instskip(NEXT) | instid1(VALU_DEP_2)
	v_fma_f64 v[56:57], v[88:89], v[52:53], -v[56:57]
	v_fma_f64 v[58:59], v[90:91], v[52:53], v[58:59]
	s_delay_alu instid0(VALU_DEP_2) | instskip(NEXT) | instid1(VALU_DEP_2)
	v_add_f64_e32 v[66:67], v[66:67], v[56:57]
	v_add_f64_e32 v[64:65], v[58:59], v[64:65]
	ds_load_b128 v[56:59], v70 offset:8240
	s_wait_dscnt 0x0
	v_mul_f64_e32 v[86:87], v[58:59], v[50:51]
	v_mul_f64_e32 v[50:51], v[56:57], v[50:51]
	s_delay_alu instid0(VALU_DEP_2) | instskip(NEXT) | instid1(VALU_DEP_2)
	v_fma_f64 v[86:87], v[56:57], v[48:49], -v[86:87]
	v_fma_f64 v[48:49], v[58:59], v[48:49], v[50:51]
	v_mul_f64_e32 v[50:51], v[56:57], v[54:55]
	s_delay_alu instid0(VALU_DEP_3) | instskip(NEXT) | instid1(VALU_DEP_3)
	v_add_f64_e32 v[80:81], v[80:81], v[86:87]
	v_add_f64_e32 v[82:83], v[48:49], v[82:83]
	v_mul_f64_e32 v[48:49], v[58:59], v[54:55]
	s_delay_alu instid0(VALU_DEP_4) | instskip(NEXT) | instid1(VALU_DEP_2)
	v_fma_f64 v[50:51], v[58:59], v[52:53], v[50:51]
	v_fma_f64 v[48:49], v[56:57], v[52:53], -v[48:49]
	s_delay_alu instid0(VALU_DEP_2) | instskip(NEXT) | instid1(VALU_DEP_2)
	v_add_f64_e32 v[60:61], v[50:51], v[60:61]
	v_add_f64_e32 v[62:63], v[62:63], v[48:49]
	ds_load_b128 v[48:51], v70 offset:64
	ds_load_b128 v[52:55], v71 offset:2048
	s_wait_dscnt 0x0
	v_mul_f64_e32 v[56:57], v[50:51], v[54:55]
	v_mul_f64_e32 v[58:59], v[48:49], v[54:55]
	s_delay_alu instid0(VALU_DEP_2) | instskip(NEXT) | instid1(VALU_DEP_2)
	v_fma_f64 v[56:57], v[48:49], v[52:53], -v[56:57]
	v_fma_f64 v[58:59], v[50:51], v[52:53], v[58:59]
	s_delay_alu instid0(VALU_DEP_2) | instskip(NEXT) | instid1(VALU_DEP_2)
	v_add_f64_e32 v[2:3], v[2:3], v[56:57]
	v_add_f64_e32 v[84:85], v[58:59], v[84:85]
	ds_load_b128 v[56:59], v71 offset:2304
	s_wait_dscnt 0x0
	v_mul_f64_e32 v[86:87], v[50:51], v[58:59]
	s_delay_alu instid0(VALU_DEP_1) | instskip(SKIP_1) | instid1(VALU_DEP_2)
	v_fma_f64 v[86:87], v[48:49], v[56:57], -v[86:87]
	v_mul_f64_e32 v[48:49], v[48:49], v[58:59]
	v_add_f64_e32 v[66:67], v[66:67], v[86:87]
	s_delay_alu instid0(VALU_DEP_2) | instskip(NEXT) | instid1(VALU_DEP_1)
	v_fma_f64 v[48:49], v[50:51], v[56:57], v[48:49]
	v_add_f64_e32 v[64:65], v[48:49], v[64:65]
	ds_load_b128 v[48:51], v70 offset:8256
	s_wait_dscnt 0x0
	v_mul_f64_e32 v[86:87], v[50:51], v[54:55]
	v_mul_f64_e32 v[54:55], v[48:49], v[54:55]
	s_delay_alu instid0(VALU_DEP_2) | instskip(NEXT) | instid1(VALU_DEP_2)
	v_fma_f64 v[86:87], v[48:49], v[52:53], -v[86:87]
	v_fma_f64 v[52:53], v[50:51], v[52:53], v[54:55]
	s_delay_alu instid0(VALU_DEP_2) | instskip(NEXT) | instid1(VALU_DEP_2)
	v_add_f64_e32 v[80:81], v[80:81], v[86:87]
	v_add_f64_e32 v[82:83], v[52:53], v[82:83]
	v_mul_f64_e32 v[52:53], v[50:51], v[58:59]
	s_delay_alu instid0(VALU_DEP_1) | instskip(SKIP_1) | instid1(VALU_DEP_2)
	v_fma_f64 v[52:53], v[48:49], v[56:57], -v[52:53]
	v_mul_f64_e32 v[48:49], v[48:49], v[58:59]
	v_add_f64_e32 v[62:63], v[62:63], v[52:53]
	s_delay_alu instid0(VALU_DEP_2) | instskip(NEXT) | instid1(VALU_DEP_1)
	v_fma_f64 v[48:49], v[50:51], v[56:57], v[48:49]
	v_add_f64_e32 v[60:61], v[48:49], v[60:61]
	ds_load_b128 v[48:51], v70 offset:80
	ds_load_b128 v[52:55], v71 offset:2560
	s_wait_dscnt 0x0
	v_mul_f64_e32 v[56:57], v[50:51], v[54:55]
	v_mul_f64_e32 v[58:59], v[48:49], v[54:55]
	s_delay_alu instid0(VALU_DEP_2) | instskip(NEXT) | instid1(VALU_DEP_2)
	v_fma_f64 v[56:57], v[48:49], v[52:53], -v[56:57]
	v_fma_f64 v[58:59], v[50:51], v[52:53], v[58:59]
	s_delay_alu instid0(VALU_DEP_2) | instskip(NEXT) | instid1(VALU_DEP_2)
	v_add_f64_e32 v[2:3], v[2:3], v[56:57]
	v_add_f64_e32 v[84:85], v[58:59], v[84:85]
	ds_load_b128 v[56:59], v71 offset:2816
	s_wait_dscnt 0x0
	v_mul_f64_e32 v[86:87], v[50:51], v[58:59]
	s_delay_alu instid0(VALU_DEP_1) | instskip(SKIP_1) | instid1(VALU_DEP_2)
	v_fma_f64 v[86:87], v[48:49], v[56:57], -v[86:87]
	v_mul_f64_e32 v[48:49], v[48:49], v[58:59]
	v_add_f64_e32 v[66:67], v[66:67], v[86:87]
	s_delay_alu instid0(VALU_DEP_2) | instskip(NEXT) | instid1(VALU_DEP_1)
	v_fma_f64 v[48:49], v[50:51], v[56:57], v[48:49]
	v_add_f64_e32 v[64:65], v[48:49], v[64:65]
	ds_load_b128 v[48:51], v70 offset:8272
	s_wait_dscnt 0x0
	v_mul_f64_e32 v[86:87], v[50:51], v[54:55]
	v_mul_f64_e32 v[54:55], v[48:49], v[54:55]
	s_delay_alu instid0(VALU_DEP_2) | instskip(NEXT) | instid1(VALU_DEP_2)
	v_fma_f64 v[86:87], v[48:49], v[52:53], -v[86:87]
	v_fma_f64 v[52:53], v[50:51], v[52:53], v[54:55]
	s_delay_alu instid0(VALU_DEP_2) | instskip(NEXT) | instid1(VALU_DEP_2)
	v_add_f64_e32 v[80:81], v[80:81], v[86:87]
	v_add_f64_e32 v[82:83], v[52:53], v[82:83]
	v_mul_f64_e32 v[52:53], v[50:51], v[58:59]
	s_delay_alu instid0(VALU_DEP_1) | instskip(SKIP_1) | instid1(VALU_DEP_2)
	v_fma_f64 v[52:53], v[48:49], v[56:57], -v[52:53]
	v_mul_f64_e32 v[48:49], v[48:49], v[58:59]
	v_add_f64_e32 v[62:63], v[62:63], v[52:53]
	s_delay_alu instid0(VALU_DEP_2) | instskip(NEXT) | instid1(VALU_DEP_1)
	v_fma_f64 v[48:49], v[50:51], v[56:57], v[48:49]
	;; [unrolled: 39-line block ×26, first 2 shown]
	v_add_f64_e32 v[60:61], v[48:49], v[60:61]
	ds_load_b128 v[48:51], v70 offset:480
	ds_load_b128 v[52:55], v71 offset:15360
	s_wait_dscnt 0x0
	v_mul_f64_e32 v[56:57], v[50:51], v[54:55]
	v_mul_f64_e32 v[58:59], v[48:49], v[54:55]
	s_delay_alu instid0(VALU_DEP_2) | instskip(NEXT) | instid1(VALU_DEP_2)
	v_fma_f64 v[56:57], v[48:49], v[52:53], -v[56:57]
	v_fma_f64 v[58:59], v[50:51], v[52:53], v[58:59]
	s_delay_alu instid0(VALU_DEP_2) | instskip(NEXT) | instid1(VALU_DEP_2)
	v_add_f64_e32 v[86:87], v[2:3], v[56:57]
	v_add_f64_e32 v[84:85], v[58:59], v[84:85]
	ds_load_b128 v[56:59], v71 offset:15616
	s_wait_dscnt 0x0
	v_mul_f64_e32 v[2:3], v[50:51], v[58:59]
	s_delay_alu instid0(VALU_DEP_1) | instskip(SKIP_1) | instid1(VALU_DEP_2)
	v_fma_f64 v[2:3], v[48:49], v[56:57], -v[2:3]
	v_mul_f64_e32 v[48:49], v[48:49], v[58:59]
	v_add_f64_e32 v[88:89], v[66:67], v[2:3]
	s_delay_alu instid0(VALU_DEP_2) | instskip(NEXT) | instid1(VALU_DEP_1)
	v_fma_f64 v[48:49], v[50:51], v[56:57], v[48:49]
	v_add_f64_e32 v[90:91], v[48:49], v[64:65]
	ds_load_b128 v[48:51], v70 offset:8672
	s_wait_dscnt 0x0
	v_mul_f64_e32 v[2:3], v[50:51], v[54:55]
	v_mul_f64_e32 v[54:55], v[48:49], v[54:55]
	s_delay_alu instid0(VALU_DEP_2) | instskip(NEXT) | instid1(VALU_DEP_2)
	v_fma_f64 v[2:3], v[48:49], v[52:53], -v[2:3]
	v_fma_f64 v[52:53], v[50:51], v[52:53], v[54:55]
	s_delay_alu instid0(VALU_DEP_2) | instskip(SKIP_1) | instid1(VALU_DEP_3)
	v_add_f64_e32 v[92:93], v[80:81], v[2:3]
	v_mul_f64_e32 v[2:3], v[50:51], v[58:59]
	v_add_f64_e32 v[94:95], v[52:53], v[82:83]
	s_delay_alu instid0(VALU_DEP_2) | instskip(SKIP_1) | instid1(VALU_DEP_2)
	v_fma_f64 v[2:3], v[48:49], v[56:57], -v[2:3]
	v_mul_f64_e32 v[48:49], v[48:49], v[58:59]
	v_add_f64_e32 v[2:3], v[62:63], v[2:3]
	s_delay_alu instid0(VALU_DEP_2) | instskip(NEXT) | instid1(VALU_DEP_1)
	v_fma_f64 v[48:49], v[50:51], v[56:57], v[48:49]
	v_add_f64_e32 v[60:61], v[48:49], v[60:61]
	ds_load_b128 v[48:51], v70 offset:496
	ds_load_b128 v[52:55], v71 offset:15872
	;; [unrolled: 1-line block ×4, first 2 shown]
	s_wait_loadcnt_dscnt 0x0
	s_barrier_signal -1
	s_barrier_wait -1
	global_inv scope:SCOPE_SE
	v_mul_f64_e32 v[56:57], v[50:51], v[54:55]
	v_mul_f64_e32 v[62:63], v[50:51], v[66:67]
	;; [unrolled: 1-line block ×3, first 2 shown]
	s_delay_alu instid0(VALU_DEP_3) | instskip(NEXT) | instid1(VALU_DEP_3)
	v_fma_f64 v[56:57], v[48:49], v[52:53], -v[56:57]
	v_fma_f64 v[62:63], v[48:49], v[64:65], -v[62:63]
	v_mul_f64_e32 v[48:49], v[48:49], v[66:67]
	s_delay_alu instid0(VALU_DEP_4) | instskip(NEXT) | instid1(VALU_DEP_4)
	v_fma_f64 v[58:59], v[50:51], v[52:53], v[58:59]
	v_add_f64_e32 v[56:57], v[86:87], v[56:57]
	s_delay_alu instid0(VALU_DEP_3)
	v_fma_f64 v[50:51], v[50:51], v[64:65], v[48:49]
	v_add_f64_e32 v[48:49], v[88:89], v[62:63]
	v_mul_f64_e32 v[62:63], v[82:83], v[54:55]
	v_mul_f64_e32 v[54:55], v[80:81], v[54:55]
	v_add_f64_e32 v[58:59], v[58:59], v[84:85]
	v_add_f64_e32 v[50:51], v[50:51], v[90:91]
	s_delay_alu instid0(VALU_DEP_4) | instskip(NEXT) | instid1(VALU_DEP_4)
	v_fma_f64 v[62:63], v[80:81], v[52:53], -v[62:63]
	v_fma_f64 v[54:55], v[82:83], v[52:53], v[54:55]
	s_delay_alu instid0(VALU_DEP_2) | instskip(SKIP_2) | instid1(VALU_DEP_4)
	v_add_f64_e32 v[52:53], v[92:93], v[62:63]
	v_mul_f64_e32 v[62:63], v[82:83], v[66:67]
	v_mul_f64_e32 v[66:67], v[80:81], v[66:67]
	v_add_f64_e32 v[54:55], v[54:55], v[94:95]
	s_delay_alu instid0(VALU_DEP_3) | instskip(NEXT) | instid1(VALU_DEP_3)
	v_fma_f64 v[62:63], v[80:81], v[64:65], -v[62:63]
	v_fma_f64 v[64:65], v[82:83], v[64:65], v[66:67]
	s_delay_alu instid0(VALU_DEP_2) | instskip(NEXT) | instid1(VALU_DEP_2)
	v_add_f64_e32 v[62:63], v[2:3], v[62:63]
	v_add_f64_e32 v[60:61], v[64:65], v[60:61]
	s_cbranch_scc1 .LBB128_59
.LBB128_11:                             ;   Parent Loop BB128_4 Depth=1
                                        ;     Parent Loop BB128_8 Depth=2
                                        ; =>    This Inner Loop Header: Depth=3
	s_wait_alu 0xfffe
	v_add_co_u32 v64, s5, v68, s22
	s_wait_alu 0xf1ff
	v_add_co_ci_u32_e64 v65, null, 0, s23, s5
	v_cmp_eq_u64_e64 s7, s[22:23], v[34:35]
	s_delay_alu instid0(VALU_DEP_2)
	v_cmp_gt_i64_e64 s5, v[64:65], v[30:31]
	v_cmp_le_i64_e64 s6, s[10:11], v[64:65]
	s_and_b32 s52, s36, s7
	v_add_co_u32 v66, s7, v44, v36
	s_or_b32 s8, vcc_lo, s5
	v_add_co_ci_u32_e64 v67, null, v45, v37, s7
	s_wait_alu 0xfffe
	s_or_b32 s7, s8, s52
	s_wait_alu 0xfffe
	s_nor_b32 s7, s6, s7
	s_wait_alu 0xfffe
	s_and_saveexec_b32 s8, s7
	s_wait_alu 0xfffe
	s_xor_b32 s7, exec_lo, s8
	s_cbranch_execz .LBB128_13
; %bb.12:                               ;   in Loop: Header=BB128_11 Depth=3
	global_load_b128 v[80:83], v[66:67], off
	s_wait_loadcnt 0x0
	v_xor_b32_e32 v83, 0x80000000, v83
	ds_store_b128 v72, v[80:83]
.LBB128_13:                             ;   in Loop: Header=BB128_11 Depth=3
	s_wait_alu 0xfffe
	s_or_saveexec_b32 s7, s7
	s_xor_b32 s37, s52, -1
	s_wait_alu 0xfffe
	s_xor_b32 exec_lo, exec_lo, s7
	s_cbranch_execz .LBB128_19
; %bb.14:                               ;   in Loop: Header=BB128_11 Depth=3
	s_and_saveexec_b32 s8, s37
	s_wait_alu 0xfffe
	s_xor_b32 s8, exec_lo, s8
; %bb.15:                               ;   in Loop: Header=BB128_11 Depth=3
	v_dual_mov_b32 v80, v0 :: v_dual_mov_b32 v81, v0
	v_dual_mov_b32 v82, v0 :: v_dual_mov_b32 v83, v0
	ds_store_b128 v72, v[80:83]
; %bb.16:                               ;   in Loop: Header=BB128_11 Depth=3
	s_wait_alu 0xfffe
	s_and_not1_saveexec_b32 s8, s8
; %bb.17:                               ;   in Loop: Header=BB128_11 Depth=3
	v_dual_mov_b32 v2, v0 :: v_dual_mov_b32 v3, v0
	ds_store_b128 v72, v[0:3]
; %bb.18:                               ;   in Loop: Header=BB128_11 Depth=3
	s_wait_alu 0xfffe
	s_or_b32 exec_lo, exec_lo, s8
.LBB128_19:                             ;   in Loop: Header=BB128_11 Depth=3
	s_delay_alu instid0(SALU_CYCLE_1) | instskip(SKIP_4) | instid1(VALU_DEP_2)
	s_or_b32 exec_lo, exec_lo, s7
	v_add_co_u32 v2, s7, v64, 16
	s_wait_alu 0xf1ff
	v_add_co_ci_u32_e64 v3, null, 0, v65, s7
	v_cmp_eq_u64_e64 s8, s[22:23], v[40:41]
	v_cmp_gt_i64_e64 s9, v[2:3], v[30:31]
	v_cmp_le_i64_e64 s7, s[10:11], v[2:3]
	s_and_b32 s53, s36, s8
	s_or_b32 s8, vcc_lo, s9
	s_wait_alu 0xfffe
	s_or_b32 s8, s8, s53
	s_wait_alu 0xfffe
	s_nor_b32 s8, s7, s8
	s_wait_alu 0xfffe
	s_and_saveexec_b32 s9, s8
	s_wait_alu 0xfffe
	s_xor_b32 s9, exec_lo, s9
	s_cbranch_execz .LBB128_21
; %bb.20:                               ;   in Loop: Header=BB128_11 Depth=3
	v_add_co_u32 v2, s8, v42, v36
	s_wait_alu 0xf1ff
	v_add_co_ci_u32_e64 v3, null, v43, v37, s8
	global_load_b128 v[80:83], v[2:3], off
	s_wait_loadcnt 0x0
	v_xor_b32_e32 v83, 0x80000000, v83
	ds_store_b128 v72, v[80:83] offset:256
.LBB128_21:                             ;   in Loop: Header=BB128_11 Depth=3
	s_wait_alu 0xfffe
	s_and_not1_saveexec_b32 s8, s9
	s_cbranch_execz .LBB128_27
; %bb.22:                               ;   in Loop: Header=BB128_11 Depth=3
	s_xor_b32 s9, s53, -1
	s_wait_alu 0xfffe
	s_and_saveexec_b32 s53, s9
	s_delay_alu instid0(SALU_CYCLE_1)
	s_xor_b32 s9, exec_lo, s53
; %bb.23:                               ;   in Loop: Header=BB128_11 Depth=3
	v_dual_mov_b32 v80, v0 :: v_dual_mov_b32 v81, v0
	v_dual_mov_b32 v82, v0 :: v_dual_mov_b32 v83, v0
	ds_store_b128 v72, v[80:83] offset:256
; %bb.24:                               ;   in Loop: Header=BB128_11 Depth=3
	s_wait_alu 0xfffe
	s_and_not1_saveexec_b32 s9, s9
; %bb.25:                               ;   in Loop: Header=BB128_11 Depth=3
	v_dual_mov_b32 v2, v0 :: v_dual_mov_b32 v3, v0
	ds_store_b128 v72, v[0:3] offset:256
; %bb.26:                               ;   in Loop: Header=BB128_11 Depth=3
	s_wait_alu 0xfffe
	s_or_b32 exec_lo, exec_lo, s9
.LBB128_27:                             ;   in Loop: Header=BB128_11 Depth=3
	s_wait_alu 0xfffe
	s_or_b32 exec_lo, exec_lo, s8
	v_cmp_eq_u64_e64 s8, s[22:23], v[38:39]
	v_cmp_gt_i64_e64 s9, v[64:65], v[32:33]
	s_and_b32 s8, s36, s8
	s_or_b32 s9, s4, s9
	s_wait_alu 0xfffe
	s_or_b32 s9, s9, s8
	s_wait_alu 0xfffe
	s_nor_b32 s6, s6, s9
	s_wait_alu 0xfffe
	s_and_saveexec_b32 s9, s6
	s_wait_alu 0xfffe
	s_xor_b32 s6, exec_lo, s9
	s_cbranch_execz .LBB128_29
; %bb.28:                               ;   in Loop: Header=BB128_11 Depth=3
	global_load_b128 v[64:67], v[66:67], off offset:256
	s_wait_loadcnt 0x0
	v_xor_b32_e32 v67, 0x80000000, v67
	ds_store_b128 v72, v[64:67] offset:8192
.LBB128_29:                             ;   in Loop: Header=BB128_11 Depth=3
	s_wait_alu 0xfffe
	s_and_not1_saveexec_b32 s6, s6
	s_cbranch_execz .LBB128_35
; %bb.30:                               ;   in Loop: Header=BB128_11 Depth=3
	s_xor_b32 s8, s8, -1
	s_wait_alu 0xfffe
	s_and_saveexec_b32 s9, s8
	s_wait_alu 0xfffe
	s_xor_b32 s8, exec_lo, s9
; %bb.31:                               ;   in Loop: Header=BB128_11 Depth=3
	v_dual_mov_b32 v64, v0 :: v_dual_mov_b32 v65, v0
	v_dual_mov_b32 v66, v0 :: v_dual_mov_b32 v67, v0
	ds_store_b128 v72, v[64:67] offset:8192
; %bb.32:                               ;   in Loop: Header=BB128_11 Depth=3
	s_wait_alu 0xfffe
	s_and_not1_saveexec_b32 s8, s8
; %bb.33:                               ;   in Loop: Header=BB128_11 Depth=3
	v_dual_mov_b32 v2, v0 :: v_dual_mov_b32 v3, v0
	ds_store_b128 v72, v[0:3] offset:8192
; %bb.34:                               ;   in Loop: Header=BB128_11 Depth=3
	s_wait_alu 0xfffe
	s_or_b32 exec_lo, exec_lo, s8
.LBB128_35:                             ;   in Loop: Header=BB128_11 Depth=3
	s_wait_alu 0xfffe
	s_or_b32 exec_lo, exec_lo, s6
	s_or_b32 s5, s4, s5
	s_wait_alu 0xfffe
	s_or_b32 s5, s5, s52
	s_wait_alu 0xfffe
	s_nor_b32 s5, s7, s5
	s_wait_alu 0xfffe
	s_and_saveexec_b32 s6, s5
	s_wait_alu 0xfffe
	s_xor_b32 s6, exec_lo, s6
	s_cbranch_execz .LBB128_37
; %bb.36:                               ;   in Loop: Header=BB128_11 Depth=3
	v_add_co_u32 v2, s5, v42, v36
	s_wait_alu 0xf1ff
	v_add_co_ci_u32_e64 v3, null, v43, v37, s5
	global_load_b128 v[64:67], v[2:3], off offset:256
	s_wait_loadcnt 0x0
	v_xor_b32_e32 v67, 0x80000000, v67
	ds_store_b128 v72, v[64:67] offset:8448
.LBB128_37:                             ;   in Loop: Header=BB128_11 Depth=3
	s_wait_alu 0xfffe
	s_and_not1_saveexec_b32 s5, s6
	s_cbranch_execz .LBB128_43
; %bb.38:                               ;   in Loop: Header=BB128_11 Depth=3
	s_and_saveexec_b32 s6, s37
	s_wait_alu 0xfffe
	s_xor_b32 s6, exec_lo, s6
; %bb.39:                               ;   in Loop: Header=BB128_11 Depth=3
	v_dual_mov_b32 v64, v0 :: v_dual_mov_b32 v65, v0
	v_dual_mov_b32 v66, v0 :: v_dual_mov_b32 v67, v0
	ds_store_b128 v72, v[64:67] offset:8448
; %bb.40:                               ;   in Loop: Header=BB128_11 Depth=3
	s_wait_alu 0xfffe
	s_and_not1_saveexec_b32 s6, s6
; %bb.41:                               ;   in Loop: Header=BB128_11 Depth=3
	v_dual_mov_b32 v2, v0 :: v_dual_mov_b32 v3, v0
	ds_store_b128 v72, v[0:3] offset:8448
; %bb.42:                               ;   in Loop: Header=BB128_11 Depth=3
	s_wait_alu 0xfffe
	s_or_b32 exec_lo, exec_lo, s6
.LBB128_43:                             ;   in Loop: Header=BB128_11 Depth=3
	s_wait_alu 0xfffe
	s_or_b32 exec_lo, exec_lo, s5
	v_add_co_u32 v2, s5, v69, s22
	s_wait_alu 0xf1ff
	v_add_co_ci_u32_e64 v3, null, 0, s23, s5
	v_add_co_u32 v64, s6, v46, v8
	s_wait_alu 0xf1ff
	v_add_co_ci_u32_e64 v65, null, v47, v9, s6
	s_delay_alu instid0(VALU_DEP_3)
	v_cmp_le_i64_e64 s5, s[10:11], v[2:3]
	s_nor_b32 s6, s5, s0
	s_wait_alu 0xfffe
	s_and_saveexec_b32 s7, s6
	s_wait_alu 0xfffe
	s_xor_b32 s6, exec_lo, s7
	s_cbranch_execz .LBB128_45
; %bb.44:                               ;   in Loop: Header=BB128_11 Depth=3
	global_load_b128 v[80:83], v[64:65], off offset:-256
	s_wait_loadcnt 0x0
	ds_store_2addr_b64 v73, v[80:81], v[82:83] offset1:1
.LBB128_45:                             ;   in Loop: Header=BB128_11 Depth=3
	s_wait_alu 0xfffe
	s_and_not1_saveexec_b32 s6, s6
; %bb.46:                               ;   in Loop: Header=BB128_11 Depth=3
	v_dual_mov_b32 v80, v0 :: v_dual_mov_b32 v81, v0
	v_dual_mov_b32 v82, v0 :: v_dual_mov_b32 v83, v0
	ds_store_b128 v73, v[80:83]
; %bb.47:                               ;   in Loop: Header=BB128_11 Depth=3
	s_wait_alu 0xfffe
	s_or_b32 exec_lo, exec_lo, s6
	s_nor_b32 s5, s5, s1
	s_wait_alu 0xfffe
	s_and_saveexec_b32 s6, s5
	s_wait_alu 0xfffe
	s_xor_b32 s5, exec_lo, s6
	s_cbranch_execz .LBB128_49
; %bb.48:                               ;   in Loop: Header=BB128_11 Depth=3
	global_load_b128 v[64:67], v[64:65], off
	s_wait_loadcnt 0x0
	ds_store_2addr_b64 v74, v[64:65], v[66:67] offset1:1
.LBB128_49:                             ;   in Loop: Header=BB128_11 Depth=3
	s_wait_alu 0xfffe
	s_and_not1_saveexec_b32 s5, s5
; %bb.50:                               ;   in Loop: Header=BB128_11 Depth=3
	v_dual_mov_b32 v64, v0 :: v_dual_mov_b32 v65, v0
	v_dual_mov_b32 v66, v0 :: v_dual_mov_b32 v67, v0
	ds_store_b128 v73, v[64:67] offset:256
; %bb.51:                               ;   in Loop: Header=BB128_11 Depth=3
	s_wait_alu 0xfffe
	s_or_b32 exec_lo, exec_lo, s5
	v_cmp_le_i64_e64 s5, s[48:49], v[2:3]
	v_add_co_u32 v2, s6, v46, v10
	s_wait_alu 0xf1ff
	v_add_co_ci_u32_e64 v3, null, v47, v11, s6
	s_nor_b32 s6, s5, s0
	s_wait_alu 0xfffe
	s_and_saveexec_b32 s7, s6
	s_wait_alu 0xfffe
	s_xor_b32 s6, exec_lo, s7
	s_cbranch_execz .LBB128_53
; %bb.52:                               ;   in Loop: Header=BB128_11 Depth=3
	global_load_b128 v[64:67], v[2:3], off offset:-256
	s_wait_loadcnt 0x0
	ds_store_2addr_b64 v75, v[64:65], v[66:67] offset1:1
.LBB128_53:                             ;   in Loop: Header=BB128_11 Depth=3
	s_wait_alu 0xfffe
	s_and_not1_saveexec_b32 s6, s6
; %bb.54:                               ;   in Loop: Header=BB128_11 Depth=3
	v_dual_mov_b32 v64, v0 :: v_dual_mov_b32 v65, v0
	v_dual_mov_b32 v66, v0 :: v_dual_mov_b32 v67, v0
	ds_store_b128 v73, v[64:67] offset:8192
; %bb.55:                               ;   in Loop: Header=BB128_11 Depth=3
	s_wait_alu 0xfffe
	s_or_b32 exec_lo, exec_lo, s6
	s_nor_b32 s5, s5, s1
	s_wait_alu 0xfffe
	s_and_saveexec_b32 s6, s5
	s_wait_alu 0xfffe
	s_xor_b32 s5, exec_lo, s6
	s_cbranch_execz .LBB128_57
; %bb.56:                               ;   in Loop: Header=BB128_11 Depth=3
	global_load_b128 v[64:67], v[2:3], off
	s_wait_loadcnt 0x0
	ds_store_2addr_b64 v76, v[64:65], v[66:67] offset1:1
.LBB128_57:                             ;   in Loop: Header=BB128_11 Depth=3
	s_wait_alu 0xfffe
	s_and_not1_saveexec_b32 s5, s5
	s_cbranch_execz .LBB128_10
; %bb.58:                               ;   in Loop: Header=BB128_11 Depth=3
	v_dual_mov_b32 v64, v0 :: v_dual_mov_b32 v65, v0
	v_dual_mov_b32 v66, v0 :: v_dual_mov_b32 v67, v0
	ds_store_b128 v73, v[64:67] offset:8448
	s_branch .LBB128_10
.LBB128_59:                             ;   in Loop: Header=BB128_8 Depth=2
	v_mul_lo_u32 v29, s29, v30
	s_delay_alu instid0(VALU_DEP_2) | instskip(SKIP_2) | instid1(VALU_DEP_2)
	v_mul_lo_u32 v31, s28, v31
	v_mad_co_u64_u32 v[2:3], null, s28, v30, 0
	v_cmp_gt_i32_e32 vcc_lo, s38, v30
	v_add3_u32 v3, v3, v31, v29
	s_delay_alu instid0(VALU_DEP_1) | instskip(SKIP_1) | instid1(VALU_DEP_1)
	v_lshlrev_b64_e32 v[2:3], 4, v[2:3]
	s_wait_alu 0xfffe
	v_add_co_u32 v2, s4, s20, v2
	s_wait_alu 0xf1ff
	s_delay_alu instid0(VALU_DEP_2)
	v_add_co_ci_u32_e64 v3, null, s21, v3, s4
	s_and_b32 s4, s2, vcc_lo
	s_wait_alu 0xfffe
	s_and_saveexec_b32 s5, s4
	s_cbranch_execz .LBB128_61
; %bb.60:                               ;   in Loop: Header=BB128_8 Depth=2
	v_add_co_u32 v35, s4, v2, v12
	s_wait_alu 0xf1ff
	v_add_co_ci_u32_e64 v36, null, v3, v13, s4
	v_mul_f64_e32 v[37:38], v[6:7], v[58:59]
	v_mul_f64_e32 v[39:40], v[4:5], v[58:59]
	global_load_b128 v[31:34], v[35:36], off
	v_fma_f64 v[37:38], v[4:5], v[56:57], -v[37:38]
	v_fma_f64 v[39:40], v[6:7], v[56:57], v[39:40]
	s_wait_loadcnt 0x0
	s_delay_alu instid0(VALU_DEP_2) | instskip(NEXT) | instid1(VALU_DEP_2)
	v_add_f64_e32 v[31:32], v[31:32], v[37:38]
	v_add_f64_e32 v[33:34], v[39:40], v[33:34]
	global_store_b128 v[35:36], v[31:34], off
.LBB128_61:                             ;   in Loop: Header=BB128_8 Depth=2
	s_wait_alu 0xfffe
	s_or_b32 exec_lo, exec_lo, s5
	s_and_b32 s5, s3, vcc_lo
	s_wait_alu 0xfffe
	s_and_saveexec_b32 s4, s5
	s_cbranch_execz .LBB128_63
; %bb.62:                               ;   in Loop: Header=BB128_8 Depth=2
	v_add_co_u32 v2, vcc_lo, v2, v20
	s_wait_alu 0xfffd
	v_add_co_ci_u32_e64 v3, null, v3, v21, vcc_lo
	v_mul_f64_e32 v[35:36], v[6:7], v[50:51]
	v_mul_f64_e32 v[37:38], v[4:5], v[50:51]
	global_load_b128 v[31:34], v[2:3], off
	v_fma_f64 v[35:36], v[4:5], v[48:49], -v[35:36]
	v_fma_f64 v[37:38], v[6:7], v[48:49], v[37:38]
	s_wait_loadcnt 0x0
	s_delay_alu instid0(VALU_DEP_2) | instskip(NEXT) | instid1(VALU_DEP_2)
	v_add_f64_e32 v[31:32], v[31:32], v[35:36]
	v_add_f64_e32 v[33:34], v[37:38], v[33:34]
	global_store_b128 v[2:3], v[31:34], off
.LBB128_63:                             ;   in Loop: Header=BB128_8 Depth=2
	s_wait_alu 0xfffe
	s_or_b32 exec_lo, exec_lo, s4
	v_add_nc_u32_e32 v29, 16, v30
	s_delay_alu instid0(VALU_DEP_1) | instskip(SKIP_3) | instid1(VALU_DEP_4)
	v_ashrrev_i32_e32 v30, 31, v29
	v_mul_lo_u32 v31, s29, v29
	v_mad_co_u64_u32 v[2:3], null, s28, v29, 0
	v_cmp_gt_i32_e32 vcc_lo, s38, v29
	v_mul_lo_u32 v30, s28, v30
	s_delay_alu instid0(VALU_DEP_1) | instskip(NEXT) | instid1(VALU_DEP_1)
	v_add3_u32 v3, v3, v30, v31
	v_lshlrev_b64_e32 v[2:3], 4, v[2:3]
	s_delay_alu instid0(VALU_DEP_1) | instskip(SKIP_1) | instid1(VALU_DEP_2)
	v_add_co_u32 v2, s4, s20, v2
	s_wait_alu 0xf1ff
	v_add_co_ci_u32_e64 v3, null, s21, v3, s4
	s_and_b32 s4, s2, vcc_lo
	s_wait_alu 0xfffe
	s_and_saveexec_b32 s5, s4
	s_cbranch_execz .LBB128_65
; %bb.64:                               ;   in Loop: Header=BB128_8 Depth=2
	v_add_co_u32 v33, s4, v2, v12
	s_wait_alu 0xf1ff
	v_add_co_ci_u32_e64 v34, null, v3, v13, s4
	v_mul_f64_e32 v[35:36], v[6:7], v[54:55]
	v_mul_f64_e32 v[37:38], v[4:5], v[54:55]
	global_load_b128 v[29:32], v[33:34], off
	v_fma_f64 v[35:36], v[4:5], v[52:53], -v[35:36]
	v_fma_f64 v[37:38], v[6:7], v[52:53], v[37:38]
	s_wait_loadcnt 0x0
	s_delay_alu instid0(VALU_DEP_2) | instskip(NEXT) | instid1(VALU_DEP_2)
	v_add_f64_e32 v[29:30], v[29:30], v[35:36]
	v_add_f64_e32 v[31:32], v[37:38], v[31:32]
	global_store_b128 v[33:34], v[29:32], off
.LBB128_65:                             ;   in Loop: Header=BB128_8 Depth=2
	s_wait_alu 0xfffe
	s_or_b32 exec_lo, exec_lo, s5
	s_and_b32 s5, s3, vcc_lo
	s_wait_alu 0xfffe
	s_and_saveexec_b32 s4, s5
	s_cbranch_execz .LBB128_7
; %bb.66:                               ;   in Loop: Header=BB128_8 Depth=2
	v_add_co_u32 v2, vcc_lo, v2, v20
	s_wait_alu 0xfffd
	v_add_co_ci_u32_e64 v3, null, v3, v21, vcc_lo
	v_mul_f64_e32 v[33:34], v[6:7], v[60:61]
	v_mul_f64_e32 v[35:36], v[4:5], v[60:61]
	global_load_b128 v[29:32], v[2:3], off
	v_fma_f64 v[33:34], v[4:5], v[62:63], -v[33:34]
	v_fma_f64 v[35:36], v[6:7], v[62:63], v[35:36]
	s_wait_loadcnt 0x0
	s_delay_alu instid0(VALU_DEP_2) | instskip(NEXT) | instid1(VALU_DEP_2)
	v_add_f64_e32 v[29:30], v[29:30], v[33:34]
	v_add_f64_e32 v[31:32], v[35:36], v[31:32]
	global_store_b128 v[2:3], v[29:32], off
	s_branch .LBB128_7
.LBB128_67:
	s_nop 0
	s_sendmsg sendmsg(MSG_DEALLOC_VGPRS)
	s_endpgm
	.section	.rodata,"a",@progbits
	.p2align	6, 0x0
	.amdhsa_kernel _ZL30rocblas_trmm_outofplace_kernelI19rocblas_complex_numIdELi32ELi2ELb0ELb0ELb1ELb1EPKS1_S2_S1_Ev17rocblas_diagonal_iiT6_lPT7_lllS7_lllPT8_llli
		.amdhsa_group_segment_fixed_size 32768
		.amdhsa_private_segment_fixed_size 0
		.amdhsa_kernarg_size 392
		.amdhsa_user_sgpr_count 2
		.amdhsa_user_sgpr_dispatch_ptr 0
		.amdhsa_user_sgpr_queue_ptr 0
		.amdhsa_user_sgpr_kernarg_segment_ptr 1
		.amdhsa_user_sgpr_dispatch_id 0
		.amdhsa_user_sgpr_private_segment_size 0
		.amdhsa_wavefront_size32 1
		.amdhsa_uses_dynamic_stack 0
		.amdhsa_enable_private_segment 0
		.amdhsa_system_sgpr_workgroup_id_x 1
		.amdhsa_system_sgpr_workgroup_id_y 1
		.amdhsa_system_sgpr_workgroup_id_z 1
		.amdhsa_system_sgpr_workgroup_info 0
		.amdhsa_system_vgpr_workitem_id 1
		.amdhsa_next_free_vgpr 100
		.amdhsa_next_free_sgpr 54
		.amdhsa_reserve_vcc 1
		.amdhsa_float_round_mode_32 0
		.amdhsa_float_round_mode_16_64 0
		.amdhsa_float_denorm_mode_32 3
		.amdhsa_float_denorm_mode_16_64 3
		.amdhsa_fp16_overflow 0
		.amdhsa_workgroup_processor_mode 1
		.amdhsa_memory_ordered 1
		.amdhsa_forward_progress 1
		.amdhsa_inst_pref_size 76
		.amdhsa_round_robin_scheduling 0
		.amdhsa_exception_fp_ieee_invalid_op 0
		.amdhsa_exception_fp_denorm_src 0
		.amdhsa_exception_fp_ieee_div_zero 0
		.amdhsa_exception_fp_ieee_overflow 0
		.amdhsa_exception_fp_ieee_underflow 0
		.amdhsa_exception_fp_ieee_inexact 0
		.amdhsa_exception_int_div_zero 0
	.end_amdhsa_kernel
	.section	.text._ZL30rocblas_trmm_outofplace_kernelI19rocblas_complex_numIdELi32ELi2ELb0ELb0ELb1ELb1EPKS1_S2_S1_Ev17rocblas_diagonal_iiT6_lPT7_lllS7_lllPT8_llli,"axG",@progbits,_ZL30rocblas_trmm_outofplace_kernelI19rocblas_complex_numIdELi32ELi2ELb0ELb0ELb1ELb1EPKS1_S2_S1_Ev17rocblas_diagonal_iiT6_lPT7_lllS7_lllPT8_llli,comdat
.Lfunc_end128:
	.size	_ZL30rocblas_trmm_outofplace_kernelI19rocblas_complex_numIdELi32ELi2ELb0ELb0ELb1ELb1EPKS1_S2_S1_Ev17rocblas_diagonal_iiT6_lPT7_lllS7_lllPT8_llli, .Lfunc_end128-_ZL30rocblas_trmm_outofplace_kernelI19rocblas_complex_numIdELi32ELi2ELb0ELb0ELb1ELb1EPKS1_S2_S1_Ev17rocblas_diagonal_iiT6_lPT7_lllS7_lllPT8_llli
                                        ; -- End function
	.set _ZL30rocblas_trmm_outofplace_kernelI19rocblas_complex_numIdELi32ELi2ELb0ELb0ELb1ELb1EPKS1_S2_S1_Ev17rocblas_diagonal_iiT6_lPT7_lllS7_lllPT8_llli.num_vgpr, 100
	.set _ZL30rocblas_trmm_outofplace_kernelI19rocblas_complex_numIdELi32ELi2ELb0ELb0ELb1ELb1EPKS1_S2_S1_Ev17rocblas_diagonal_iiT6_lPT7_lllS7_lllPT8_llli.num_agpr, 0
	.set _ZL30rocblas_trmm_outofplace_kernelI19rocblas_complex_numIdELi32ELi2ELb0ELb0ELb1ELb1EPKS1_S2_S1_Ev17rocblas_diagonal_iiT6_lPT7_lllS7_lllPT8_llli.numbered_sgpr, 54
	.set _ZL30rocblas_trmm_outofplace_kernelI19rocblas_complex_numIdELi32ELi2ELb0ELb0ELb1ELb1EPKS1_S2_S1_Ev17rocblas_diagonal_iiT6_lPT7_lllS7_lllPT8_llli.num_named_barrier, 0
	.set _ZL30rocblas_trmm_outofplace_kernelI19rocblas_complex_numIdELi32ELi2ELb0ELb0ELb1ELb1EPKS1_S2_S1_Ev17rocblas_diagonal_iiT6_lPT7_lllS7_lllPT8_llli.private_seg_size, 0
	.set _ZL30rocblas_trmm_outofplace_kernelI19rocblas_complex_numIdELi32ELi2ELb0ELb0ELb1ELb1EPKS1_S2_S1_Ev17rocblas_diagonal_iiT6_lPT7_lllS7_lllPT8_llli.uses_vcc, 1
	.set _ZL30rocblas_trmm_outofplace_kernelI19rocblas_complex_numIdELi32ELi2ELb0ELb0ELb1ELb1EPKS1_S2_S1_Ev17rocblas_diagonal_iiT6_lPT7_lllS7_lllPT8_llli.uses_flat_scratch, 0
	.set _ZL30rocblas_trmm_outofplace_kernelI19rocblas_complex_numIdELi32ELi2ELb0ELb0ELb1ELb1EPKS1_S2_S1_Ev17rocblas_diagonal_iiT6_lPT7_lllS7_lllPT8_llli.has_dyn_sized_stack, 0
	.set _ZL30rocblas_trmm_outofplace_kernelI19rocblas_complex_numIdELi32ELi2ELb0ELb0ELb1ELb1EPKS1_S2_S1_Ev17rocblas_diagonal_iiT6_lPT7_lllS7_lllPT8_llli.has_recursion, 0
	.set _ZL30rocblas_trmm_outofplace_kernelI19rocblas_complex_numIdELi32ELi2ELb0ELb0ELb1ELb1EPKS1_S2_S1_Ev17rocblas_diagonal_iiT6_lPT7_lllS7_lllPT8_llli.has_indirect_call, 0
	.section	.AMDGPU.csdata,"",@progbits
; Kernel info:
; codeLenInByte = 9652
; TotalNumSgprs: 56
; NumVgprs: 100
; ScratchSize: 0
; MemoryBound: 0
; FloatMode: 240
; IeeeMode: 1
; LDSByteSize: 32768 bytes/workgroup (compile time only)
; SGPRBlocks: 0
; VGPRBlocks: 12
; NumSGPRsForWavesPerEU: 56
; NumVGPRsForWavesPerEU: 100
; Occupancy: 12
; WaveLimiterHint : 0
; COMPUTE_PGM_RSRC2:SCRATCH_EN: 0
; COMPUTE_PGM_RSRC2:USER_SGPR: 2
; COMPUTE_PGM_RSRC2:TRAP_HANDLER: 0
; COMPUTE_PGM_RSRC2:TGID_X_EN: 1
; COMPUTE_PGM_RSRC2:TGID_Y_EN: 1
; COMPUTE_PGM_RSRC2:TGID_Z_EN: 1
; COMPUTE_PGM_RSRC2:TIDIG_COMP_CNT: 1
	.section	.text._ZL30rocblas_trmm_outofplace_kernelI19rocblas_complex_numIdELi32ELi2ELb0ELb0ELb1ELb1ES1_KS1_S1_Ev17rocblas_diagonal_iiT6_lPT7_lllS6_lllPT8_llli,"axG",@progbits,_ZL30rocblas_trmm_outofplace_kernelI19rocblas_complex_numIdELi32ELi2ELb0ELb0ELb1ELb1ES1_KS1_S1_Ev17rocblas_diagonal_iiT6_lPT7_lllS6_lllPT8_llli,comdat
	.globl	_ZL30rocblas_trmm_outofplace_kernelI19rocblas_complex_numIdELi32ELi2ELb0ELb0ELb1ELb1ES1_KS1_S1_Ev17rocblas_diagonal_iiT6_lPT7_lllS6_lllPT8_llli ; -- Begin function _ZL30rocblas_trmm_outofplace_kernelI19rocblas_complex_numIdELi32ELi2ELb0ELb0ELb1ELb1ES1_KS1_S1_Ev17rocblas_diagonal_iiT6_lPT7_lllS6_lllPT8_llli
	.p2align	8
	.type	_ZL30rocblas_trmm_outofplace_kernelI19rocblas_complex_numIdELi32ELi2ELb0ELb0ELb1ELb1ES1_KS1_S1_Ev17rocblas_diagonal_iiT6_lPT7_lllS6_lllPT8_llli,@function
_ZL30rocblas_trmm_outofplace_kernelI19rocblas_complex_numIdELi32ELi2ELb0ELb0ELb1ELb1ES1_KS1_S1_Ev17rocblas_diagonal_iiT6_lPT7_lllS6_lllPT8_llli: ; @_ZL30rocblas_trmm_outofplace_kernelI19rocblas_complex_numIdELi32ELi2ELb0ELb0ELb1ELb1ES1_KS1_S1_Ev17rocblas_diagonal_iiT6_lPT7_lllS6_lllPT8_llli
; %bb.0:
	s_load_b32 s33, s[0:1], 0x88
	s_lshr_b32 s34, ttmp7, 16
	s_wait_kmcnt 0x0
	s_cmp_ge_u32 s34, s33
	s_cbranch_scc1 .LBB129_66
; %bb.1:
	s_load_b128 s[28:31], s[0:1], 0x10
	s_wait_kmcnt 0x0
	v_cmp_eq_f64_e64 s2, s[28:29], 0
	v_cmp_eq_f64_e64 s3, s[30:31], 0
	s_and_b32 s2, s2, s3
	s_delay_alu instid0(SALU_CYCLE_1)
	s_and_b32 vcc_lo, exec_lo, s2
	s_cbranch_vccnz .LBB129_66
; %bb.2:
	s_clause 0x2
	s_load_b96 s[36:38], s[0:1], 0x0
	s_load_b512 s[4:19], s[0:1], 0x28
	s_load_b256 s[20:27], s[0:1], 0x68
	v_bfe_u32 v65, v0, 10, 10
	s_add_nc_u64 s[40:41], s[0:1], 0x90
	v_and_b32_e32 v64, 0x3ff, v0
	s_and_b32 s39, ttmp7, 0xffff
	s_delay_alu instid0(VALU_DEP_2) | instid1(SALU_CYCLE_1)
	v_lshl_add_u32 v73, s39, 5, v65
	s_delay_alu instid0(VALU_DEP_2) | instskip(NEXT) | instid1(VALU_DEP_1)
	v_lshl_add_u32 v1, ttmp9, 5, v64
	v_ashrrev_i32_e32 v2, 31, v1
	v_add_nc_u32_e32 v18, 16, v1
	s_wait_kmcnt 0x0
	s_add_co_i32 s0, s38, -1
	v_mad_co_u64_u32 v[3:4], null, s16, v65, 0
	s_wait_alu 0xfffe
	s_ashr_i32 s1, s0, 31
	v_mad_co_u64_u32 v[14:15], null, s8, v64, 0
	s_wait_alu 0xfffe
	s_lshr_b32 s1, s1, 27
	v_cmp_gt_i32_e64 s2, s37, v1
	s_wait_alu 0xfffe
	s_add_co_i32 s0, s0, s1
	v_mad_co_u64_u32 v[4:5], null, s17, v65, v[4:5]
	s_wait_alu 0xfffe
	s_ashr_i32 s48, s0, 5
	v_sub_co_u32 v5, vcc_lo, s37, v1
	s_cmp_le_i32 s39, s48
	s_mov_b32 s42, s38
	s_cselect_b32 s49, -1, 0
	s_cmp_eq_u32 s36, 0x84
	s_cselect_b32 s36, -1, 0
	s_ashr_i32 s0, s37, 31
	s_lshl_b64 s[6:7], s[6:7], 4
	s_wait_alu 0xfffe
	v_sub_co_ci_u32_e64 v6, null, s0, v2, vcc_lo
	s_lshl_b64 s[0:1], s[22:23], 4
	s_add_nc_u64 s[4:5], s[4:5], s[6:7]
	s_wait_alu 0xfffe
	s_add_nc_u64 s[20:21], s[20:21], s[0:1]
	v_cmp_gt_i64_e64 s0, 1, v[5:6]
	v_cmp_gt_i64_e64 s1, 17, v[5:6]
	v_lshl_add_u32 v5, v65, 4, 0x100
	v_lshlrev_b64_e32 v[6:7], 4, v[3:4]
	v_mov_b32_e32 v3, v15
	s_lshl_b64 s[14:15], s[14:15], 4
	v_sub_co_u32 v71, s35, 0, v64
	v_mad_co_u64_u32 v[8:9], null, s16, v5, 0
	v_lshlrev_b32_e32 v10, 4, v64
	v_mad_co_u64_u32 v[3:4], null, s9, v64, v[3:4]
	v_lshlrev_b32_e32 v66, 9, v65
	s_add_nc_u64 s[6:7], s[12:13], s[14:15]
	s_delay_alu instid0(VALU_DEP_3) | instskip(SKIP_3) | instid1(VALU_DEP_4)
	v_add_nc_u32_e32 v16, 0x100, v10
	v_or_b32_e32 v67, 0x4000, v10
	v_sub_co_ci_u32_e64 v72, null, 0, 0, s35
	v_mov_b32_e32 v15, v3
	v_mad_co_u64_u32 v[12:13], null, s8, v16, s[4:5]
	v_add_nc_u32_e32 v68, v66, v10
	v_lshlrev_b64_e32 v[10:11], 4, v[1:2]
	v_dual_mov_b32 v1, v9 :: v_dual_mov_b32 v0, 0
	v_add_nc_u32_e32 v69, v67, v66
	s_ashr_i32 s43, s38, 31
	v_mov_b32_e32 v2, v13
	s_delay_alu instid0(VALU_DEP_4) | instskip(SKIP_2) | instid1(VALU_DEP_3)
	v_add_co_u32 v9, vcc_lo, s6, v10
	s_wait_alu 0xfffd
	v_add_co_ci_u32_e64 v17, null, s7, v11, vcc_lo
	v_mad_co_u64_u32 v[3:4], null, s17, v5, v[1:2]
	v_lshlrev_b64_e32 v[4:5], 4, v[14:15]
	v_add_co_u32 v14, vcc_lo, 0x100, v9
	s_wait_alu 0xfffd
	v_add_co_ci_u32_e64 v15, null, 0, v17, vcc_lo
	v_add_nc_u32_e32 v70, 0x2100, v69
	v_mad_co_u64_u32 v[1:2], null, s9, v16, v[2:3]
	v_add_co_u32 v16, vcc_lo, s4, v4
	v_mov_b32_e32 v9, v3
	s_wait_alu 0xfffd
	v_add_co_ci_u32_e64 v17, null, s5, v5, vcc_lo
	s_lshl_b64 s[44:45], s[8:9], 9
	v_mov_b32_e32 v13, v1
	v_ashrrev_i32_e32 v19, 31, v18
	v_cmp_gt_i32_e64 s3, s37, v18
	v_mov_b32_e32 v1, 0x3ff00000
	s_lshl_b64 s[22:23], s[16:17], 9
	s_add_nc_u64 s[46:47], s[42:43], -16
	v_lshlrev_b64_e32 v[18:19], 4, v[18:19]
	s_lshl_b64 s[12:13], s[18:19], 4
	s_lshl_b64 s[10:11], s[10:11], 4
	s_mov_b32 s35, 0
	s_branch .LBB129_4
.LBB129_3:                              ;   in Loop: Header=BB129_4 Depth=1
	s_add_co_i32 s34, s34, 0x10000
	s_wait_alu 0xfffe
	s_cmp_ge_u32 s34, s33
	s_cbranch_scc1 .LBB129_66
.LBB129_4:                              ; =>This Loop Header: Depth=1
                                        ;     Child Loop BB129_7 Depth 2
                                        ;       Child Loop BB129_10 Depth 3
	s_and_not1_b32 vcc_lo, exec_lo, s49
	s_wait_alu 0xfffe
	s_cbranch_vccnz .LBB129_3
; %bb.5:                                ;   in Loop: Header=BB129_4 Depth=1
	v_mad_co_u64_u32 v[20:21], null, s12, s34, v[14:15]
	s_load_b32 s18, s[40:41], 0x4
	v_mad_co_u64_u32 v[22:23], null, s10, s34, v[16:17]
	s_mul_i32 s6, s11, s34
	v_mad_co_u64_u32 v[24:25], null, s10, s34, v[12:13]
	v_mov_b32_e32 v2, v21
	s_mul_u64 s[4:5], s[26:27], s[34:35]
	s_wait_alu 0xfffe
	v_dual_mov_b32 v26, v73 :: v_dual_add_nc_u32 v23, s6, v23
	s_lshl_b64 s[4:5], s[4:5], 4
	v_mad_co_u64_u32 v[2:3], null, s13, s34, v[2:3]
	s_delay_alu instid0(VALU_DEP_4) | instskip(SKIP_3) | instid1(VALU_DEP_2)
	v_add_nc_u32_e32 v25, s6, v25
	s_wait_alu 0xfffe
	s_add_nc_u64 s[14:15], s[20:21], s[4:5]
	s_mov_b32 s37, s39
	v_mov_b32_e32 v21, v2
	s_wait_kmcnt 0x0
	s_lshl_b32 s19, s18, 5
	s_branch .LBB129_7
.LBB129_6:                              ;   in Loop: Header=BB129_7 Depth=2
	s_wait_alu 0xfffe
	s_or_b32 exec_lo, exec_lo, s4
	v_add_nc_u32_e32 v26, s19, v26
	s_add_co_i32 s37, s18, s37
	s_wait_alu 0xfffe
	s_cmp_gt_i32 s37, s48
	s_cbranch_scc1 .LBB129_3
.LBB129_7:                              ;   Parent Loop BB129_4 Depth=1
                                        ; =>  This Loop Header: Depth=2
                                        ;       Child Loop BB129_10 Depth 3
	s_wait_alu 0xfffe
	s_lshl_b32 s50, s37, 5
	v_mov_b32_e32 v50, 0
	s_wait_alu 0xfffe
	v_dual_mov_b32 v51, 0 :: v_dual_add_nc_u32 v28, s50, v65
	v_mov_b32_e32 v52, 0
	v_mov_b32_e32 v46, 0
	;; [unrolled: 1-line block ×6, first 2 shown]
	v_dual_mov_b32 v58, 0 :: v_dual_mov_b32 v53, 0
	v_mov_b32_e32 v47, 0
	v_mov_b32_e32 v49, 0
	;; [unrolled: 1-line block ×6, first 2 shown]
	v_ashrrev_i32_e32 v29, 31, v28
	s_cmp_lt_i32 s37, 0
	s_cbranch_scc1 .LBB129_58
; %bb.8:                                ;   in Loop: Header=BB129_7 Depth=2
	v_ashrrev_i32_e32 v27, 31, v26
	v_add_co_u32 v30, vcc_lo, v28, 16
	s_wait_alu 0xfffd
	v_add_co_ci_u32_e64 v31, null, 0, v29, vcc_lo
	v_add_co_u32 v32, vcc_lo, v71, v26
	s_wait_alu 0xfffd
	v_add_co_ci_u32_e64 v33, null, v72, v27, vcc_lo
	v_mov_b32_e32 v62, 0
	s_delay_alu instid0(VALU_DEP_3) | instskip(SKIP_1) | instid1(VALU_DEP_3)
	v_add_co_u32 v36, s5, v32, 16
	s_wait_alu 0xf1ff
	v_add_co_ci_u32_e64 v37, null, 0, v33, s5
	v_add_co_u32 v38, s5, v32, -16
	v_mov_b32_e32 v54, 0
	v_mov_b32_e32 v46, 0
	v_lshlrev_b64_e32 v[34:35], 4, v[26:27]
	v_cmp_le_i64_e64 s4, s[42:43], v[30:31]
	v_dual_mov_b32 v58, 0 :: v_dual_mov_b32 v41, v25
	v_dual_mov_b32 v63, 0 :: v_dual_mov_b32 v56, 0
	v_dual_mov_b32 v55, 0 :: v_dual_mov_b32 v48, 0
	v_dual_mov_b32 v47, 0 :: v_dual_mov_b32 v52, 0
	v_dual_mov_b32 v50, 0 :: v_dual_mov_b32 v45, v21
	s_wait_alu 0xf1ff
	v_add_co_ci_u32_e64 v39, null, -1, v33, s5
	v_dual_mov_b32 v59, 0 :: v_dual_mov_b32 v40, v24
	v_dual_mov_b32 v43, v23 :: v_dual_mov_b32 v42, v22
	v_mov_b32_e32 v57, 0
	v_mov_b32_e32 v49, 0
	;; [unrolled: 1-line block ×3, first 2 shown]
	v_dual_mov_b32 v51, 0 :: v_dual_mov_b32 v44, v20
	s_mov_b64 s[16:17], 0
	v_cmp_le_i32_e32 vcc_lo, s38, v28
	s_branch .LBB129_10
.LBB129_9:                              ;   in Loop: Header=BB129_10 Depth=3
	s_wait_alu 0xfffe
	s_or_b32 exec_lo, exec_lo, s5
	s_wait_dscnt 0x0
	s_barrier_signal -1
	s_barrier_wait -1
	global_inv scope:SCOPE_SE
	ds_load_b128 v[74:77], v66
	ds_load_b128 v[78:81], v66 offset:16
	ds_load_b128 v[82:85], v66 offset:32
	ds_load_b128 v[2:5], v66 offset:48
	ds_load_b128 v[86:89], v67
	v_add_co_u32 v44, s5, v44, s22
	s_wait_alu 0xf1ff
	v_add_co_ci_u32_e64 v45, null, s23, v45, s5
	v_add_co_u32 v42, s5, v42, s44
	s_wait_alu 0xf1ff
	v_add_co_ci_u32_e64 v43, null, s45, v43, s5
	v_add_co_u32 v40, s5, v40, s44
	s_add_nc_u64 s[16:17], s[16:17], 32
	v_add_co_ci_u32_e64 v41, null, s45, v41, s5
	s_wait_alu 0xfffe
	s_sub_co_i32 s6, s16, 32
	s_wait_alu 0xfffe
	s_cmp_ge_i32 s6, s50
	s_wait_dscnt 0x0
	v_mul_f64_e32 v[60:61], v[76:77], v[88:89]
	v_mul_f64_e32 v[90:91], v[74:75], v[88:89]
	s_delay_alu instid0(VALU_DEP_2) | instskip(NEXT) | instid1(VALU_DEP_2)
	v_fma_f64 v[60:61], v[74:75], v[86:87], -v[60:61]
	v_fma_f64 v[90:91], v[76:77], v[86:87], v[90:91]
	s_delay_alu instid0(VALU_DEP_2) | instskip(NEXT) | instid1(VALU_DEP_2)
	v_add_f64_e32 v[60:61], v[50:51], v[60:61]
	v_add_f64_e32 v[90:91], v[90:91], v[52:53]
	ds_load_b128 v[50:53], v67 offset:256
	s_wait_dscnt 0x0
	v_mul_f64_e32 v[92:93], v[76:77], v[52:53]
	s_delay_alu instid0(VALU_DEP_1) | instskip(SKIP_1) | instid1(VALU_DEP_1)
	v_fma_f64 v[92:93], v[74:75], v[50:51], -v[92:93]
	v_mul_f64_e32 v[74:75], v[74:75], v[52:53]
	v_fma_f64 v[74:75], v[76:77], v[50:51], v[74:75]
	s_delay_alu instid0(VALU_DEP_3) | instskip(NEXT) | instid1(VALU_DEP_2)
	v_add_f64_e32 v[76:77], v[46:47], v[92:93]
	v_add_f64_e32 v[74:75], v[74:75], v[48:49]
	ds_load_b128 v[46:49], v66 offset:8192
	s_wait_dscnt 0x0
	v_mul_f64_e32 v[92:93], v[48:49], v[88:89]
	v_mul_f64_e32 v[88:89], v[46:47], v[88:89]
	s_delay_alu instid0(VALU_DEP_2) | instskip(NEXT) | instid1(VALU_DEP_2)
	v_fma_f64 v[92:93], v[46:47], v[86:87], -v[92:93]
	v_fma_f64 v[86:87], v[48:49], v[86:87], v[88:89]
	s_delay_alu instid0(VALU_DEP_2) | instskip(SKIP_1) | instid1(VALU_DEP_3)
	v_add_f64_e32 v[88:89], v[54:55], v[92:93]
	v_mul_f64_e32 v[54:55], v[48:49], v[52:53]
	v_add_f64_e32 v[86:87], v[86:87], v[56:57]
	s_delay_alu instid0(VALU_DEP_2) | instskip(SKIP_1) | instid1(VALU_DEP_2)
	v_fma_f64 v[54:55], v[46:47], v[50:51], -v[54:55]
	v_mul_f64_e32 v[46:47], v[46:47], v[52:53]
	v_add_f64_e32 v[62:63], v[62:63], v[54:55]
	s_delay_alu instid0(VALU_DEP_2) | instskip(NEXT) | instid1(VALU_DEP_1)
	v_fma_f64 v[46:47], v[48:49], v[50:51], v[46:47]
	v_add_f64_e32 v[58:59], v[46:47], v[58:59]
	ds_load_b128 v[46:49], v67 offset:512
	s_wait_dscnt 0x0
	v_mul_f64_e32 v[50:51], v[80:81], v[48:49]
	v_mul_f64_e32 v[52:53], v[78:79], v[48:49]
	s_delay_alu instid0(VALU_DEP_2) | instskip(NEXT) | instid1(VALU_DEP_2)
	v_fma_f64 v[50:51], v[78:79], v[46:47], -v[50:51]
	v_fma_f64 v[52:53], v[80:81], v[46:47], v[52:53]
	s_delay_alu instid0(VALU_DEP_2) | instskip(NEXT) | instid1(VALU_DEP_2)
	v_add_f64_e32 v[60:61], v[60:61], v[50:51]
	v_add_f64_e32 v[90:91], v[52:53], v[90:91]
	ds_load_b128 v[50:53], v67 offset:768
	s_wait_dscnt 0x0
	v_mul_f64_e32 v[54:55], v[80:81], v[52:53]
	v_mul_f64_e32 v[56:57], v[78:79], v[52:53]
	s_delay_alu instid0(VALU_DEP_2) | instskip(NEXT) | instid1(VALU_DEP_2)
	v_fma_f64 v[54:55], v[78:79], v[50:51], -v[54:55]
	v_fma_f64 v[56:57], v[80:81], v[50:51], v[56:57]
	s_delay_alu instid0(VALU_DEP_2) | instskip(NEXT) | instid1(VALU_DEP_2)
	v_add_f64_e32 v[76:77], v[76:77], v[54:55]
	v_add_f64_e32 v[74:75], v[56:57], v[74:75]
	ds_load_b128 v[54:57], v66 offset:8208
	s_wait_dscnt 0x0
	v_mul_f64_e32 v[78:79], v[56:57], v[48:49]
	v_mul_f64_e32 v[48:49], v[54:55], v[48:49]
	s_delay_alu instid0(VALU_DEP_2) | instskip(NEXT) | instid1(VALU_DEP_2)
	v_fma_f64 v[78:79], v[54:55], v[46:47], -v[78:79]
	v_fma_f64 v[46:47], v[56:57], v[46:47], v[48:49]
	v_mul_f64_e32 v[48:49], v[54:55], v[52:53]
	s_delay_alu instid0(VALU_DEP_3) | instskip(NEXT) | instid1(VALU_DEP_3)
	v_add_f64_e32 v[78:79], v[88:89], v[78:79]
	v_add_f64_e32 v[80:81], v[46:47], v[86:87]
	v_mul_f64_e32 v[46:47], v[56:57], v[52:53]
	s_delay_alu instid0(VALU_DEP_4) | instskip(NEXT) | instid1(VALU_DEP_2)
	v_fma_f64 v[48:49], v[56:57], v[50:51], v[48:49]
	v_fma_f64 v[46:47], v[54:55], v[50:51], -v[46:47]
	s_delay_alu instid0(VALU_DEP_2) | instskip(NEXT) | instid1(VALU_DEP_2)
	v_add_f64_e32 v[58:59], v[48:49], v[58:59]
	v_add_f64_e32 v[62:63], v[62:63], v[46:47]
	ds_load_b128 v[46:49], v67 offset:1024
	s_wait_dscnt 0x0
	v_mul_f64_e32 v[50:51], v[84:85], v[48:49]
	v_mul_f64_e32 v[52:53], v[82:83], v[48:49]
	s_delay_alu instid0(VALU_DEP_2) | instskip(NEXT) | instid1(VALU_DEP_2)
	v_fma_f64 v[50:51], v[82:83], v[46:47], -v[50:51]
	v_fma_f64 v[52:53], v[84:85], v[46:47], v[52:53]
	s_delay_alu instid0(VALU_DEP_2) | instskip(NEXT) | instid1(VALU_DEP_2)
	v_add_f64_e32 v[60:61], v[60:61], v[50:51]
	v_add_f64_e32 v[86:87], v[52:53], v[90:91]
	ds_load_b128 v[50:53], v67 offset:1280
	s_wait_dscnt 0x0
	v_mul_f64_e32 v[54:55], v[84:85], v[52:53]
	v_mul_f64_e32 v[56:57], v[82:83], v[52:53]
	s_delay_alu instid0(VALU_DEP_2) | instskip(NEXT) | instid1(VALU_DEP_2)
	v_fma_f64 v[54:55], v[82:83], v[50:51], -v[54:55]
	v_fma_f64 v[56:57], v[84:85], v[50:51], v[56:57]
	;; [unrolled: 10-line block ×3, first 2 shown]
	v_mul_f64_e32 v[48:49], v[54:55], v[52:53]
	s_delay_alu instid0(VALU_DEP_3) | instskip(NEXT) | instid1(VALU_DEP_3)
	v_add_f64_e32 v[78:79], v[78:79], v[82:83]
	v_add_f64_e32 v[80:81], v[46:47], v[80:81]
	v_mul_f64_e32 v[46:47], v[56:57], v[52:53]
	s_delay_alu instid0(VALU_DEP_4) | instskip(NEXT) | instid1(VALU_DEP_2)
	v_fma_f64 v[48:49], v[56:57], v[50:51], v[48:49]
	v_fma_f64 v[46:47], v[54:55], v[50:51], -v[46:47]
	s_delay_alu instid0(VALU_DEP_2) | instskip(NEXT) | instid1(VALU_DEP_2)
	v_add_f64_e32 v[56:57], v[48:49], v[58:59]
	v_add_f64_e32 v[54:55], v[62:63], v[46:47]
	ds_load_b128 v[46:49], v67 offset:1536
	s_wait_dscnt 0x0
	v_mul_f64_e32 v[50:51], v[4:5], v[48:49]
	v_mul_f64_e32 v[52:53], v[2:3], v[48:49]
	s_delay_alu instid0(VALU_DEP_2) | instskip(NEXT) | instid1(VALU_DEP_2)
	v_fma_f64 v[50:51], v[2:3], v[46:47], -v[50:51]
	v_fma_f64 v[52:53], v[4:5], v[46:47], v[52:53]
	s_delay_alu instid0(VALU_DEP_2) | instskip(NEXT) | instid1(VALU_DEP_2)
	v_add_f64_e32 v[58:59], v[60:61], v[50:51]
	v_add_f64_e32 v[60:61], v[52:53], v[86:87]
	ds_load_b128 v[50:53], v67 offset:1792
	s_wait_dscnt 0x0
	v_mul_f64_e32 v[62:63], v[4:5], v[52:53]
	s_delay_alu instid0(VALU_DEP_1) | instskip(SKIP_1) | instid1(VALU_DEP_2)
	v_fma_f64 v[62:63], v[2:3], v[50:51], -v[62:63]
	v_mul_f64_e32 v[2:3], v[2:3], v[52:53]
	v_add_f64_e32 v[62:63], v[76:77], v[62:63]
	s_delay_alu instid0(VALU_DEP_2) | instskip(NEXT) | instid1(VALU_DEP_1)
	v_fma_f64 v[2:3], v[4:5], v[50:51], v[2:3]
	v_add_f64_e32 v[74:75], v[2:3], v[74:75]
	ds_load_b128 v[2:5], v66 offset:8240
	s_wait_dscnt 0x0
	v_mul_f64_e32 v[76:77], v[4:5], v[48:49]
	v_mul_f64_e32 v[48:49], v[2:3], v[48:49]
	s_delay_alu instid0(VALU_DEP_2) | instskip(NEXT) | instid1(VALU_DEP_2)
	v_fma_f64 v[76:77], v[2:3], v[46:47], -v[76:77]
	v_fma_f64 v[46:47], v[4:5], v[46:47], v[48:49]
	s_delay_alu instid0(VALU_DEP_2) | instskip(NEXT) | instid1(VALU_DEP_2)
	v_add_f64_e32 v[76:77], v[78:79], v[76:77]
	v_add_f64_e32 v[78:79], v[46:47], v[80:81]
	v_mul_f64_e32 v[46:47], v[4:5], v[52:53]
	s_delay_alu instid0(VALU_DEP_1) | instskip(SKIP_1) | instid1(VALU_DEP_2)
	v_fma_f64 v[46:47], v[2:3], v[50:51], -v[46:47]
	v_mul_f64_e32 v[2:3], v[2:3], v[52:53]
	v_add_f64_e32 v[54:55], v[54:55], v[46:47]
	s_delay_alu instid0(VALU_DEP_2) | instskip(NEXT) | instid1(VALU_DEP_1)
	v_fma_f64 v[2:3], v[4:5], v[50:51], v[2:3]
	v_add_f64_e32 v[56:57], v[2:3], v[56:57]
	ds_load_b128 v[2:5], v66 offset:64
	ds_load_b128 v[46:49], v67 offset:2048
	s_wait_dscnt 0x0
	v_mul_f64_e32 v[50:51], v[4:5], v[48:49]
	v_mul_f64_e32 v[52:53], v[2:3], v[48:49]
	s_delay_alu instid0(VALU_DEP_2) | instskip(NEXT) | instid1(VALU_DEP_2)
	v_fma_f64 v[50:51], v[2:3], v[46:47], -v[50:51]
	v_fma_f64 v[52:53], v[4:5], v[46:47], v[52:53]
	s_delay_alu instid0(VALU_DEP_2) | instskip(NEXT) | instid1(VALU_DEP_2)
	v_add_f64_e32 v[58:59], v[58:59], v[50:51]
	v_add_f64_e32 v[60:61], v[52:53], v[60:61]
	ds_load_b128 v[50:53], v67 offset:2304
	s_wait_dscnt 0x0
	v_mul_f64_e32 v[80:81], v[4:5], v[52:53]
	s_delay_alu instid0(VALU_DEP_1) | instskip(SKIP_1) | instid1(VALU_DEP_2)
	v_fma_f64 v[80:81], v[2:3], v[50:51], -v[80:81]
	v_mul_f64_e32 v[2:3], v[2:3], v[52:53]
	v_add_f64_e32 v[62:63], v[62:63], v[80:81]
	s_delay_alu instid0(VALU_DEP_2) | instskip(NEXT) | instid1(VALU_DEP_1)
	v_fma_f64 v[2:3], v[4:5], v[50:51], v[2:3]
	v_add_f64_e32 v[74:75], v[2:3], v[74:75]
	ds_load_b128 v[2:5], v66 offset:8256
	s_wait_dscnt 0x0
	v_mul_f64_e32 v[80:81], v[4:5], v[48:49]
	v_mul_f64_e32 v[48:49], v[2:3], v[48:49]
	s_delay_alu instid0(VALU_DEP_2) | instskip(NEXT) | instid1(VALU_DEP_2)
	v_fma_f64 v[80:81], v[2:3], v[46:47], -v[80:81]
	v_fma_f64 v[46:47], v[4:5], v[46:47], v[48:49]
	s_delay_alu instid0(VALU_DEP_2) | instskip(NEXT) | instid1(VALU_DEP_2)
	v_add_f64_e32 v[76:77], v[76:77], v[80:81]
	v_add_f64_e32 v[78:79], v[46:47], v[78:79]
	v_mul_f64_e32 v[46:47], v[4:5], v[52:53]
	s_delay_alu instid0(VALU_DEP_1) | instskip(SKIP_1) | instid1(VALU_DEP_2)
	v_fma_f64 v[46:47], v[2:3], v[50:51], -v[46:47]
	v_mul_f64_e32 v[2:3], v[2:3], v[52:53]
	v_add_f64_e32 v[54:55], v[54:55], v[46:47]
	s_delay_alu instid0(VALU_DEP_2) | instskip(NEXT) | instid1(VALU_DEP_1)
	v_fma_f64 v[2:3], v[4:5], v[50:51], v[2:3]
	v_add_f64_e32 v[56:57], v[2:3], v[56:57]
	ds_load_b128 v[2:5], v66 offset:80
	;; [unrolled: 39-line block ×27, first 2 shown]
	ds_load_b128 v[46:49], v67 offset:15360
	s_wait_dscnt 0x0
	v_mul_f64_e32 v[50:51], v[4:5], v[48:49]
	v_mul_f64_e32 v[52:53], v[2:3], v[48:49]
	s_delay_alu instid0(VALU_DEP_2) | instskip(NEXT) | instid1(VALU_DEP_2)
	v_fma_f64 v[50:51], v[2:3], v[46:47], -v[50:51]
	v_fma_f64 v[52:53], v[4:5], v[46:47], v[52:53]
	s_delay_alu instid0(VALU_DEP_2) | instskip(NEXT) | instid1(VALU_DEP_2)
	v_add_f64_e32 v[58:59], v[58:59], v[50:51]
	v_add_f64_e32 v[60:61], v[52:53], v[60:61]
	ds_load_b128 v[50:53], v67 offset:15616
	s_wait_dscnt 0x0
	v_mul_f64_e32 v[80:81], v[4:5], v[52:53]
	s_delay_alu instid0(VALU_DEP_1) | instskip(SKIP_1) | instid1(VALU_DEP_2)
	v_fma_f64 v[80:81], v[2:3], v[50:51], -v[80:81]
	v_mul_f64_e32 v[2:3], v[2:3], v[52:53]
	v_add_f64_e32 v[80:81], v[62:63], v[80:81]
	s_delay_alu instid0(VALU_DEP_2) | instskip(NEXT) | instid1(VALU_DEP_1)
	v_fma_f64 v[2:3], v[4:5], v[50:51], v[2:3]
	v_add_f64_e32 v[74:75], v[2:3], v[74:75]
	ds_load_b128 v[2:5], v66 offset:8672
	s_wait_dscnt 0x0
	v_mul_f64_e32 v[62:63], v[4:5], v[48:49]
	v_mul_f64_e32 v[48:49], v[2:3], v[48:49]
	s_delay_alu instid0(VALU_DEP_2) | instskip(NEXT) | instid1(VALU_DEP_2)
	v_fma_f64 v[62:63], v[2:3], v[46:47], -v[62:63]
	v_fma_f64 v[46:47], v[4:5], v[46:47], v[48:49]
	s_delay_alu instid0(VALU_DEP_2) | instskip(NEXT) | instid1(VALU_DEP_2)
	v_add_f64_e32 v[82:83], v[76:77], v[62:63]
	v_add_f64_e32 v[78:79], v[46:47], v[78:79]
	v_mul_f64_e32 v[46:47], v[4:5], v[52:53]
	s_delay_alu instid0(VALU_DEP_1) | instskip(SKIP_1) | instid1(VALU_DEP_1)
	v_fma_f64 v[46:47], v[2:3], v[50:51], -v[46:47]
	v_mul_f64_e32 v[2:3], v[2:3], v[52:53]
	v_fma_f64 v[4:5], v[4:5], v[50:51], v[2:3]
	s_delay_alu instid0(VALU_DEP_3) | instskip(NEXT) | instid1(VALU_DEP_2)
	v_add_f64_e32 v[2:3], v[54:55], v[46:47]
	v_add_f64_e32 v[4:5], v[4:5], v[56:57]
	ds_load_b128 v[46:49], v66 offset:496
	ds_load_b128 v[54:57], v67 offset:15872
	s_wait_dscnt 0x0
	v_mul_f64_e32 v[52:53], v[46:47], v[56:57]
	v_mul_f64_e32 v[50:51], v[48:49], v[56:57]
	s_delay_alu instid0(VALU_DEP_2) | instskip(NEXT) | instid1(VALU_DEP_2)
	v_fma_f64 v[52:53], v[48:49], v[54:55], v[52:53]
	v_fma_f64 v[50:51], v[46:47], v[54:55], -v[50:51]
	s_delay_alu instid0(VALU_DEP_2) | instskip(SKIP_4) | instid1(VALU_DEP_1)
	v_add_f64_e32 v[52:53], v[52:53], v[60:61]
	ds_load_b128 v[60:63], v67 offset:16128
	v_add_f64_e32 v[50:51], v[58:59], v[50:51]
	s_wait_dscnt 0x0
	v_mul_f64_e32 v[58:59], v[48:49], v[62:63]
	v_fma_f64 v[58:59], v[46:47], v[60:61], -v[58:59]
	v_mul_f64_e32 v[46:47], v[46:47], v[62:63]
	s_delay_alu instid0(VALU_DEP_1) | instskip(NEXT) | instid1(VALU_DEP_3)
	v_fma_f64 v[48:49], v[48:49], v[60:61], v[46:47]
	v_add_f64_e32 v[46:47], v[80:81], v[58:59]
	s_delay_alu instid0(VALU_DEP_2)
	v_add_f64_e32 v[48:49], v[48:49], v[74:75]
	ds_load_b128 v[74:77], v66 offset:8688
	s_wait_loadcnt_dscnt 0x0
	s_barrier_signal -1
	s_barrier_wait -1
	global_inv scope:SCOPE_SE
	v_mul_f64_e32 v[58:59], v[76:77], v[56:57]
	v_mul_f64_e32 v[56:57], v[74:75], v[56:57]
	s_delay_alu instid0(VALU_DEP_2) | instskip(NEXT) | instid1(VALU_DEP_2)
	v_fma_f64 v[58:59], v[74:75], v[54:55], -v[58:59]
	v_fma_f64 v[56:57], v[76:77], v[54:55], v[56:57]
	s_delay_alu instid0(VALU_DEP_2) | instskip(SKIP_2) | instid1(VALU_DEP_4)
	v_add_f64_e32 v[54:55], v[82:83], v[58:59]
	v_mul_f64_e32 v[58:59], v[76:77], v[62:63]
	v_mul_f64_e32 v[62:63], v[74:75], v[62:63]
	v_add_f64_e32 v[56:57], v[56:57], v[78:79]
	s_delay_alu instid0(VALU_DEP_3) | instskip(NEXT) | instid1(VALU_DEP_3)
	v_fma_f64 v[58:59], v[74:75], v[60:61], -v[58:59]
	v_fma_f64 v[60:61], v[76:77], v[60:61], v[62:63]
	s_delay_alu instid0(VALU_DEP_2) | instskip(NEXT) | instid1(VALU_DEP_2)
	v_add_f64_e32 v[62:63], v[2:3], v[58:59]
	v_add_f64_e32 v[58:59], v[60:61], v[4:5]
	s_cbranch_scc1 .LBB129_58
.LBB129_10:                             ;   Parent Loop BB129_4 Depth=1
                                        ;     Parent Loop BB129_7 Depth=2
                                        ; =>    This Inner Loop Header: Depth=3
	s_wait_alu 0xfffe
	v_add_co_u32 v4, s5, v64, s16
	s_wait_alu 0xf1ff
	v_add_co_ci_u32_e64 v5, null, 0, s17, s5
	v_cmp_eq_u64_e64 s7, s[16:17], v[32:33]
	s_delay_alu instid0(VALU_DEP_2)
	v_cmp_gt_i64_e64 s5, v[4:5], v[28:29]
	v_cmp_le_i64_e64 s6, s[42:43], v[4:5]
	s_and_b32 s52, s36, s7
	v_add_co_u32 v60, s7, v42, v34
	s_or_b32 s8, vcc_lo, s5
	v_add_co_ci_u32_e64 v61, null, v43, v35, s7
	s_wait_alu 0xfffe
	s_or_b32 s7, s8, s52
	s_wait_alu 0xfffe
	s_nor_b32 s7, s6, s7
	s_wait_alu 0xfffe
	s_and_saveexec_b32 s8, s7
	s_wait_alu 0xfffe
	s_xor_b32 s7, exec_lo, s8
	s_cbranch_execz .LBB129_12
; %bb.11:                               ;   in Loop: Header=BB129_10 Depth=3
	global_load_b128 v[74:77], v[60:61], off
	s_wait_loadcnt 0x0
	v_xor_b32_e32 v77, 0x80000000, v77
	ds_store_b128 v68, v[74:77]
.LBB129_12:                             ;   in Loop: Header=BB129_10 Depth=3
	s_wait_alu 0xfffe
	s_or_saveexec_b32 s7, s7
	s_xor_b32 s51, s52, -1
	s_wait_alu 0xfffe
	s_xor_b32 exec_lo, exec_lo, s7
	s_cbranch_execz .LBB129_18
; %bb.13:                               ;   in Loop: Header=BB129_10 Depth=3
	s_and_saveexec_b32 s8, s51
	s_wait_alu 0xfffe
	s_xor_b32 s8, exec_lo, s8
; %bb.14:                               ;   in Loop: Header=BB129_10 Depth=3
	v_dual_mov_b32 v74, v0 :: v_dual_mov_b32 v75, v0
	v_dual_mov_b32 v76, v0 :: v_dual_mov_b32 v77, v0
	ds_store_b128 v68, v[74:77]
; %bb.15:                               ;   in Loop: Header=BB129_10 Depth=3
	s_wait_alu 0xfffe
	s_and_not1_saveexec_b32 s8, s8
; %bb.16:                               ;   in Loop: Header=BB129_10 Depth=3
	v_dual_mov_b32 v2, v0 :: v_dual_mov_b32 v3, v0
	ds_store_b128 v68, v[0:3]
; %bb.17:                               ;   in Loop: Header=BB129_10 Depth=3
	s_wait_alu 0xfffe
	s_or_b32 exec_lo, exec_lo, s8
.LBB129_18:                             ;   in Loop: Header=BB129_10 Depth=3
	s_delay_alu instid0(SALU_CYCLE_1) | instskip(SKIP_4) | instid1(VALU_DEP_2)
	s_or_b32 exec_lo, exec_lo, s7
	v_add_co_u32 v2, s7, v4, 16
	s_wait_alu 0xf1ff
	v_add_co_ci_u32_e64 v3, null, 0, v5, s7
	v_cmp_eq_u64_e64 s8, s[16:17], v[38:39]
	v_cmp_gt_i64_e64 s9, v[2:3], v[28:29]
	v_cmp_le_i64_e64 s7, s[42:43], v[2:3]
	s_and_b32 s53, s36, s8
	s_or_b32 s8, vcc_lo, s9
	s_wait_alu 0xfffe
	s_or_b32 s8, s8, s53
	s_wait_alu 0xfffe
	s_nor_b32 s8, s7, s8
	s_wait_alu 0xfffe
	s_and_saveexec_b32 s9, s8
	s_wait_alu 0xfffe
	s_xor_b32 s9, exec_lo, s9
	s_cbranch_execz .LBB129_20
; %bb.19:                               ;   in Loop: Header=BB129_10 Depth=3
	v_add_co_u32 v2, s8, v40, v34
	s_wait_alu 0xf1ff
	v_add_co_ci_u32_e64 v3, null, v41, v35, s8
	global_load_b128 v[74:77], v[2:3], off
	s_wait_loadcnt 0x0
	v_xor_b32_e32 v77, 0x80000000, v77
	ds_store_b128 v68, v[74:77] offset:256
.LBB129_20:                             ;   in Loop: Header=BB129_10 Depth=3
	s_wait_alu 0xfffe
	s_and_not1_saveexec_b32 s8, s9
	s_cbranch_execz .LBB129_26
; %bb.21:                               ;   in Loop: Header=BB129_10 Depth=3
	s_xor_b32 s9, s53, -1
	s_wait_alu 0xfffe
	s_and_saveexec_b32 s53, s9
	s_delay_alu instid0(SALU_CYCLE_1)
	s_xor_b32 s9, exec_lo, s53
; %bb.22:                               ;   in Loop: Header=BB129_10 Depth=3
	v_dual_mov_b32 v74, v0 :: v_dual_mov_b32 v75, v0
	v_dual_mov_b32 v76, v0 :: v_dual_mov_b32 v77, v0
	ds_store_b128 v68, v[74:77] offset:256
; %bb.23:                               ;   in Loop: Header=BB129_10 Depth=3
	s_wait_alu 0xfffe
	s_and_not1_saveexec_b32 s9, s9
; %bb.24:                               ;   in Loop: Header=BB129_10 Depth=3
	v_dual_mov_b32 v2, v0 :: v_dual_mov_b32 v3, v0
	ds_store_b128 v68, v[0:3] offset:256
; %bb.25:                               ;   in Loop: Header=BB129_10 Depth=3
	s_wait_alu 0xfffe
	s_or_b32 exec_lo, exec_lo, s9
.LBB129_26:                             ;   in Loop: Header=BB129_10 Depth=3
	s_wait_alu 0xfffe
	s_or_b32 exec_lo, exec_lo, s8
	v_cmp_eq_u64_e64 s8, s[16:17], v[36:37]
	v_cmp_gt_i64_e64 s9, v[4:5], v[30:31]
	s_and_b32 s8, s36, s8
	s_or_b32 s9, s4, s9
	s_wait_alu 0xfffe
	s_or_b32 s9, s9, s8
	s_wait_alu 0xfffe
	s_nor_b32 s6, s6, s9
	s_wait_alu 0xfffe
	s_and_saveexec_b32 s9, s6
	s_wait_alu 0xfffe
	s_xor_b32 s6, exec_lo, s9
	s_cbranch_execz .LBB129_28
; %bb.27:                               ;   in Loop: Header=BB129_10 Depth=3
	global_load_b128 v[2:5], v[60:61], off offset:256
	s_wait_loadcnt 0x0
	v_xor_b32_e32 v5, 0x80000000, v5
	ds_store_b128 v68, v[2:5] offset:8192
.LBB129_28:                             ;   in Loop: Header=BB129_10 Depth=3
	s_wait_alu 0xfffe
	s_and_not1_saveexec_b32 s6, s6
	s_cbranch_execz .LBB129_34
; %bb.29:                               ;   in Loop: Header=BB129_10 Depth=3
	s_xor_b32 s8, s8, -1
	s_wait_alu 0xfffe
	s_and_saveexec_b32 s9, s8
	s_wait_alu 0xfffe
	s_xor_b32 s8, exec_lo, s9
; %bb.30:                               ;   in Loop: Header=BB129_10 Depth=3
	v_dual_mov_b32 v2, v0 :: v_dual_mov_b32 v3, v0
	v_dual_mov_b32 v4, v0 :: v_dual_mov_b32 v5, v0
	ds_store_b128 v68, v[2:5] offset:8192
; %bb.31:                               ;   in Loop: Header=BB129_10 Depth=3
	s_wait_alu 0xfffe
	s_and_not1_saveexec_b32 s8, s8
; %bb.32:                               ;   in Loop: Header=BB129_10 Depth=3
	v_dual_mov_b32 v2, v0 :: v_dual_mov_b32 v3, v0
	ds_store_b128 v68, v[0:3] offset:8192
; %bb.33:                               ;   in Loop: Header=BB129_10 Depth=3
	s_wait_alu 0xfffe
	s_or_b32 exec_lo, exec_lo, s8
.LBB129_34:                             ;   in Loop: Header=BB129_10 Depth=3
	s_wait_alu 0xfffe
	s_or_b32 exec_lo, exec_lo, s6
	s_or_b32 s5, s4, s5
	s_wait_alu 0xfffe
	s_or_b32 s5, s5, s52
	s_wait_alu 0xfffe
	s_nor_b32 s5, s7, s5
	s_wait_alu 0xfffe
	s_and_saveexec_b32 s6, s5
	s_wait_alu 0xfffe
	s_xor_b32 s6, exec_lo, s6
	s_cbranch_execz .LBB129_36
; %bb.35:                               ;   in Loop: Header=BB129_10 Depth=3
	v_add_co_u32 v2, s5, v40, v34
	s_wait_alu 0xf1ff
	v_add_co_ci_u32_e64 v3, null, v41, v35, s5
	global_load_b128 v[2:5], v[2:3], off offset:256
	s_wait_loadcnt 0x0
	v_xor_b32_e32 v5, 0x80000000, v5
	ds_store_b128 v68, v[2:5] offset:8448
.LBB129_36:                             ;   in Loop: Header=BB129_10 Depth=3
	s_wait_alu 0xfffe
	s_and_not1_saveexec_b32 s5, s6
	s_cbranch_execz .LBB129_42
; %bb.37:                               ;   in Loop: Header=BB129_10 Depth=3
	s_and_saveexec_b32 s6, s51
	s_wait_alu 0xfffe
	s_xor_b32 s6, exec_lo, s6
; %bb.38:                               ;   in Loop: Header=BB129_10 Depth=3
	v_dual_mov_b32 v2, v0 :: v_dual_mov_b32 v3, v0
	v_dual_mov_b32 v4, v0 :: v_dual_mov_b32 v5, v0
	ds_store_b128 v68, v[2:5] offset:8448
; %bb.39:                               ;   in Loop: Header=BB129_10 Depth=3
	s_wait_alu 0xfffe
	s_and_not1_saveexec_b32 s6, s6
; %bb.40:                               ;   in Loop: Header=BB129_10 Depth=3
	v_dual_mov_b32 v2, v0 :: v_dual_mov_b32 v3, v0
	ds_store_b128 v68, v[0:3] offset:8448
; %bb.41:                               ;   in Loop: Header=BB129_10 Depth=3
	s_wait_alu 0xfffe
	s_or_b32 exec_lo, exec_lo, s6
.LBB129_42:                             ;   in Loop: Header=BB129_10 Depth=3
	s_wait_alu 0xfffe
	s_or_b32 exec_lo, exec_lo, s5
	v_add_co_u32 v2, s5, v65, s16
	s_wait_alu 0xf1ff
	v_add_co_ci_u32_e64 v3, null, 0, s17, s5
	v_add_co_u32 v4, s6, v44, v6
	s_wait_alu 0xf1ff
	v_add_co_ci_u32_e64 v5, null, v45, v7, s6
	s_delay_alu instid0(VALU_DEP_3)
	v_cmp_le_i64_e64 s5, s[42:43], v[2:3]
	s_nor_b32 s6, s5, s0
	s_wait_alu 0xfffe
	s_and_saveexec_b32 s7, s6
	s_wait_alu 0xfffe
	s_xor_b32 s6, exec_lo, s7
	s_cbranch_execz .LBB129_44
; %bb.43:                               ;   in Loop: Header=BB129_10 Depth=3
	global_load_b128 v[74:77], v[4:5], off offset:-256
	s_wait_loadcnt 0x0
	ds_store_2addr_b64 v69, v[74:75], v[76:77] offset1:1
.LBB129_44:                             ;   in Loop: Header=BB129_10 Depth=3
	s_wait_alu 0xfffe
	s_and_not1_saveexec_b32 s6, s6
; %bb.45:                               ;   in Loop: Header=BB129_10 Depth=3
	v_dual_mov_b32 v74, v0 :: v_dual_mov_b32 v75, v0
	v_dual_mov_b32 v76, v0 :: v_dual_mov_b32 v77, v0
	ds_store_b128 v69, v[74:77]
; %bb.46:                               ;   in Loop: Header=BB129_10 Depth=3
	s_wait_alu 0xfffe
	s_or_b32 exec_lo, exec_lo, s6
	s_nor_b32 s5, s5, s1
	s_wait_alu 0xfffe
	s_and_saveexec_b32 s6, s5
	s_wait_alu 0xfffe
	s_xor_b32 s5, exec_lo, s6
	s_cbranch_execz .LBB129_48
; %bb.47:                               ;   in Loop: Header=BB129_10 Depth=3
	global_load_b128 v[74:77], v[4:5], off
	v_add_nc_u32_e32 v4, 0x100, v69
	s_wait_loadcnt 0x0
	ds_store_2addr_b64 v4, v[74:75], v[76:77] offset1:1
.LBB129_48:                             ;   in Loop: Header=BB129_10 Depth=3
	s_wait_alu 0xfffe
	s_and_not1_saveexec_b32 s5, s5
; %bb.49:                               ;   in Loop: Header=BB129_10 Depth=3
	v_dual_mov_b32 v74, v0 :: v_dual_mov_b32 v75, v0
	v_dual_mov_b32 v76, v0 :: v_dual_mov_b32 v77, v0
	ds_store_b128 v69, v[74:77] offset:256
; %bb.50:                               ;   in Loop: Header=BB129_10 Depth=3
	s_wait_alu 0xfffe
	s_or_b32 exec_lo, exec_lo, s5
	v_cmp_le_i64_e64 s5, s[46:47], v[2:3]
	v_add_co_u32 v2, s6, v44, v8
	s_wait_alu 0xf1ff
	v_add_co_ci_u32_e64 v3, null, v45, v9, s6
	s_nor_b32 s6, s5, s0
	s_wait_alu 0xfffe
	s_and_saveexec_b32 s7, s6
	s_wait_alu 0xfffe
	s_xor_b32 s6, exec_lo, s7
	s_cbranch_execz .LBB129_52
; %bb.51:                               ;   in Loop: Header=BB129_10 Depth=3
	global_load_b128 v[74:77], v[2:3], off offset:-256
	v_add_nc_u32_e32 v4, 0x2000, v69
	s_wait_loadcnt 0x0
	ds_store_2addr_b64 v4, v[74:75], v[76:77] offset1:1
.LBB129_52:                             ;   in Loop: Header=BB129_10 Depth=3
	s_wait_alu 0xfffe
	s_and_not1_saveexec_b32 s6, s6
; %bb.53:                               ;   in Loop: Header=BB129_10 Depth=3
	v_dual_mov_b32 v74, v0 :: v_dual_mov_b32 v75, v0
	v_dual_mov_b32 v76, v0 :: v_dual_mov_b32 v77, v0
	ds_store_b128 v69, v[74:77] offset:8192
; %bb.54:                               ;   in Loop: Header=BB129_10 Depth=3
	s_wait_alu 0xfffe
	s_or_b32 exec_lo, exec_lo, s6
	s_nor_b32 s5, s5, s1
	s_wait_alu 0xfffe
	s_and_saveexec_b32 s6, s5
	s_wait_alu 0xfffe
	s_xor_b32 s5, exec_lo, s6
	s_cbranch_execz .LBB129_56
; %bb.55:                               ;   in Loop: Header=BB129_10 Depth=3
	global_load_b128 v[2:5], v[2:3], off
	s_wait_loadcnt 0x0
	ds_store_2addr_b64 v70, v[2:3], v[4:5] offset1:1
.LBB129_56:                             ;   in Loop: Header=BB129_10 Depth=3
	s_wait_alu 0xfffe
	s_and_not1_saveexec_b32 s5, s5
	s_cbranch_execz .LBB129_9
; %bb.57:                               ;   in Loop: Header=BB129_10 Depth=3
	v_dual_mov_b32 v2, v0 :: v_dual_mov_b32 v3, v0
	v_dual_mov_b32 v4, v0 :: v_dual_mov_b32 v5, v0
	ds_store_b128 v69, v[2:5] offset:8448
	s_branch .LBB129_9
.LBB129_58:                             ;   in Loop: Header=BB129_7 Depth=2
	v_mul_lo_u32 v4, s25, v28
	s_delay_alu instid0(VALU_DEP_2) | instskip(SKIP_2) | instid1(VALU_DEP_2)
	v_mul_lo_u32 v5, s24, v29
	v_mad_co_u64_u32 v[2:3], null, s24, v28, 0
	v_cmp_gt_i32_e32 vcc_lo, s38, v28
	v_add3_u32 v3, v3, v5, v4
	s_delay_alu instid0(VALU_DEP_1) | instskip(NEXT) | instid1(VALU_DEP_1)
	v_lshlrev_b64_e32 v[2:3], 4, v[2:3]
	v_add_co_u32 v2, s4, s14, v2
	s_wait_alu 0xf1ff
	s_delay_alu instid0(VALU_DEP_2)
	v_add_co_ci_u32_e64 v3, null, s15, v3, s4
	s_and_b32 s4, s2, vcc_lo
	s_wait_alu 0xfffe
	s_and_saveexec_b32 s5, s4
	s_cbranch_execz .LBB129_60
; %bb.59:                               ;   in Loop: Header=BB129_7 Depth=2
	v_add_co_u32 v4, s4, v2, v10
	s_wait_alu 0xf1ff
	v_add_co_ci_u32_e64 v5, null, v3, v11, s4
	v_mul_f64_e32 v[33:34], s[30:31], v[52:53]
	v_mul_f64_e32 v[35:36], s[28:29], v[52:53]
	global_load_b128 v[29:32], v[4:5], off
	v_fma_f64 v[33:34], s[28:29], v[50:51], -v[33:34]
	v_fma_f64 v[35:36], s[30:31], v[50:51], v[35:36]
	s_wait_loadcnt 0x0
	s_delay_alu instid0(VALU_DEP_2) | instskip(NEXT) | instid1(VALU_DEP_2)
	v_add_f64_e32 v[29:30], v[29:30], v[33:34]
	v_add_f64_e32 v[31:32], v[35:36], v[31:32]
	global_store_b128 v[4:5], v[29:32], off
.LBB129_60:                             ;   in Loop: Header=BB129_7 Depth=2
	s_wait_alu 0xfffe
	s_or_b32 exec_lo, exec_lo, s5
	s_and_b32 s5, s3, vcc_lo
	s_wait_alu 0xfffe
	s_and_saveexec_b32 s4, s5
	s_cbranch_execz .LBB129_62
; %bb.61:                               ;   in Loop: Header=BB129_7 Depth=2
	v_add_co_u32 v29, vcc_lo, v2, v18
	s_wait_alu 0xfffd
	v_add_co_ci_u32_e64 v30, null, v3, v19, vcc_lo
	v_mul_f64_e32 v[31:32], s[30:31], v[48:49]
	v_mul_f64_e32 v[33:34], s[28:29], v[48:49]
	global_load_b128 v[2:5], v[29:30], off
	v_fma_f64 v[31:32], s[28:29], v[46:47], -v[31:32]
	v_fma_f64 v[33:34], s[30:31], v[46:47], v[33:34]
	s_wait_loadcnt 0x0
	s_delay_alu instid0(VALU_DEP_2) | instskip(NEXT) | instid1(VALU_DEP_2)
	v_add_f64_e32 v[2:3], v[2:3], v[31:32]
	v_add_f64_e32 v[4:5], v[33:34], v[4:5]
	global_store_b128 v[29:30], v[2:5], off
.LBB129_62:                             ;   in Loop: Header=BB129_7 Depth=2
	s_wait_alu 0xfffe
	s_or_b32 exec_lo, exec_lo, s4
	v_add_nc_u32_e32 v4, 16, v28
	s_delay_alu instid0(VALU_DEP_1) | instskip(SKIP_3) | instid1(VALU_DEP_4)
	v_ashrrev_i32_e32 v5, 31, v4
	v_mul_lo_u32 v27, s25, v4
	v_mad_co_u64_u32 v[2:3], null, s24, v4, 0
	v_cmp_gt_i32_e32 vcc_lo, s38, v4
	v_mul_lo_u32 v5, s24, v5
	s_delay_alu instid0(VALU_DEP_1) | instskip(NEXT) | instid1(VALU_DEP_1)
	v_add3_u32 v3, v3, v5, v27
	v_lshlrev_b64_e32 v[2:3], 4, v[2:3]
	s_delay_alu instid0(VALU_DEP_1) | instskip(SKIP_1) | instid1(VALU_DEP_2)
	v_add_co_u32 v2, s4, s14, v2
	s_wait_alu 0xf1ff
	v_add_co_ci_u32_e64 v3, null, s15, v3, s4
	s_and_b32 s4, s2, vcc_lo
	s_wait_alu 0xfffe
	s_and_saveexec_b32 s5, s4
	s_cbranch_execz .LBB129_64
; %bb.63:                               ;   in Loop: Header=BB129_7 Depth=2
	v_add_co_u32 v4, s4, v2, v10
	s_wait_alu 0xf1ff
	v_add_co_ci_u32_e64 v5, null, v3, v11, s4
	v_mul_f64_e32 v[31:32], s[30:31], v[56:57]
	v_mul_f64_e32 v[33:34], s[28:29], v[56:57]
	global_load_b128 v[27:30], v[4:5], off
	v_fma_f64 v[31:32], s[28:29], v[54:55], -v[31:32]
	v_fma_f64 v[33:34], s[30:31], v[54:55], v[33:34]
	s_wait_loadcnt 0x0
	s_delay_alu instid0(VALU_DEP_2) | instskip(NEXT) | instid1(VALU_DEP_2)
	v_add_f64_e32 v[27:28], v[27:28], v[31:32]
	v_add_f64_e32 v[29:30], v[33:34], v[29:30]
	global_store_b128 v[4:5], v[27:30], off
.LBB129_64:                             ;   in Loop: Header=BB129_7 Depth=2
	s_wait_alu 0xfffe
	s_or_b32 exec_lo, exec_lo, s5
	s_and_b32 s5, s3, vcc_lo
	s_wait_alu 0xfffe
	s_and_saveexec_b32 s4, s5
	s_cbranch_execz .LBB129_6
; %bb.65:                               ;   in Loop: Header=BB129_7 Depth=2
	v_add_co_u32 v27, vcc_lo, v2, v18
	s_wait_alu 0xfffd
	v_add_co_ci_u32_e64 v28, null, v3, v19, vcc_lo
	v_mul_f64_e32 v[29:30], s[30:31], v[58:59]
	v_mul_f64_e32 v[31:32], s[28:29], v[58:59]
	global_load_b128 v[2:5], v[27:28], off
	v_fma_f64 v[29:30], s[28:29], v[62:63], -v[29:30]
	v_fma_f64 v[31:32], s[30:31], v[62:63], v[31:32]
	s_wait_loadcnt 0x0
	s_delay_alu instid0(VALU_DEP_2) | instskip(NEXT) | instid1(VALU_DEP_2)
	v_add_f64_e32 v[2:3], v[2:3], v[29:30]
	v_add_f64_e32 v[4:5], v[31:32], v[4:5]
	global_store_b128 v[27:28], v[2:5], off
	s_branch .LBB129_6
.LBB129_66:
	s_endpgm
	.section	.rodata,"a",@progbits
	.p2align	6, 0x0
	.amdhsa_kernel _ZL30rocblas_trmm_outofplace_kernelI19rocblas_complex_numIdELi32ELi2ELb0ELb0ELb1ELb1ES1_KS1_S1_Ev17rocblas_diagonal_iiT6_lPT7_lllS6_lllPT8_llli
		.amdhsa_group_segment_fixed_size 32768
		.amdhsa_private_segment_fixed_size 0
		.amdhsa_kernarg_size 400
		.amdhsa_user_sgpr_count 2
		.amdhsa_user_sgpr_dispatch_ptr 0
		.amdhsa_user_sgpr_queue_ptr 0
		.amdhsa_user_sgpr_kernarg_segment_ptr 1
		.amdhsa_user_sgpr_dispatch_id 0
		.amdhsa_user_sgpr_private_segment_size 0
		.amdhsa_wavefront_size32 1
		.amdhsa_uses_dynamic_stack 0
		.amdhsa_enable_private_segment 0
		.amdhsa_system_sgpr_workgroup_id_x 1
		.amdhsa_system_sgpr_workgroup_id_y 1
		.amdhsa_system_sgpr_workgroup_id_z 1
		.amdhsa_system_sgpr_workgroup_info 0
		.amdhsa_system_vgpr_workitem_id 1
		.amdhsa_next_free_vgpr 94
		.amdhsa_next_free_sgpr 54
		.amdhsa_reserve_vcc 1
		.amdhsa_float_round_mode_32 0
		.amdhsa_float_round_mode_16_64 0
		.amdhsa_float_denorm_mode_32 3
		.amdhsa_float_denorm_mode_16_64 3
		.amdhsa_fp16_overflow 0
		.amdhsa_workgroup_processor_mode 1
		.amdhsa_memory_ordered 1
		.amdhsa_forward_progress 1
		.amdhsa_inst_pref_size 75
		.amdhsa_round_robin_scheduling 0
		.amdhsa_exception_fp_ieee_invalid_op 0
		.amdhsa_exception_fp_denorm_src 0
		.amdhsa_exception_fp_ieee_div_zero 0
		.amdhsa_exception_fp_ieee_overflow 0
		.amdhsa_exception_fp_ieee_underflow 0
		.amdhsa_exception_fp_ieee_inexact 0
		.amdhsa_exception_int_div_zero 0
	.end_amdhsa_kernel
	.section	.text._ZL30rocblas_trmm_outofplace_kernelI19rocblas_complex_numIdELi32ELi2ELb0ELb0ELb1ELb1ES1_KS1_S1_Ev17rocblas_diagonal_iiT6_lPT7_lllS6_lllPT8_llli,"axG",@progbits,_ZL30rocblas_trmm_outofplace_kernelI19rocblas_complex_numIdELi32ELi2ELb0ELb0ELb1ELb1ES1_KS1_S1_Ev17rocblas_diagonal_iiT6_lPT7_lllS6_lllPT8_llli,comdat
.Lfunc_end129:
	.size	_ZL30rocblas_trmm_outofplace_kernelI19rocblas_complex_numIdELi32ELi2ELb0ELb0ELb1ELb1ES1_KS1_S1_Ev17rocblas_diagonal_iiT6_lPT7_lllS6_lllPT8_llli, .Lfunc_end129-_ZL30rocblas_trmm_outofplace_kernelI19rocblas_complex_numIdELi32ELi2ELb0ELb0ELb1ELb1ES1_KS1_S1_Ev17rocblas_diagonal_iiT6_lPT7_lllS6_lllPT8_llli
                                        ; -- End function
	.set _ZL30rocblas_trmm_outofplace_kernelI19rocblas_complex_numIdELi32ELi2ELb0ELb0ELb1ELb1ES1_KS1_S1_Ev17rocblas_diagonal_iiT6_lPT7_lllS6_lllPT8_llli.num_vgpr, 94
	.set _ZL30rocblas_trmm_outofplace_kernelI19rocblas_complex_numIdELi32ELi2ELb0ELb0ELb1ELb1ES1_KS1_S1_Ev17rocblas_diagonal_iiT6_lPT7_lllS6_lllPT8_llli.num_agpr, 0
	.set _ZL30rocblas_trmm_outofplace_kernelI19rocblas_complex_numIdELi32ELi2ELb0ELb0ELb1ELb1ES1_KS1_S1_Ev17rocblas_diagonal_iiT6_lPT7_lllS6_lllPT8_llli.numbered_sgpr, 54
	.set _ZL30rocblas_trmm_outofplace_kernelI19rocblas_complex_numIdELi32ELi2ELb0ELb0ELb1ELb1ES1_KS1_S1_Ev17rocblas_diagonal_iiT6_lPT7_lllS6_lllPT8_llli.num_named_barrier, 0
	.set _ZL30rocblas_trmm_outofplace_kernelI19rocblas_complex_numIdELi32ELi2ELb0ELb0ELb1ELb1ES1_KS1_S1_Ev17rocblas_diagonal_iiT6_lPT7_lllS6_lllPT8_llli.private_seg_size, 0
	.set _ZL30rocblas_trmm_outofplace_kernelI19rocblas_complex_numIdELi32ELi2ELb0ELb0ELb1ELb1ES1_KS1_S1_Ev17rocblas_diagonal_iiT6_lPT7_lllS6_lllPT8_llli.uses_vcc, 1
	.set _ZL30rocblas_trmm_outofplace_kernelI19rocblas_complex_numIdELi32ELi2ELb0ELb0ELb1ELb1ES1_KS1_S1_Ev17rocblas_diagonal_iiT6_lPT7_lllS6_lllPT8_llli.uses_flat_scratch, 0
	.set _ZL30rocblas_trmm_outofplace_kernelI19rocblas_complex_numIdELi32ELi2ELb0ELb0ELb1ELb1ES1_KS1_S1_Ev17rocblas_diagonal_iiT6_lPT7_lllS6_lllPT8_llli.has_dyn_sized_stack, 0
	.set _ZL30rocblas_trmm_outofplace_kernelI19rocblas_complex_numIdELi32ELi2ELb0ELb0ELb1ELb1ES1_KS1_S1_Ev17rocblas_diagonal_iiT6_lPT7_lllS6_lllPT8_llli.has_recursion, 0
	.set _ZL30rocblas_trmm_outofplace_kernelI19rocblas_complex_numIdELi32ELi2ELb0ELb0ELb1ELb1ES1_KS1_S1_Ev17rocblas_diagonal_iiT6_lPT7_lllS6_lllPT8_llli.has_indirect_call, 0
	.section	.AMDGPU.csdata,"",@progbits
; Kernel info:
; codeLenInByte = 9596
; TotalNumSgprs: 56
; NumVgprs: 94
; ScratchSize: 0
; MemoryBound: 0
; FloatMode: 240
; IeeeMode: 1
; LDSByteSize: 32768 bytes/workgroup (compile time only)
; SGPRBlocks: 0
; VGPRBlocks: 11
; NumSGPRsForWavesPerEU: 56
; NumVGPRsForWavesPerEU: 94
; Occupancy: 16
; WaveLimiterHint : 0
; COMPUTE_PGM_RSRC2:SCRATCH_EN: 0
; COMPUTE_PGM_RSRC2:USER_SGPR: 2
; COMPUTE_PGM_RSRC2:TRAP_HANDLER: 0
; COMPUTE_PGM_RSRC2:TGID_X_EN: 1
; COMPUTE_PGM_RSRC2:TGID_Y_EN: 1
; COMPUTE_PGM_RSRC2:TGID_Z_EN: 1
; COMPUTE_PGM_RSRC2:TIDIG_COMP_CNT: 1
	.section	.text._ZL30rocblas_trmm_outofplace_kernelI19rocblas_complex_numIdELi32ELi2ELb0ELb1ELb1ELb1EPKS1_S2_S1_Ev17rocblas_diagonal_iiT6_lPT7_lllS7_lllPT8_llli,"axG",@progbits,_ZL30rocblas_trmm_outofplace_kernelI19rocblas_complex_numIdELi32ELi2ELb0ELb1ELb1ELb1EPKS1_S2_S1_Ev17rocblas_diagonal_iiT6_lPT7_lllS7_lllPT8_llli,comdat
	.globl	_ZL30rocblas_trmm_outofplace_kernelI19rocblas_complex_numIdELi32ELi2ELb0ELb1ELb1ELb1EPKS1_S2_S1_Ev17rocblas_diagonal_iiT6_lPT7_lllS7_lllPT8_llli ; -- Begin function _ZL30rocblas_trmm_outofplace_kernelI19rocblas_complex_numIdELi32ELi2ELb0ELb1ELb1ELb1EPKS1_S2_S1_Ev17rocblas_diagonal_iiT6_lPT7_lllS7_lllPT8_llli
	.p2align	8
	.type	_ZL30rocblas_trmm_outofplace_kernelI19rocblas_complex_numIdELi32ELi2ELb0ELb1ELb1ELb1EPKS1_S2_S1_Ev17rocblas_diagonal_iiT6_lPT7_lllS7_lllPT8_llli,@function
_ZL30rocblas_trmm_outofplace_kernelI19rocblas_complex_numIdELi32ELi2ELb0ELb1ELb1ELb1EPKS1_S2_S1_Ev17rocblas_diagonal_iiT6_lPT7_lllS7_lllPT8_llli: ; @_ZL30rocblas_trmm_outofplace_kernelI19rocblas_complex_numIdELi32ELi2ELb0ELb1ELb1ELb1EPKS1_S2_S1_Ev17rocblas_diagonal_iiT6_lPT7_lllS7_lllPT8_llli
; %bb.0:
	s_load_b32 s11, s[0:1], 0x80
	s_lshr_b32 s34, ttmp7, 16
	s_wait_kmcnt 0x0
	s_cmp_ge_u32 s34, s11
	s_cbranch_scc1 .LBB130_68
; %bb.1:
	s_clause 0x3
	s_load_b96 s[8:10], s[0:1], 0x0
	s_load_b256 s[36:43], s[0:1], 0x50
	s_load_b512 s[12:27], s[0:1], 0x10
	s_load_b128 s[28:31], s[0:1], 0x70
	v_and_b32_e32 v4, 0x3ff, v0
	v_bfe_u32 v62, v0, 10, 10
	s_and_b32 s33, ttmp7, 0xffff
	s_add_nc_u64 s[44:45], s[0:1], 0x88
	s_mov_b32 s35, 0
	v_lshl_add_u32 v0, ttmp9, 5, v4
	v_lshlrev_b32_e32 v2, 4, v4
	v_lshlrev_b32_e32 v63, 9, v62
	s_delay_alu instid0(VALU_DEP_3) | instskip(NEXT) | instid1(VALU_DEP_3)
	v_ashrrev_i32_e32 v1, 31, v0
	v_or_b32_e32 v64, 0x4000, v2
	s_delay_alu instid0(VALU_DEP_3) | instskip(SKIP_1) | instid1(VALU_DEP_4)
	v_add_nc_u32_e32 v65, v63, v2
	v_add_nc_u32_e32 v8, 16, v0
	v_lshlrev_b64_e32 v[10:11], 4, v[0:1]
	s_wait_kmcnt 0x0
	s_add_co_i32 s2, s10, -1
	s_lshl_b64 s[0:1], s[42:43], 4
	s_ashr_i32 s3, s2, 31
	s_wait_alu 0xfffe
	s_add_nc_u64 s[40:41], s[40:41], s[0:1]
	s_lshr_b32 s3, s3, 27
	v_sub_co_u32 v2, vcc_lo, s9, v0
	s_add_co_i32 s2, s2, s3
	v_cmp_gt_i32_e64 s3, s9, v8
	s_ashr_i32 s56, s2, 5
	v_cmp_gt_i32_e64 s2, s9, v0
	s_cmp_le_i32 s33, s56
	v_mov_b32_e32 v0, 0
	s_cselect_b32 s57, -1, 0
	s_cmp_eq_u32 s8, 0x84
	v_add_nc_u32_e32 v66, v64, v63
	s_cselect_b32 s58, -1, 0
	s_ashr_i32 s0, s9, 31
	s_lshl_b32 s4, s33, 5
	s_wait_alu 0xfffe
	v_sub_co_ci_u32_e64 v3, null, s0, v1, vcc_lo
	v_add_nc_u32_e32 v70, s4, v4
	v_add_nc_u32_e32 v71, s4, v62
	s_lshl_b64 s[4:5], s[26:27], 4
	s_delay_alu instid0(VALU_DEP_3)
	v_cmp_gt_i64_e64 s0, 1, v[2:3]
	s_wait_alu 0xfffe
	s_add_nc_u64 s[4:5], s[24:25], s[4:5]
	v_cmp_gt_i64_e64 s1, 17, v[2:3]
	s_wait_alu 0xfffe
	v_add_co_u32 v12, vcc_lo, s4, v10
	v_add_nc_u32_e32 v67, 0x100, v66
	v_add_nc_u32_e32 v68, 0x2000, v66
	;; [unrolled: 1-line block ×3, first 2 shown]
	v_ashrrev_i32_e32 v9, 31, v8
	s_wait_alu 0xfffd
	v_add_co_ci_u32_e64 v13, null, s5, v11, vcc_lo
	v_mov_b32_e32 v1, 0x3ff00000
	s_mov_b32 s42, s10
	s_ashr_i32 s43, s10, 31
	s_lshl_b64 s[4:5], s[18:19], 4
	s_lshl_b64 s[46:47], s[20:21], 9
	;; [unrolled: 1-line block ×3, first 2 shown]
	s_add_nc_u64 s[50:51], s[42:43], -16
	s_lshl_b64 s[26:27], s[36:37], 4
	s_lshl_b64 s[18:19], s[38:39], 4
	s_wait_alu 0xfffe
	s_add_nc_u64 s[16:17], s[16:17], s[4:5]
	s_lshl_b64 s[22:23], s[22:23], 4
	s_lshl_b64 s[24:25], s[20:21], 4
	s_branch .LBB130_4
.LBB130_2:                              ;   in Loop: Header=BB130_4 Depth=1
	s_add_co_i32 s34, s34, 0x10000
	s_wait_alu 0xfffe
	s_cmp_ge_u32 s34, s11
	s_cselect_b32 s4, -1, 0
.LBB130_3:                              ;   in Loop: Header=BB130_4 Depth=1
	s_wait_alu 0xfffe
	s_and_b32 vcc_lo, exec_lo, s4
	s_wait_alu 0xfffe
	s_cbranch_vccnz .LBB130_68
.LBB130_4:                              ; =>This Loop Header: Depth=1
                                        ;     Child Loop BB130_8 Depth 2
                                        ;       Child Loop BB130_11 Depth 3
	s_mul_u64 s[4:5], s[14:15], s[34:35]
	s_wait_alu 0xfffe
	s_lshl_b64 s[4:5], s[4:5], 4
	s_wait_alu 0xfffe
	s_add_nc_u64 s[4:5], s[12:13], s[4:5]
	global_load_b128 v[4:7], v0, s[4:5]
	s_wait_loadcnt 0x0
	v_cmp_eq_f64_e32 vcc_lo, 0, v[4:5]
	v_cmp_eq_f64_e64 s4, 0, v[6:7]
	s_wait_alu 0xfffe
	s_and_b32 s4, vcc_lo, s4
	s_wait_alu 0xfffe
	s_and_b32 vcc_lo, exec_lo, s4
	s_mov_b32 s4, -1
	s_wait_alu 0xfffe
	s_cbranch_vccnz .LBB130_3
; %bb.5:                                ;   in Loop: Header=BB130_4 Depth=1
	s_and_not1_b32 vcc_lo, exec_lo, s57
	s_wait_alu 0xfffe
	s_cbranch_vccnz .LBB130_2
; %bb.6:                                ;   in Loop: Header=BB130_4 Depth=1
	v_mad_co_u64_u32 v[14:15], null, s18, s34, v[12:13]
	s_load_b32 s59, s[44:45], 0x4
	s_mul_u64 s[4:5], s[30:31], s[34:35]
	v_mov_b32_e32 v18, v70
	s_mul_u64 s[6:7], s[22:23], s[34:35]
	s_wait_alu 0xfffe
	s_lshl_b64 s[4:5], s[4:5], 4
	s_add_nc_u64 s[52:53], s[16:17], s[6:7]
	v_mov_b32_e32 v2, v15
	s_wait_alu 0xfffe
	s_add_nc_u64 s[38:39], s[40:41], s[4:5]
	s_mov_b32 s61, s33
	s_delay_alu instid0(VALU_DEP_1) | instskip(NEXT) | instid1(VALU_DEP_1)
	v_mad_co_u64_u32 v[2:3], null, s19, s34, v[2:3]
	v_dual_mov_b32 v16, v71 :: v_dual_mov_b32 v15, v2
	s_wait_kmcnt 0x0
	s_lshl_b32 s60, s59, 5
	s_branch .LBB130_8
.LBB130_7:                              ;   in Loop: Header=BB130_8 Depth=2
	s_wait_alu 0xfffe
	s_or_b32 exec_lo, exec_lo, s4
	v_add_nc_u32_e32 v18, s60, v18
	v_add_nc_u32_e32 v16, s60, v16
	s_add_co_i32 s61, s59, s61
	s_wait_alu 0xfffe
	s_cmp_gt_i32 s61, s56
	s_cbranch_scc1 .LBB130_2
.LBB130_8:                              ;   Parent Loop BB130_4 Depth=1
                                        ; =>  This Loop Header: Depth=2
                                        ;       Child Loop BB130_11 Depth 3
	s_wait_alu 0xfffe
	s_lshl_b32 s4, s61, 5
	v_ashrrev_i32_e32 v19, 31, v18
	s_wait_alu 0xfffe
	v_add_nc_u32_e32 v20, s4, v62
	v_ashrrev_i32_e32 v17, 31, v16
	s_sub_co_i32 s62, s10, s4
	s_delay_alu instid0(SALU_CYCLE_1) | instskip(NEXT) | instid1(VALU_DEP_2)
	s_cmp_lt_i32 s62, 1
	v_ashrrev_i32_e32 v21, 31, v20
	s_cbranch_scc1 .LBB130_59
; %bb.9:                                ;   in Loop: Header=BB130_8 Depth=2
	v_lshlrev_b64_e32 v[22:23], 4, v[16:17]
	v_sub_co_u32 v24, vcc_lo, v16, v18
	v_lshlrev_b64_e32 v[2:3], 4, v[18:19]
	s_wait_alu 0xfffd
	v_sub_co_ci_u32_e64 v25, null, v17, v19, vcc_lo
	s_delay_alu instid0(VALU_DEP_4)
	v_add_co_u32 v28, vcc_lo, 0x100, v22
	s_wait_alu 0xfffd
	v_add_co_ci_u32_e64 v29, null, 0, v23, vcc_lo
	v_mad_co_u64_u32 v[26:27], null, s26, v16, 0x100
	v_mul_lo_u32 v34, s26, v17
	v_mul_lo_u32 v35, s27, v16
	v_add_co_u32 v2, vcc_lo, 0x100, v2
	s_wait_alu 0xfffd
	v_add_co_ci_u32_e64 v3, null, 0, v3, vcc_lo
	v_mul_lo_u32 v36, s36, v29
	v_mul_lo_u32 v37, s37, v28
	v_mad_co_u64_u32 v[28:29], null, s36, v28, 0x100
	v_mad_co_u64_u32 v[30:31], null, s24, v18, s[52:53]
	v_mul_lo_u32 v38, s24, v19
	v_mul_lo_u32 v39, s25, v18
	;; [unrolled: 1-line block ×4, first 2 shown]
	v_mad_co_u64_u32 v[32:33], null, s20, v2, s[52:53]
	v_add3_u32 v27, v35, v27, v34
	v_add_co_u32 v34, vcc_lo, v20, 16
	s_wait_alu 0xfffd
	v_add_co_ci_u32_e64 v35, null, 0, v21, vcc_lo
	v_add3_u32 v29, v37, v29, v36
	v_add_co_u32 v36, s5, v24, 16
	v_add3_u32 v31, v39, v31, v38
	s_wait_alu 0xf1ff
	v_add_co_ci_u32_e64 v37, null, 0, v25, s5
	v_add_co_u32 v38, s5, v24, -16
	v_mov_b32_e32 v54, 0
	v_mov_b32_e32 v48, 0
	;; [unrolled: 1-line block ×4, first 2 shown]
	v_cmp_le_i64_e64 s4, s[42:43], v[34:35]
	v_dual_mov_b32 v55, 0 :: v_dual_mov_b32 v56, 0
	v_dual_mov_b32 v49, 0 :: v_dual_mov_b32 v46, 0
	;; [unrolled: 1-line block ×4, first 2 shown]
	v_add3_u32 v33, v40, v33, v3
	s_wait_alu 0xf1ff
	v_add_co_ci_u32_e64 v39, null, -1, v25, s5
	v_mov_b32_e32 v57, 0
	v_mov_b32_e32 v47, 0
	;; [unrolled: 1-line block ×4, first 2 shown]
	v_dual_mov_b32 v41, v15 :: v_dual_mov_b32 v40, v14
	s_mov_b64 s[54:55], 0
	v_cmp_le_i32_e32 vcc_lo, s10, v20
	s_branch .LBB130_11
.LBB130_10:                             ;   in Loop: Header=BB130_11 Depth=3
	s_wait_alu 0xfffe
	s_or_b32 exec_lo, exec_lo, s5
	s_wait_dscnt 0x0
	s_barrier_signal -1
	s_barrier_wait -1
	global_inv scope:SCOPE_SE
	ds_load_b128 v[58:61], v63
	ds_load_b128 v[72:75], v63 offset:16
	ds_load_b128 v[76:79], v63 offset:32
	;; [unrolled: 1-line block ×3, first 2 shown]
	ds_load_b128 v[84:87], v64
	v_add_co_u32 v40, s5, v40, s48
	s_wait_alu 0xf1ff
	v_add_co_ci_u32_e64 v41, null, s49, v41, s5
	v_add_co_u32 v30, s5, v30, s46
	s_wait_alu 0xf1ff
	v_add_co_ci_u32_e64 v31, null, s47, v31, s5
	;; [unrolled: 3-line block ×3, first 2 shown]
	s_add_nc_u64 s[54:55], s[54:55], 32
	s_wait_alu 0xfffe
	s_cmp_ge_i32 s54, s62
	s_wait_dscnt 0x0
	v_mul_f64_e32 v[2:3], v[60:61], v[86:87]
	v_mul_f64_e32 v[88:89], v[58:59], v[86:87]
	s_delay_alu instid0(VALU_DEP_2) | instskip(NEXT) | instid1(VALU_DEP_2)
	v_fma_f64 v[2:3], v[58:59], v[84:85], -v[2:3]
	v_fma_f64 v[88:89], v[60:61], v[84:85], v[88:89]
	s_delay_alu instid0(VALU_DEP_2) | instskip(NEXT) | instid1(VALU_DEP_2)
	v_add_f64_e32 v[2:3], v[50:51], v[2:3]
	v_add_f64_e32 v[88:89], v[88:89], v[52:53]
	ds_load_b128 v[50:53], v64 offset:256
	s_wait_dscnt 0x0
	v_mul_f64_e32 v[90:91], v[60:61], v[52:53]
	s_delay_alu instid0(VALU_DEP_1) | instskip(SKIP_1) | instid1(VALU_DEP_1)
	v_fma_f64 v[90:91], v[58:59], v[50:51], -v[90:91]
	v_mul_f64_e32 v[58:59], v[58:59], v[52:53]
	v_fma_f64 v[58:59], v[60:61], v[50:51], v[58:59]
	s_delay_alu instid0(VALU_DEP_3) | instskip(NEXT) | instid1(VALU_DEP_2)
	v_add_f64_e32 v[60:61], v[42:43], v[90:91]
	v_add_f64_e32 v[58:59], v[58:59], v[44:45]
	ds_load_b128 v[42:45], v63 offset:8192
	s_wait_dscnt 0x0
	v_mul_f64_e32 v[90:91], v[44:45], v[86:87]
	v_mul_f64_e32 v[86:87], v[42:43], v[86:87]
	s_delay_alu instid0(VALU_DEP_2) | instskip(NEXT) | instid1(VALU_DEP_2)
	v_fma_f64 v[90:91], v[42:43], v[84:85], -v[90:91]
	v_fma_f64 v[84:85], v[44:45], v[84:85], v[86:87]
	s_delay_alu instid0(VALU_DEP_2) | instskip(SKIP_1) | instid1(VALU_DEP_3)
	v_add_f64_e32 v[86:87], v[46:47], v[90:91]
	v_mul_f64_e32 v[46:47], v[44:45], v[52:53]
	v_add_f64_e32 v[84:85], v[84:85], v[48:49]
	s_delay_alu instid0(VALU_DEP_2) | instskip(SKIP_1) | instid1(VALU_DEP_2)
	v_fma_f64 v[46:47], v[42:43], v[50:51], -v[46:47]
	v_mul_f64_e32 v[42:43], v[42:43], v[52:53]
	v_add_f64_e32 v[56:57], v[56:57], v[46:47]
	s_delay_alu instid0(VALU_DEP_2) | instskip(NEXT) | instid1(VALU_DEP_1)
	v_fma_f64 v[42:43], v[44:45], v[50:51], v[42:43]
	v_add_f64_e32 v[54:55], v[42:43], v[54:55]
	ds_load_b128 v[42:45], v64 offset:512
	s_wait_dscnt 0x0
	v_mul_f64_e32 v[46:47], v[74:75], v[44:45]
	v_mul_f64_e32 v[48:49], v[72:73], v[44:45]
	s_delay_alu instid0(VALU_DEP_2) | instskip(NEXT) | instid1(VALU_DEP_2)
	v_fma_f64 v[46:47], v[72:73], v[42:43], -v[46:47]
	v_fma_f64 v[48:49], v[74:75], v[42:43], v[48:49]
	s_delay_alu instid0(VALU_DEP_2) | instskip(NEXT) | instid1(VALU_DEP_2)
	v_add_f64_e32 v[2:3], v[2:3], v[46:47]
	v_add_f64_e32 v[88:89], v[48:49], v[88:89]
	ds_load_b128 v[46:49], v64 offset:768
	s_wait_dscnt 0x0
	v_mul_f64_e32 v[50:51], v[74:75], v[48:49]
	v_mul_f64_e32 v[52:53], v[72:73], v[48:49]
	s_delay_alu instid0(VALU_DEP_2) | instskip(NEXT) | instid1(VALU_DEP_2)
	v_fma_f64 v[50:51], v[72:73], v[46:47], -v[50:51]
	v_fma_f64 v[52:53], v[74:75], v[46:47], v[52:53]
	s_delay_alu instid0(VALU_DEP_2) | instskip(NEXT) | instid1(VALU_DEP_2)
	v_add_f64_e32 v[60:61], v[60:61], v[50:51]
	v_add_f64_e32 v[58:59], v[52:53], v[58:59]
	ds_load_b128 v[50:53], v63 offset:8208
	s_wait_dscnt 0x0
	v_mul_f64_e32 v[72:73], v[52:53], v[44:45]
	v_mul_f64_e32 v[44:45], v[50:51], v[44:45]
	s_delay_alu instid0(VALU_DEP_2) | instskip(NEXT) | instid1(VALU_DEP_2)
	v_fma_f64 v[72:73], v[50:51], v[42:43], -v[72:73]
	v_fma_f64 v[42:43], v[52:53], v[42:43], v[44:45]
	v_mul_f64_e32 v[44:45], v[50:51], v[48:49]
	s_delay_alu instid0(VALU_DEP_3) | instskip(NEXT) | instid1(VALU_DEP_3)
	v_add_f64_e32 v[72:73], v[86:87], v[72:73]
	v_add_f64_e32 v[74:75], v[42:43], v[84:85]
	v_mul_f64_e32 v[42:43], v[52:53], v[48:49]
	s_delay_alu instid0(VALU_DEP_4) | instskip(NEXT) | instid1(VALU_DEP_2)
	v_fma_f64 v[44:45], v[52:53], v[46:47], v[44:45]
	v_fma_f64 v[42:43], v[50:51], v[46:47], -v[42:43]
	s_delay_alu instid0(VALU_DEP_2) | instskip(NEXT) | instid1(VALU_DEP_2)
	v_add_f64_e32 v[54:55], v[44:45], v[54:55]
	v_add_f64_e32 v[56:57], v[56:57], v[42:43]
	ds_load_b128 v[42:45], v64 offset:1024
	s_wait_dscnt 0x0
	v_mul_f64_e32 v[46:47], v[78:79], v[44:45]
	v_mul_f64_e32 v[48:49], v[76:77], v[44:45]
	s_delay_alu instid0(VALU_DEP_2) | instskip(NEXT) | instid1(VALU_DEP_2)
	v_fma_f64 v[46:47], v[76:77], v[42:43], -v[46:47]
	v_fma_f64 v[48:49], v[78:79], v[42:43], v[48:49]
	s_delay_alu instid0(VALU_DEP_2) | instskip(NEXT) | instid1(VALU_DEP_2)
	v_add_f64_e32 v[2:3], v[2:3], v[46:47]
	v_add_f64_e32 v[84:85], v[48:49], v[88:89]
	ds_load_b128 v[46:49], v64 offset:1280
	s_wait_dscnt 0x0
	v_mul_f64_e32 v[50:51], v[78:79], v[48:49]
	v_mul_f64_e32 v[52:53], v[76:77], v[48:49]
	s_delay_alu instid0(VALU_DEP_2) | instskip(NEXT) | instid1(VALU_DEP_2)
	v_fma_f64 v[50:51], v[76:77], v[46:47], -v[50:51]
	v_fma_f64 v[52:53], v[78:79], v[46:47], v[52:53]
	s_delay_alu instid0(VALU_DEP_2) | instskip(NEXT) | instid1(VALU_DEP_2)
	v_add_f64_e32 v[60:61], v[60:61], v[50:51]
	v_add_f64_e32 v[58:59], v[52:53], v[58:59]
	ds_load_b128 v[50:53], v63 offset:8224
	s_wait_dscnt 0x0
	v_mul_f64_e32 v[76:77], v[52:53], v[44:45]
	v_mul_f64_e32 v[44:45], v[50:51], v[44:45]
	s_delay_alu instid0(VALU_DEP_2) | instskip(NEXT) | instid1(VALU_DEP_2)
	v_fma_f64 v[76:77], v[50:51], v[42:43], -v[76:77]
	v_fma_f64 v[42:43], v[52:53], v[42:43], v[44:45]
	v_mul_f64_e32 v[44:45], v[50:51], v[48:49]
	s_delay_alu instid0(VALU_DEP_3) | instskip(NEXT) | instid1(VALU_DEP_3)
	v_add_f64_e32 v[72:73], v[72:73], v[76:77]
	v_add_f64_e32 v[74:75], v[42:43], v[74:75]
	v_mul_f64_e32 v[42:43], v[52:53], v[48:49]
	s_delay_alu instid0(VALU_DEP_4) | instskip(NEXT) | instid1(VALU_DEP_2)
	v_fma_f64 v[44:45], v[52:53], v[46:47], v[44:45]
	v_fma_f64 v[42:43], v[50:51], v[46:47], -v[42:43]
	s_delay_alu instid0(VALU_DEP_2) | instskip(NEXT) | instid1(VALU_DEP_2)
	v_add_f64_e32 v[54:55], v[44:45], v[54:55]
	;; [unrolled: 38-line block ×3, first 2 shown]
	v_add_f64_e32 v[56:57], v[56:57], v[42:43]
	ds_load_b128 v[42:45], v63 offset:64
	ds_load_b128 v[46:49], v64 offset:2048
	s_wait_dscnt 0x0
	v_mul_f64_e32 v[50:51], v[44:45], v[48:49]
	v_mul_f64_e32 v[52:53], v[42:43], v[48:49]
	s_delay_alu instid0(VALU_DEP_2) | instskip(NEXT) | instid1(VALU_DEP_2)
	v_fma_f64 v[50:51], v[42:43], v[46:47], -v[50:51]
	v_fma_f64 v[52:53], v[44:45], v[46:47], v[52:53]
	s_delay_alu instid0(VALU_DEP_2) | instskip(NEXT) | instid1(VALU_DEP_2)
	v_add_f64_e32 v[2:3], v[2:3], v[50:51]
	v_add_f64_e32 v[76:77], v[52:53], v[76:77]
	ds_load_b128 v[50:53], v64 offset:2304
	s_wait_dscnt 0x0
	v_mul_f64_e32 v[78:79], v[44:45], v[52:53]
	s_delay_alu instid0(VALU_DEP_1) | instskip(SKIP_1) | instid1(VALU_DEP_2)
	v_fma_f64 v[78:79], v[42:43], v[50:51], -v[78:79]
	v_mul_f64_e32 v[42:43], v[42:43], v[52:53]
	v_add_f64_e32 v[60:61], v[60:61], v[78:79]
	s_delay_alu instid0(VALU_DEP_2) | instskip(NEXT) | instid1(VALU_DEP_1)
	v_fma_f64 v[42:43], v[44:45], v[50:51], v[42:43]
	v_add_f64_e32 v[58:59], v[42:43], v[58:59]
	ds_load_b128 v[42:45], v63 offset:8256
	s_wait_dscnt 0x0
	v_mul_f64_e32 v[78:79], v[44:45], v[48:49]
	v_mul_f64_e32 v[48:49], v[42:43], v[48:49]
	s_delay_alu instid0(VALU_DEP_2) | instskip(NEXT) | instid1(VALU_DEP_2)
	v_fma_f64 v[78:79], v[42:43], v[46:47], -v[78:79]
	v_fma_f64 v[46:47], v[44:45], v[46:47], v[48:49]
	s_delay_alu instid0(VALU_DEP_2) | instskip(NEXT) | instid1(VALU_DEP_2)
	v_add_f64_e32 v[72:73], v[72:73], v[78:79]
	v_add_f64_e32 v[74:75], v[46:47], v[74:75]
	v_mul_f64_e32 v[46:47], v[44:45], v[52:53]
	s_delay_alu instid0(VALU_DEP_1) | instskip(SKIP_1) | instid1(VALU_DEP_2)
	v_fma_f64 v[46:47], v[42:43], v[50:51], -v[46:47]
	v_mul_f64_e32 v[42:43], v[42:43], v[52:53]
	v_add_f64_e32 v[56:57], v[56:57], v[46:47]
	s_delay_alu instid0(VALU_DEP_2) | instskip(NEXT) | instid1(VALU_DEP_1)
	v_fma_f64 v[42:43], v[44:45], v[50:51], v[42:43]
	v_add_f64_e32 v[54:55], v[42:43], v[54:55]
	ds_load_b128 v[42:45], v63 offset:80
	ds_load_b128 v[46:49], v64 offset:2560
	s_wait_dscnt 0x0
	v_mul_f64_e32 v[50:51], v[44:45], v[48:49]
	v_mul_f64_e32 v[52:53], v[42:43], v[48:49]
	s_delay_alu instid0(VALU_DEP_2) | instskip(NEXT) | instid1(VALU_DEP_2)
	v_fma_f64 v[50:51], v[42:43], v[46:47], -v[50:51]
	v_fma_f64 v[52:53], v[44:45], v[46:47], v[52:53]
	s_delay_alu instid0(VALU_DEP_2) | instskip(NEXT) | instid1(VALU_DEP_2)
	v_add_f64_e32 v[2:3], v[2:3], v[50:51]
	v_add_f64_e32 v[76:77], v[52:53], v[76:77]
	ds_load_b128 v[50:53], v64 offset:2816
	s_wait_dscnt 0x0
	v_mul_f64_e32 v[78:79], v[44:45], v[52:53]
	s_delay_alu instid0(VALU_DEP_1) | instskip(SKIP_1) | instid1(VALU_DEP_2)
	v_fma_f64 v[78:79], v[42:43], v[50:51], -v[78:79]
	v_mul_f64_e32 v[42:43], v[42:43], v[52:53]
	v_add_f64_e32 v[60:61], v[60:61], v[78:79]
	s_delay_alu instid0(VALU_DEP_2) | instskip(NEXT) | instid1(VALU_DEP_1)
	v_fma_f64 v[42:43], v[44:45], v[50:51], v[42:43]
	v_add_f64_e32 v[58:59], v[42:43], v[58:59]
	ds_load_b128 v[42:45], v63 offset:8272
	s_wait_dscnt 0x0
	v_mul_f64_e32 v[78:79], v[44:45], v[48:49]
	v_mul_f64_e32 v[48:49], v[42:43], v[48:49]
	s_delay_alu instid0(VALU_DEP_2) | instskip(NEXT) | instid1(VALU_DEP_2)
	v_fma_f64 v[78:79], v[42:43], v[46:47], -v[78:79]
	v_fma_f64 v[46:47], v[44:45], v[46:47], v[48:49]
	s_delay_alu instid0(VALU_DEP_2) | instskip(NEXT) | instid1(VALU_DEP_2)
	v_add_f64_e32 v[72:73], v[72:73], v[78:79]
	v_add_f64_e32 v[74:75], v[46:47], v[74:75]
	v_mul_f64_e32 v[46:47], v[44:45], v[52:53]
	s_delay_alu instid0(VALU_DEP_1) | instskip(SKIP_1) | instid1(VALU_DEP_2)
	v_fma_f64 v[46:47], v[42:43], v[50:51], -v[46:47]
	v_mul_f64_e32 v[42:43], v[42:43], v[52:53]
	v_add_f64_e32 v[56:57], v[56:57], v[46:47]
	s_delay_alu instid0(VALU_DEP_2) | instskip(NEXT) | instid1(VALU_DEP_1)
	v_fma_f64 v[42:43], v[44:45], v[50:51], v[42:43]
	;; [unrolled: 39-line block ×26, first 2 shown]
	v_add_f64_e32 v[54:55], v[42:43], v[54:55]
	ds_load_b128 v[42:45], v63 offset:480
	ds_load_b128 v[46:49], v64 offset:15360
	s_wait_dscnt 0x0
	v_mul_f64_e32 v[50:51], v[44:45], v[48:49]
	v_mul_f64_e32 v[52:53], v[42:43], v[48:49]
	s_delay_alu instid0(VALU_DEP_2) | instskip(NEXT) | instid1(VALU_DEP_2)
	v_fma_f64 v[50:51], v[42:43], v[46:47], -v[50:51]
	v_fma_f64 v[52:53], v[44:45], v[46:47], v[52:53]
	s_delay_alu instid0(VALU_DEP_2) | instskip(NEXT) | instid1(VALU_DEP_2)
	v_add_f64_e32 v[78:79], v[2:3], v[50:51]
	v_add_f64_e32 v[76:77], v[52:53], v[76:77]
	ds_load_b128 v[50:53], v64 offset:15616
	s_wait_dscnt 0x0
	v_mul_f64_e32 v[2:3], v[44:45], v[52:53]
	s_delay_alu instid0(VALU_DEP_1) | instskip(SKIP_1) | instid1(VALU_DEP_2)
	v_fma_f64 v[2:3], v[42:43], v[50:51], -v[2:3]
	v_mul_f64_e32 v[42:43], v[42:43], v[52:53]
	v_add_f64_e32 v[60:61], v[60:61], v[2:3]
	s_delay_alu instid0(VALU_DEP_2) | instskip(NEXT) | instid1(VALU_DEP_1)
	v_fma_f64 v[42:43], v[44:45], v[50:51], v[42:43]
	v_add_f64_e32 v[80:81], v[42:43], v[58:59]
	ds_load_b128 v[42:45], v63 offset:8672
	s_wait_dscnt 0x0
	v_mul_f64_e32 v[2:3], v[44:45], v[48:49]
	v_mul_f64_e32 v[48:49], v[42:43], v[48:49]
	s_delay_alu instid0(VALU_DEP_2) | instskip(NEXT) | instid1(VALU_DEP_2)
	v_fma_f64 v[2:3], v[42:43], v[46:47], -v[2:3]
	v_fma_f64 v[46:47], v[44:45], v[46:47], v[48:49]
	s_delay_alu instid0(VALU_DEP_2) | instskip(SKIP_1) | instid1(VALU_DEP_3)
	v_add_f64_e32 v[82:83], v[72:73], v[2:3]
	v_mul_f64_e32 v[2:3], v[44:45], v[52:53]
	v_add_f64_e32 v[84:85], v[46:47], v[74:75]
	s_delay_alu instid0(VALU_DEP_2) | instskip(SKIP_1) | instid1(VALU_DEP_2)
	v_fma_f64 v[2:3], v[42:43], v[50:51], -v[2:3]
	v_mul_f64_e32 v[42:43], v[42:43], v[52:53]
	v_add_f64_e32 v[2:3], v[56:57], v[2:3]
	s_delay_alu instid0(VALU_DEP_2) | instskip(NEXT) | instid1(VALU_DEP_1)
	v_fma_f64 v[42:43], v[44:45], v[50:51], v[42:43]
	v_add_f64_e32 v[54:55], v[42:43], v[54:55]
	ds_load_b128 v[42:45], v63 offset:496
	ds_load_b128 v[46:49], v64 offset:15872
	;; [unrolled: 1-line block ×3, first 2 shown]
	s_wait_dscnt 0x1
	v_mul_f64_e32 v[50:51], v[44:45], v[48:49]
	s_wait_dscnt 0x0
	v_mul_f64_e32 v[72:73], v[44:45], v[58:59]
	v_mul_f64_e32 v[52:53], v[42:43], v[48:49]
	s_delay_alu instid0(VALU_DEP_3) | instskip(NEXT) | instid1(VALU_DEP_3)
	v_fma_f64 v[50:51], v[42:43], v[46:47], -v[50:51]
	v_fma_f64 v[72:73], v[42:43], v[56:57], -v[72:73]
	v_mul_f64_e32 v[42:43], v[42:43], v[58:59]
	s_delay_alu instid0(VALU_DEP_4) | instskip(NEXT) | instid1(VALU_DEP_4)
	v_fma_f64 v[52:53], v[44:45], v[46:47], v[52:53]
	v_add_f64_e32 v[50:51], v[78:79], v[50:51]
	s_delay_alu instid0(VALU_DEP_3)
	v_fma_f64 v[44:45], v[44:45], v[56:57], v[42:43]
	v_add_f64_e32 v[42:43], v[60:61], v[72:73]
	ds_load_b128 v[72:75], v63 offset:8688
	v_add_f64_e32 v[52:53], v[52:53], v[76:77]
	s_wait_loadcnt_dscnt 0x0
	s_barrier_signal -1
	s_barrier_wait -1
	global_inv scope:SCOPE_SE
	v_mul_f64_e32 v[60:61], v[74:75], v[48:49]
	v_mul_f64_e32 v[48:49], v[72:73], v[48:49]
	v_add_f64_e32 v[44:45], v[44:45], v[80:81]
	s_delay_alu instid0(VALU_DEP_3) | instskip(NEXT) | instid1(VALU_DEP_3)
	v_fma_f64 v[60:61], v[72:73], v[46:47], -v[60:61]
	v_fma_f64 v[48:49], v[74:75], v[46:47], v[48:49]
	s_delay_alu instid0(VALU_DEP_2) | instskip(SKIP_2) | instid1(VALU_DEP_4)
	v_add_f64_e32 v[46:47], v[82:83], v[60:61]
	v_mul_f64_e32 v[60:61], v[74:75], v[58:59]
	v_mul_f64_e32 v[58:59], v[72:73], v[58:59]
	v_add_f64_e32 v[48:49], v[48:49], v[84:85]
	s_delay_alu instid0(VALU_DEP_3) | instskip(NEXT) | instid1(VALU_DEP_3)
	v_fma_f64 v[60:61], v[72:73], v[56:57], -v[60:61]
	v_fma_f64 v[58:59], v[74:75], v[56:57], v[58:59]
	s_delay_alu instid0(VALU_DEP_2) | instskip(NEXT) | instid1(VALU_DEP_2)
	v_add_f64_e32 v[56:57], v[2:3], v[60:61]
	v_add_f64_e32 v[54:55], v[58:59], v[54:55]
	s_cbranch_scc1 .LBB130_60
.LBB130_11:                             ;   Parent Loop BB130_4 Depth=1
                                        ;     Parent Loop BB130_8 Depth=2
                                        ; =>    This Inner Loop Header: Depth=3
	s_wait_alu 0xfffe
	v_add_co_u32 v58, s5, v18, s54
	s_wait_alu 0xf1ff
	v_add_co_ci_u32_e64 v59, null, s55, v19, s5
	v_cmp_eq_u64_e64 s7, s[54:55], v[24:25]
	v_add_co_u32 v60, s8, v30, v22
	s_delay_alu instid0(VALU_DEP_3)
	v_cmp_lt_i64_e64 s5, v[58:59], v[20:21]
	v_cmp_le_i64_e64 s6, s[42:43], v[58:59]
	s_wait_alu 0xf1ff
	v_add_co_ci_u32_e64 v61, null, v31, v23, s8
	s_and_b32 s64, s58, s7
	s_or_b32 s8, vcc_lo, s5
	s_wait_alu 0xfffe
	s_or_b32 s7, s6, s8
	s_wait_alu 0xfffe
	s_nor_b32 s7, s7, s64
	s_wait_alu 0xfffe
	s_and_saveexec_b32 s8, s7
	s_wait_alu 0xfffe
	s_xor_b32 s7, exec_lo, s8
	s_cbranch_execz .LBB130_13
; %bb.12:                               ;   in Loop: Header=BB130_11 Depth=3
	global_load_b128 v[72:75], v[60:61], off
	s_wait_loadcnt 0x0
	v_xor_b32_e32 v75, 0x80000000, v75
	ds_store_b128 v65, v[72:75]
.LBB130_13:                             ;   in Loop: Header=BB130_11 Depth=3
	s_wait_alu 0xfffe
	s_or_saveexec_b32 s7, s7
	s_xor_b32 s63, s64, -1
	s_wait_alu 0xfffe
	s_xor_b32 exec_lo, exec_lo, s7
	s_cbranch_execz .LBB130_19
; %bb.14:                               ;   in Loop: Header=BB130_11 Depth=3
	s_and_saveexec_b32 s8, s63
	s_wait_alu 0xfffe
	s_xor_b32 s8, exec_lo, s8
; %bb.15:                               ;   in Loop: Header=BB130_11 Depth=3
	v_dual_mov_b32 v72, v0 :: v_dual_mov_b32 v73, v0
	v_dual_mov_b32 v74, v0 :: v_dual_mov_b32 v75, v0
	ds_store_b128 v65, v[72:75]
; %bb.16:                               ;   in Loop: Header=BB130_11 Depth=3
	s_wait_alu 0xfffe
	s_and_not1_saveexec_b32 s8, s8
; %bb.17:                               ;   in Loop: Header=BB130_11 Depth=3
	v_dual_mov_b32 v2, v0 :: v_dual_mov_b32 v3, v0
	ds_store_b128 v65, v[0:3]
; %bb.18:                               ;   in Loop: Header=BB130_11 Depth=3
	s_wait_alu 0xfffe
	s_or_b32 exec_lo, exec_lo, s8
.LBB130_19:                             ;   in Loop: Header=BB130_11 Depth=3
	s_delay_alu instid0(SALU_CYCLE_1) | instskip(SKIP_4) | instid1(VALU_DEP_2)
	s_or_b32 exec_lo, exec_lo, s7
	v_add_co_u32 v2, s7, v58, 16
	s_wait_alu 0xf1ff
	v_add_co_ci_u32_e64 v3, null, 0, v59, s7
	v_cmp_eq_u64_e64 s9, s[54:55], v[38:39]
	v_cmp_lt_i64_e64 s8, v[2:3], v[20:21]
	v_cmp_le_i64_e64 s7, s[42:43], v[2:3]
	s_and_b32 s9, s58, s9
	s_or_b32 s8, vcc_lo, s8
	s_wait_alu 0xfffe
	s_or_b32 s8, s7, s8
	s_wait_alu 0xfffe
	s_nor_b32 s8, s8, s9
	s_wait_alu 0xfffe
	s_and_saveexec_b32 s65, s8
	s_delay_alu instid0(SALU_CYCLE_1)
	s_xor_b32 s65, exec_lo, s65
	s_cbranch_execz .LBB130_21
; %bb.20:                               ;   in Loop: Header=BB130_11 Depth=3
	v_add_co_u32 v2, s8, v32, v22
	s_wait_alu 0xf1ff
	v_add_co_ci_u32_e64 v3, null, v33, v23, s8
	global_load_b128 v[72:75], v[2:3], off
	s_wait_loadcnt 0x0
	v_xor_b32_e32 v75, 0x80000000, v75
	ds_store_b128 v65, v[72:75] offset:256
.LBB130_21:                             ;   in Loop: Header=BB130_11 Depth=3
	s_and_not1_saveexec_b32 s8, s65
	s_cbranch_execz .LBB130_27
; %bb.22:                               ;   in Loop: Header=BB130_11 Depth=3
	s_xor_b32 s9, s9, -1
	s_wait_alu 0xfffe
	s_and_saveexec_b32 s65, s9
	s_delay_alu instid0(SALU_CYCLE_1)
	s_xor_b32 s9, exec_lo, s65
; %bb.23:                               ;   in Loop: Header=BB130_11 Depth=3
	v_dual_mov_b32 v72, v0 :: v_dual_mov_b32 v73, v0
	v_dual_mov_b32 v74, v0 :: v_dual_mov_b32 v75, v0
	ds_store_b128 v65, v[72:75] offset:256
; %bb.24:                               ;   in Loop: Header=BB130_11 Depth=3
	s_wait_alu 0xfffe
	s_and_not1_saveexec_b32 s9, s9
; %bb.25:                               ;   in Loop: Header=BB130_11 Depth=3
	v_dual_mov_b32 v2, v0 :: v_dual_mov_b32 v3, v0
	ds_store_b128 v65, v[0:3] offset:256
; %bb.26:                               ;   in Loop: Header=BB130_11 Depth=3
	s_wait_alu 0xfffe
	s_or_b32 exec_lo, exec_lo, s9
.LBB130_27:                             ;   in Loop: Header=BB130_11 Depth=3
	s_wait_alu 0xfffe
	s_or_b32 exec_lo, exec_lo, s8
	v_cmp_eq_u64_e64 s8, s[54:55], v[36:37]
	v_cmp_lt_i64_e64 s9, v[58:59], v[34:35]
	s_and_b32 s8, s58, s8
	s_or_b32 s9, s4, s9
	s_wait_alu 0xfffe
	s_or_b32 s9, s9, s8
	s_wait_alu 0xfffe
	s_nor_b32 s6, s6, s9
	s_wait_alu 0xfffe
	s_and_saveexec_b32 s9, s6
	s_wait_alu 0xfffe
	s_xor_b32 s6, exec_lo, s9
	s_cbranch_execz .LBB130_29
; %bb.28:                               ;   in Loop: Header=BB130_11 Depth=3
	global_load_b128 v[58:61], v[60:61], off offset:256
	s_wait_loadcnt 0x0
	v_xor_b32_e32 v61, 0x80000000, v61
	ds_store_b128 v65, v[58:61] offset:8192
.LBB130_29:                             ;   in Loop: Header=BB130_11 Depth=3
	s_wait_alu 0xfffe
	s_and_not1_saveexec_b32 s6, s6
	s_cbranch_execz .LBB130_35
; %bb.30:                               ;   in Loop: Header=BB130_11 Depth=3
	s_xor_b32 s8, s8, -1
	s_wait_alu 0xfffe
	s_and_saveexec_b32 s9, s8
	s_wait_alu 0xfffe
	s_xor_b32 s8, exec_lo, s9
; %bb.31:                               ;   in Loop: Header=BB130_11 Depth=3
	v_dual_mov_b32 v58, v0 :: v_dual_mov_b32 v59, v0
	v_dual_mov_b32 v60, v0 :: v_dual_mov_b32 v61, v0
	ds_store_b128 v65, v[58:61] offset:8192
; %bb.32:                               ;   in Loop: Header=BB130_11 Depth=3
	s_wait_alu 0xfffe
	s_and_not1_saveexec_b32 s8, s8
; %bb.33:                               ;   in Loop: Header=BB130_11 Depth=3
	v_dual_mov_b32 v2, v0 :: v_dual_mov_b32 v3, v0
	ds_store_b128 v65, v[0:3] offset:8192
; %bb.34:                               ;   in Loop: Header=BB130_11 Depth=3
	s_wait_alu 0xfffe
	s_or_b32 exec_lo, exec_lo, s8
.LBB130_35:                             ;   in Loop: Header=BB130_11 Depth=3
	s_wait_alu 0xfffe
	s_or_b32 exec_lo, exec_lo, s6
	s_or_b32 s5, s4, s5
	s_wait_alu 0xfffe
	s_or_b32 s5, s7, s5
	s_wait_alu 0xfffe
	s_nor_b32 s5, s5, s64
	s_wait_alu 0xfffe
	s_and_saveexec_b32 s6, s5
	s_wait_alu 0xfffe
	s_xor_b32 s6, exec_lo, s6
	s_cbranch_execz .LBB130_37
; %bb.36:                               ;   in Loop: Header=BB130_11 Depth=3
	v_add_co_u32 v2, s5, v32, v22
	s_wait_alu 0xf1ff
	v_add_co_ci_u32_e64 v3, null, v33, v23, s5
	global_load_b128 v[58:61], v[2:3], off offset:256
	s_wait_loadcnt 0x0
	v_xor_b32_e32 v61, 0x80000000, v61
	ds_store_b128 v65, v[58:61] offset:8448
.LBB130_37:                             ;   in Loop: Header=BB130_11 Depth=3
	s_wait_alu 0xfffe
	s_and_not1_saveexec_b32 s5, s6
	s_cbranch_execz .LBB130_43
; %bb.38:                               ;   in Loop: Header=BB130_11 Depth=3
	s_and_saveexec_b32 s6, s63
	s_wait_alu 0xfffe
	s_xor_b32 s6, exec_lo, s6
; %bb.39:                               ;   in Loop: Header=BB130_11 Depth=3
	v_dual_mov_b32 v58, v0 :: v_dual_mov_b32 v59, v0
	v_dual_mov_b32 v60, v0 :: v_dual_mov_b32 v61, v0
	ds_store_b128 v65, v[58:61] offset:8448
; %bb.40:                               ;   in Loop: Header=BB130_11 Depth=3
	s_wait_alu 0xfffe
	s_and_not1_saveexec_b32 s6, s6
; %bb.41:                               ;   in Loop: Header=BB130_11 Depth=3
	v_dual_mov_b32 v2, v0 :: v_dual_mov_b32 v3, v0
	ds_store_b128 v65, v[0:3] offset:8448
; %bb.42:                               ;   in Loop: Header=BB130_11 Depth=3
	s_wait_alu 0xfffe
	s_or_b32 exec_lo, exec_lo, s6
.LBB130_43:                             ;   in Loop: Header=BB130_11 Depth=3
	s_wait_alu 0xfffe
	s_or_b32 exec_lo, exec_lo, s5
	v_add_co_u32 v2, s5, v16, s54
	s_wait_alu 0xf1ff
	v_add_co_ci_u32_e64 v3, null, s55, v17, s5
	v_add_co_u32 v58, s6, v40, v26
	s_wait_alu 0xf1ff
	v_add_co_ci_u32_e64 v59, null, v41, v27, s6
	s_delay_alu instid0(VALU_DEP_3)
	v_cmp_le_i64_e64 s5, s[42:43], v[2:3]
	s_nor_b32 s6, s5, s0
	s_wait_alu 0xfffe
	s_and_saveexec_b32 s7, s6
	s_wait_alu 0xfffe
	s_xor_b32 s6, exec_lo, s7
	s_cbranch_execz .LBB130_45
; %bb.44:                               ;   in Loop: Header=BB130_11 Depth=3
	global_load_b128 v[72:75], v[58:59], off offset:-256
	s_wait_loadcnt 0x0
	ds_store_2addr_b64 v66, v[72:73], v[74:75] offset1:1
.LBB130_45:                             ;   in Loop: Header=BB130_11 Depth=3
	s_wait_alu 0xfffe
	s_and_not1_saveexec_b32 s6, s6
; %bb.46:                               ;   in Loop: Header=BB130_11 Depth=3
	v_dual_mov_b32 v72, v0 :: v_dual_mov_b32 v73, v0
	v_dual_mov_b32 v74, v0 :: v_dual_mov_b32 v75, v0
	ds_store_b128 v66, v[72:75]
; %bb.47:                               ;   in Loop: Header=BB130_11 Depth=3
	s_wait_alu 0xfffe
	s_or_b32 exec_lo, exec_lo, s6
	s_nor_b32 s5, s5, s1
	s_wait_alu 0xfffe
	s_and_saveexec_b32 s6, s5
	s_wait_alu 0xfffe
	s_xor_b32 s5, exec_lo, s6
	s_cbranch_execz .LBB130_49
; %bb.48:                               ;   in Loop: Header=BB130_11 Depth=3
	global_load_b128 v[58:61], v[58:59], off
	s_wait_loadcnt 0x0
	ds_store_2addr_b64 v67, v[58:59], v[60:61] offset1:1
.LBB130_49:                             ;   in Loop: Header=BB130_11 Depth=3
	s_wait_alu 0xfffe
	s_and_not1_saveexec_b32 s5, s5
; %bb.50:                               ;   in Loop: Header=BB130_11 Depth=3
	v_dual_mov_b32 v58, v0 :: v_dual_mov_b32 v59, v0
	v_dual_mov_b32 v60, v0 :: v_dual_mov_b32 v61, v0
	ds_store_b128 v66, v[58:61] offset:256
; %bb.51:                               ;   in Loop: Header=BB130_11 Depth=3
	s_wait_alu 0xfffe
	s_or_b32 exec_lo, exec_lo, s5
	v_cmp_le_i64_e64 s5, s[50:51], v[2:3]
	v_add_co_u32 v2, s6, v40, v28
	s_wait_alu 0xf1ff
	v_add_co_ci_u32_e64 v3, null, v41, v29, s6
	s_nor_b32 s6, s5, s0
	s_wait_alu 0xfffe
	s_and_saveexec_b32 s7, s6
	s_wait_alu 0xfffe
	s_xor_b32 s6, exec_lo, s7
	s_cbranch_execz .LBB130_53
; %bb.52:                               ;   in Loop: Header=BB130_11 Depth=3
	global_load_b128 v[58:61], v[2:3], off offset:-256
	s_wait_loadcnt 0x0
	ds_store_2addr_b64 v68, v[58:59], v[60:61] offset1:1
.LBB130_53:                             ;   in Loop: Header=BB130_11 Depth=3
	s_wait_alu 0xfffe
	s_and_not1_saveexec_b32 s6, s6
; %bb.54:                               ;   in Loop: Header=BB130_11 Depth=3
	v_dual_mov_b32 v58, v0 :: v_dual_mov_b32 v59, v0
	v_dual_mov_b32 v60, v0 :: v_dual_mov_b32 v61, v0
	ds_store_b128 v66, v[58:61] offset:8192
; %bb.55:                               ;   in Loop: Header=BB130_11 Depth=3
	s_wait_alu 0xfffe
	s_or_b32 exec_lo, exec_lo, s6
	s_nor_b32 s5, s5, s1
	s_wait_alu 0xfffe
	s_and_saveexec_b32 s6, s5
	s_wait_alu 0xfffe
	s_xor_b32 s5, exec_lo, s6
	s_cbranch_execz .LBB130_57
; %bb.56:                               ;   in Loop: Header=BB130_11 Depth=3
	global_load_b128 v[58:61], v[2:3], off
	s_wait_loadcnt 0x0
	ds_store_2addr_b64 v69, v[58:59], v[60:61] offset1:1
.LBB130_57:                             ;   in Loop: Header=BB130_11 Depth=3
	s_wait_alu 0xfffe
	s_and_not1_saveexec_b32 s5, s5
	s_cbranch_execz .LBB130_10
; %bb.58:                               ;   in Loop: Header=BB130_11 Depth=3
	v_dual_mov_b32 v58, v0 :: v_dual_mov_b32 v59, v0
	v_dual_mov_b32 v60, v0 :: v_dual_mov_b32 v61, v0
	ds_store_b128 v66, v[58:61] offset:8448
	s_branch .LBB130_10
.LBB130_59:                             ;   in Loop: Header=BB130_8 Depth=2
	v_mov_b32_e32 v50, 0
	v_mov_b32_e32 v42, 0
	;; [unrolled: 1-line block ×3, first 2 shown]
	v_dual_mov_b32 v56, 0 :: v_dual_mov_b32 v51, 0
	v_dual_mov_b32 v52, 0 :: v_dual_mov_b32 v43, 0
	;; [unrolled: 1-line block ×5, first 2 shown]
	v_mov_b32_e32 v45, 0
	v_mov_b32_e32 v49, 0
	;; [unrolled: 1-line block ×3, first 2 shown]
.LBB130_60:                             ;   in Loop: Header=BB130_8 Depth=2
	v_mul_lo_u32 v17, s29, v20
	v_mul_lo_u32 v19, s28, v21
	v_mad_co_u64_u32 v[2:3], null, s28, v20, 0
	v_cmp_gt_i32_e32 vcc_lo, s10, v20
	s_delay_alu instid0(VALU_DEP_2) | instskip(NEXT) | instid1(VALU_DEP_1)
	v_add3_u32 v3, v3, v19, v17
	v_lshlrev_b64_e32 v[2:3], 4, v[2:3]
	s_delay_alu instid0(VALU_DEP_1) | instskip(SKIP_1) | instid1(VALU_DEP_2)
	v_add_co_u32 v2, s4, s38, v2
	s_wait_alu 0xf1ff
	v_add_co_ci_u32_e64 v3, null, s39, v3, s4
	s_and_b32 s4, s2, vcc_lo
	s_wait_alu 0xfffe
	s_and_saveexec_b32 s5, s4
	s_cbranch_execz .LBB130_62
; %bb.61:                               ;   in Loop: Header=BB130_8 Depth=2
	v_add_co_u32 v25, s4, v2, v10
	s_wait_alu 0xf1ff
	v_add_co_ci_u32_e64 v26, null, v3, v11, s4
	v_mul_f64_e32 v[27:28], v[6:7], v[52:53]
	v_mul_f64_e32 v[29:30], v[4:5], v[52:53]
	global_load_b128 v[21:24], v[25:26], off
	v_fma_f64 v[27:28], v[4:5], v[50:51], -v[27:28]
	v_fma_f64 v[29:30], v[6:7], v[50:51], v[29:30]
	s_wait_loadcnt 0x0
	s_delay_alu instid0(VALU_DEP_2) | instskip(NEXT) | instid1(VALU_DEP_2)
	v_add_f64_e32 v[21:22], v[21:22], v[27:28]
	v_add_f64_e32 v[23:24], v[29:30], v[23:24]
	global_store_b128 v[25:26], v[21:24], off
.LBB130_62:                             ;   in Loop: Header=BB130_8 Depth=2
	s_wait_alu 0xfffe
	s_or_b32 exec_lo, exec_lo, s5
	s_and_b32 s5, s3, vcc_lo
	s_wait_alu 0xfffe
	s_and_saveexec_b32 s4, s5
	s_cbranch_execz .LBB130_64
; %bb.63:                               ;   in Loop: Header=BB130_8 Depth=2
	v_lshlrev_b64_e32 v[21:22], 4, v[8:9]
	v_mul_f64_e32 v[25:26], v[6:7], v[44:45]
	v_mul_f64_e32 v[27:28], v[4:5], v[44:45]
	s_delay_alu instid0(VALU_DEP_3) | instskip(SKIP_1) | instid1(VALU_DEP_4)
	v_add_co_u32 v2, vcc_lo, v2, v21
	s_wait_alu 0xfffd
	v_add_co_ci_u32_e64 v3, null, v3, v22, vcc_lo
	global_load_b128 v[21:24], v[2:3], off
	v_fma_f64 v[25:26], v[4:5], v[42:43], -v[25:26]
	v_fma_f64 v[27:28], v[6:7], v[42:43], v[27:28]
	s_wait_loadcnt 0x0
	s_delay_alu instid0(VALU_DEP_2) | instskip(NEXT) | instid1(VALU_DEP_2)
	v_add_f64_e32 v[21:22], v[21:22], v[25:26]
	v_add_f64_e32 v[23:24], v[27:28], v[23:24]
	global_store_b128 v[2:3], v[21:24], off
.LBB130_64:                             ;   in Loop: Header=BB130_8 Depth=2
	s_wait_alu 0xfffe
	s_or_b32 exec_lo, exec_lo, s4
	v_add_nc_u32_e32 v17, 16, v20
	s_delay_alu instid0(VALU_DEP_1) | instskip(SKIP_3) | instid1(VALU_DEP_4)
	v_ashrrev_i32_e32 v19, 31, v17
	v_mul_lo_u32 v20, s29, v17
	v_mad_co_u64_u32 v[2:3], null, s28, v17, 0
	v_cmp_gt_i32_e32 vcc_lo, s10, v17
	v_mul_lo_u32 v19, s28, v19
	s_delay_alu instid0(VALU_DEP_1) | instskip(NEXT) | instid1(VALU_DEP_1)
	v_add3_u32 v3, v3, v19, v20
	v_lshlrev_b64_e32 v[2:3], 4, v[2:3]
	s_delay_alu instid0(VALU_DEP_1) | instskip(SKIP_1) | instid1(VALU_DEP_2)
	v_add_co_u32 v2, s4, s38, v2
	s_wait_alu 0xf1ff
	v_add_co_ci_u32_e64 v3, null, s39, v3, s4
	s_and_b32 s4, s2, vcc_lo
	s_wait_alu 0xfffe
	s_and_saveexec_b32 s5, s4
	s_cbranch_execz .LBB130_66
; %bb.65:                               ;   in Loop: Header=BB130_8 Depth=2
	v_add_co_u32 v23, s4, v2, v10
	s_wait_alu 0xf1ff
	v_add_co_ci_u32_e64 v24, null, v3, v11, s4
	v_mul_f64_e32 v[25:26], v[6:7], v[48:49]
	v_mul_f64_e32 v[27:28], v[4:5], v[48:49]
	global_load_b128 v[19:22], v[23:24], off
	v_fma_f64 v[25:26], v[4:5], v[46:47], -v[25:26]
	v_fma_f64 v[27:28], v[6:7], v[46:47], v[27:28]
	s_wait_loadcnt 0x0
	s_delay_alu instid0(VALU_DEP_2) | instskip(NEXT) | instid1(VALU_DEP_2)
	v_add_f64_e32 v[19:20], v[19:20], v[25:26]
	v_add_f64_e32 v[21:22], v[27:28], v[21:22]
	global_store_b128 v[23:24], v[19:22], off
.LBB130_66:                             ;   in Loop: Header=BB130_8 Depth=2
	s_wait_alu 0xfffe
	s_or_b32 exec_lo, exec_lo, s5
	s_and_b32 s5, s3, vcc_lo
	s_wait_alu 0xfffe
	s_and_saveexec_b32 s4, s5
	s_cbranch_execz .LBB130_7
; %bb.67:                               ;   in Loop: Header=BB130_8 Depth=2
	v_lshlrev_b64_e32 v[19:20], 4, v[8:9]
	v_mul_f64_e32 v[23:24], v[6:7], v[54:55]
	v_mul_f64_e32 v[25:26], v[4:5], v[54:55]
	s_delay_alu instid0(VALU_DEP_3) | instskip(SKIP_1) | instid1(VALU_DEP_4)
	v_add_co_u32 v2, vcc_lo, v2, v19
	s_wait_alu 0xfffd
	v_add_co_ci_u32_e64 v3, null, v3, v20, vcc_lo
	global_load_b128 v[19:22], v[2:3], off
	v_fma_f64 v[23:24], v[4:5], v[56:57], -v[23:24]
	v_fma_f64 v[25:26], v[6:7], v[56:57], v[25:26]
	s_wait_loadcnt 0x0
	s_delay_alu instid0(VALU_DEP_2) | instskip(NEXT) | instid1(VALU_DEP_2)
	v_add_f64_e32 v[19:20], v[19:20], v[23:24]
	v_add_f64_e32 v[21:22], v[25:26], v[21:22]
	global_store_b128 v[2:3], v[19:22], off
	s_branch .LBB130_7
.LBB130_68:
	s_endpgm
	.section	.rodata,"a",@progbits
	.p2align	6, 0x0
	.amdhsa_kernel _ZL30rocblas_trmm_outofplace_kernelI19rocblas_complex_numIdELi32ELi2ELb0ELb1ELb1ELb1EPKS1_S2_S1_Ev17rocblas_diagonal_iiT6_lPT7_lllS7_lllPT8_llli
		.amdhsa_group_segment_fixed_size 32768
		.amdhsa_private_segment_fixed_size 0
		.amdhsa_kernarg_size 392
		.amdhsa_user_sgpr_count 2
		.amdhsa_user_sgpr_dispatch_ptr 0
		.amdhsa_user_sgpr_queue_ptr 0
		.amdhsa_user_sgpr_kernarg_segment_ptr 1
		.amdhsa_user_sgpr_dispatch_id 0
		.amdhsa_user_sgpr_private_segment_size 0
		.amdhsa_wavefront_size32 1
		.amdhsa_uses_dynamic_stack 0
		.amdhsa_enable_private_segment 0
		.amdhsa_system_sgpr_workgroup_id_x 1
		.amdhsa_system_sgpr_workgroup_id_y 1
		.amdhsa_system_sgpr_workgroup_id_z 1
		.amdhsa_system_sgpr_workgroup_info 0
		.amdhsa_system_vgpr_workitem_id 1
		.amdhsa_next_free_vgpr 92
		.amdhsa_next_free_sgpr 66
		.amdhsa_reserve_vcc 1
		.amdhsa_float_round_mode_32 0
		.amdhsa_float_round_mode_16_64 0
		.amdhsa_float_denorm_mode_32 3
		.amdhsa_float_denorm_mode_16_64 3
		.amdhsa_fp16_overflow 0
		.amdhsa_workgroup_processor_mode 1
		.amdhsa_memory_ordered 1
		.amdhsa_forward_progress 1
		.amdhsa_inst_pref_size 76
		.amdhsa_round_robin_scheduling 0
		.amdhsa_exception_fp_ieee_invalid_op 0
		.amdhsa_exception_fp_denorm_src 0
		.amdhsa_exception_fp_ieee_div_zero 0
		.amdhsa_exception_fp_ieee_overflow 0
		.amdhsa_exception_fp_ieee_underflow 0
		.amdhsa_exception_fp_ieee_inexact 0
		.amdhsa_exception_int_div_zero 0
	.end_amdhsa_kernel
	.section	.text._ZL30rocblas_trmm_outofplace_kernelI19rocblas_complex_numIdELi32ELi2ELb0ELb1ELb1ELb1EPKS1_S2_S1_Ev17rocblas_diagonal_iiT6_lPT7_lllS7_lllPT8_llli,"axG",@progbits,_ZL30rocblas_trmm_outofplace_kernelI19rocblas_complex_numIdELi32ELi2ELb0ELb1ELb1ELb1EPKS1_S2_S1_Ev17rocblas_diagonal_iiT6_lPT7_lllS7_lllPT8_llli,comdat
.Lfunc_end130:
	.size	_ZL30rocblas_trmm_outofplace_kernelI19rocblas_complex_numIdELi32ELi2ELb0ELb1ELb1ELb1EPKS1_S2_S1_Ev17rocblas_diagonal_iiT6_lPT7_lllS7_lllPT8_llli, .Lfunc_end130-_ZL30rocblas_trmm_outofplace_kernelI19rocblas_complex_numIdELi32ELi2ELb0ELb1ELb1ELb1EPKS1_S2_S1_Ev17rocblas_diagonal_iiT6_lPT7_lllS7_lllPT8_llli
                                        ; -- End function
	.set _ZL30rocblas_trmm_outofplace_kernelI19rocblas_complex_numIdELi32ELi2ELb0ELb1ELb1ELb1EPKS1_S2_S1_Ev17rocblas_diagonal_iiT6_lPT7_lllS7_lllPT8_llli.num_vgpr, 92
	.set _ZL30rocblas_trmm_outofplace_kernelI19rocblas_complex_numIdELi32ELi2ELb0ELb1ELb1ELb1EPKS1_S2_S1_Ev17rocblas_diagonal_iiT6_lPT7_lllS7_lllPT8_llli.num_agpr, 0
	.set _ZL30rocblas_trmm_outofplace_kernelI19rocblas_complex_numIdELi32ELi2ELb0ELb1ELb1ELb1EPKS1_S2_S1_Ev17rocblas_diagonal_iiT6_lPT7_lllS7_lllPT8_llli.numbered_sgpr, 66
	.set _ZL30rocblas_trmm_outofplace_kernelI19rocblas_complex_numIdELi32ELi2ELb0ELb1ELb1ELb1EPKS1_S2_S1_Ev17rocblas_diagonal_iiT6_lPT7_lllS7_lllPT8_llli.num_named_barrier, 0
	.set _ZL30rocblas_trmm_outofplace_kernelI19rocblas_complex_numIdELi32ELi2ELb0ELb1ELb1ELb1EPKS1_S2_S1_Ev17rocblas_diagonal_iiT6_lPT7_lllS7_lllPT8_llli.private_seg_size, 0
	.set _ZL30rocblas_trmm_outofplace_kernelI19rocblas_complex_numIdELi32ELi2ELb0ELb1ELb1ELb1EPKS1_S2_S1_Ev17rocblas_diagonal_iiT6_lPT7_lllS7_lllPT8_llli.uses_vcc, 1
	.set _ZL30rocblas_trmm_outofplace_kernelI19rocblas_complex_numIdELi32ELi2ELb0ELb1ELb1ELb1EPKS1_S2_S1_Ev17rocblas_diagonal_iiT6_lPT7_lllS7_lllPT8_llli.uses_flat_scratch, 0
	.set _ZL30rocblas_trmm_outofplace_kernelI19rocblas_complex_numIdELi32ELi2ELb0ELb1ELb1ELb1EPKS1_S2_S1_Ev17rocblas_diagonal_iiT6_lPT7_lllS7_lllPT8_llli.has_dyn_sized_stack, 0
	.set _ZL30rocblas_trmm_outofplace_kernelI19rocblas_complex_numIdELi32ELi2ELb0ELb1ELb1ELb1EPKS1_S2_S1_Ev17rocblas_diagonal_iiT6_lPT7_lllS7_lllPT8_llli.has_recursion, 0
	.set _ZL30rocblas_trmm_outofplace_kernelI19rocblas_complex_numIdELi32ELi2ELb0ELb1ELb1ELb1EPKS1_S2_S1_Ev17rocblas_diagonal_iiT6_lPT7_lllS7_lllPT8_llli.has_indirect_call, 0
	.section	.AMDGPU.csdata,"",@progbits
; Kernel info:
; codeLenInByte = 9652
; TotalNumSgprs: 68
; NumVgprs: 92
; ScratchSize: 0
; MemoryBound: 0
; FloatMode: 240
; IeeeMode: 1
; LDSByteSize: 32768 bytes/workgroup (compile time only)
; SGPRBlocks: 0
; VGPRBlocks: 11
; NumSGPRsForWavesPerEU: 68
; NumVGPRsForWavesPerEU: 92
; Occupancy: 16
; WaveLimiterHint : 0
; COMPUTE_PGM_RSRC2:SCRATCH_EN: 0
; COMPUTE_PGM_RSRC2:USER_SGPR: 2
; COMPUTE_PGM_RSRC2:TRAP_HANDLER: 0
; COMPUTE_PGM_RSRC2:TGID_X_EN: 1
; COMPUTE_PGM_RSRC2:TGID_Y_EN: 1
; COMPUTE_PGM_RSRC2:TGID_Z_EN: 1
; COMPUTE_PGM_RSRC2:TIDIG_COMP_CNT: 1
	.section	.text._ZL30rocblas_trmm_outofplace_kernelI19rocblas_complex_numIdELi32ELi2ELb0ELb1ELb1ELb1ES1_KS1_S1_Ev17rocblas_diagonal_iiT6_lPT7_lllS6_lllPT8_llli,"axG",@progbits,_ZL30rocblas_trmm_outofplace_kernelI19rocblas_complex_numIdELi32ELi2ELb0ELb1ELb1ELb1ES1_KS1_S1_Ev17rocblas_diagonal_iiT6_lPT7_lllS6_lllPT8_llli,comdat
	.globl	_ZL30rocblas_trmm_outofplace_kernelI19rocblas_complex_numIdELi32ELi2ELb0ELb1ELb1ELb1ES1_KS1_S1_Ev17rocblas_diagonal_iiT6_lPT7_lllS6_lllPT8_llli ; -- Begin function _ZL30rocblas_trmm_outofplace_kernelI19rocblas_complex_numIdELi32ELi2ELb0ELb1ELb1ELb1ES1_KS1_S1_Ev17rocblas_diagonal_iiT6_lPT7_lllS6_lllPT8_llli
	.p2align	8
	.type	_ZL30rocblas_trmm_outofplace_kernelI19rocblas_complex_numIdELi32ELi2ELb0ELb1ELb1ELb1ES1_KS1_S1_Ev17rocblas_diagonal_iiT6_lPT7_lllS6_lllPT8_llli,@function
_ZL30rocblas_trmm_outofplace_kernelI19rocblas_complex_numIdELi32ELi2ELb0ELb1ELb1ELb1ES1_KS1_S1_Ev17rocblas_diagonal_iiT6_lPT7_lllS6_lllPT8_llli: ; @_ZL30rocblas_trmm_outofplace_kernelI19rocblas_complex_numIdELi32ELi2ELb0ELb1ELb1ELb1ES1_KS1_S1_Ev17rocblas_diagonal_iiT6_lPT7_lllS6_lllPT8_llli
; %bb.0:
	s_load_b32 s33, s[0:1], 0x88
	s_lshr_b32 s34, ttmp7, 16
	s_wait_kmcnt 0x0
	s_cmp_ge_u32 s34, s33
	s_cbranch_scc1 .LBB131_67
; %bb.1:
	s_load_b128 s[36:39], s[0:1], 0x10
	s_wait_kmcnt 0x0
	v_cmp_eq_f64_e64 s2, s[36:37], 0
	v_cmp_eq_f64_e64 s3, s[38:39], 0
	s_and_b32 s2, s2, s3
	s_delay_alu instid0(SALU_CYCLE_1)
	s_and_b32 vcc_lo, exec_lo, s2
	s_cbranch_vccnz .LBB131_67
; %bb.2:
	s_clause 0x1
	s_load_b96 s[40:42], s[0:1], 0x0
	s_load_b512 s[8:23], s[0:1], 0x28
	s_add_nc_u64 s[44:45], s[0:1], 0x90
	s_load_b256 s[24:31], s[0:1], 0x68
	v_and_b32_e32 v6, 0x3ff, v0
	v_bfe_u32 v58, v0, 10, 10
	s_and_b32 s43, ttmp7, 0xffff
	s_mov_b32 s35, 0
	s_delay_alu instid0(VALU_DEP_2) | instskip(SKIP_2) | instid1(VALU_DEP_3)
	v_lshl_add_u32 v0, ttmp9, 5, v6
	v_lshlrev_b32_e32 v2, 4, v6
	v_lshlrev_b32_e32 v59, 9, v58
	v_ashrrev_i32_e32 v1, 31, v0
	s_delay_alu instid0(VALU_DEP_3) | instskip(NEXT) | instid1(VALU_DEP_3)
	v_or_b32_e32 v60, 0x4000, v2
	v_add_nc_u32_e32 v61, v59, v2
	v_add_nc_u32_e32 v4, 16, v0
	s_wait_kmcnt 0x0
	s_add_co_i32 s0, s42, -1
	v_sub_co_u32 v2, vcc_lo, s41, v0
	s_wait_alu 0xfffe
	s_ashr_i32 s1, s0, 31
	v_ashrrev_i32_e32 v5, 31, v4
	s_wait_alu 0xfffe
	s_lshr_b32 s1, s1, 27
	s_mov_b32 s46, s42
	s_wait_alu 0xfffe
	s_add_co_i32 s0, s0, s1
	s_wait_alu 0xfffe
	s_ashr_i32 s56, s0, 5
	v_cmp_gt_i32_e64 s0, s41, v0
	s_cmp_le_i32 s43, s56
	s_cselect_b32 s57, -1, 0
	s_cmp_eq_u32 s40, 0x84
	s_cselect_b32 s58, -1, 0
	s_lshl_b32 s4, s43, 5
	s_ashr_i32 s1, s41, 31
	v_add_nc_u32_e32 v66, s4, v6
	v_lshlrev_b64_e32 v[6:7], 4, v[0:1]
	s_wait_alu 0xfffe
	v_sub_co_ci_u32_e64 v3, null, s1, v1, vcc_lo
	v_add_nc_u32_e32 v67, s4, v58
	s_lshl_b64 s[4:5], s[18:19], 4
	v_mov_b32_e32 v0, 0
	v_add_nc_u32_e32 v62, v60, v59
	s_wait_alu 0xfffe
	s_add_nc_u64 s[4:5], s[16:17], s[4:5]
	s_lshl_b64 s[2:3], s[26:27], 4
	s_wait_alu 0xfffe
	v_add_co_u32 v8, vcc_lo, s4, v6
	s_add_nc_u64 s[24:25], s[24:25], s[2:3]
	v_cmp_gt_i64_e64 s1, 1, v[2:3]
	v_cmp_gt_i64_e64 s2, 17, v[2:3]
	v_add_nc_u32_e32 v63, 0x100, v62
	v_add_nc_u32_e32 v64, 0x2000, v62
	;; [unrolled: 1-line block ×3, first 2 shown]
	v_cmp_gt_i32_e64 s3, s41, v4
	s_wait_alu 0xfffd
	v_add_co_ci_u32_e64 v9, null, s5, v7, vcc_lo
	v_mov_b32_e32 v1, 0x3ff00000
	s_ashr_i32 s47, s42, 31
	s_lshl_b64 s[4:5], s[10:11], 4
	s_lshl_b64 s[48:49], s[12:13], 9
	;; [unrolled: 1-line block ×3, first 2 shown]
	s_add_nc_u64 s[50:51], s[46:47], -16
	s_lshl_b64 s[18:19], s[20:21], 4
	s_lshl_b64 s[10:11], s[22:23], 4
	s_wait_alu 0xfffe
	s_add_nc_u64 s[16:17], s[8:9], s[4:5]
	s_lshl_b64 s[14:15], s[14:15], 4
	s_lshl_b64 s[22:23], s[12:13], 4
	s_branch .LBB131_4
.LBB131_3:                              ;   in Loop: Header=BB131_4 Depth=1
	s_add_co_i32 s34, s34, 0x10000
	s_wait_alu 0xfffe
	s_cmp_ge_u32 s34, s33
	s_cbranch_scc1 .LBB131_67
.LBB131_4:                              ; =>This Loop Header: Depth=1
                                        ;     Child Loop BB131_7 Depth 2
                                        ;       Child Loop BB131_10 Depth 3
	s_and_not1_b32 vcc_lo, exec_lo, s57
	s_wait_alu 0xfffe
	s_cbranch_vccnz .LBB131_3
; %bb.5:                                ;   in Loop: Header=BB131_4 Depth=1
	v_mad_co_u64_u32 v[10:11], null, s10, s34, v[8:9]
	s_load_b32 s59, s[44:45], 0x4
	s_mul_u64 s[4:5], s[30:31], s[34:35]
	v_mov_b32_e32 v14, v66
	s_mul_u64 s[6:7], s[14:15], s[34:35]
	s_wait_alu 0xfffe
	s_lshl_b64 s[4:5], s[4:5], 4
	s_add_nc_u64 s[52:53], s[16:17], s[6:7]
	v_mov_b32_e32 v2, v11
	s_wait_alu 0xfffe
	s_add_nc_u64 s[40:41], s[24:25], s[4:5]
	s_mov_b32 s61, s43
	s_delay_alu instid0(VALU_DEP_1) | instskip(NEXT) | instid1(VALU_DEP_1)
	v_mad_co_u64_u32 v[2:3], null, s11, s34, v[2:3]
	v_dual_mov_b32 v12, v67 :: v_dual_mov_b32 v11, v2
	s_wait_kmcnt 0x0
	s_lshl_b32 s60, s59, 5
	s_branch .LBB131_7
.LBB131_6:                              ;   in Loop: Header=BB131_7 Depth=2
	s_wait_alu 0xfffe
	s_or_b32 exec_lo, exec_lo, s4
	v_add_nc_u32_e32 v14, s60, v14
	v_add_nc_u32_e32 v12, s60, v12
	s_add_co_i32 s61, s59, s61
	s_wait_alu 0xfffe
	s_cmp_gt_i32 s61, s56
	s_cbranch_scc1 .LBB131_3
.LBB131_7:                              ;   Parent Loop BB131_4 Depth=1
                                        ; =>  This Loop Header: Depth=2
                                        ;       Child Loop BB131_10 Depth 3
	s_wait_alu 0xfffe
	s_lshl_b32 s4, s61, 5
	v_ashrrev_i32_e32 v15, 31, v14
	s_wait_alu 0xfffe
	v_add_nc_u32_e32 v16, s4, v58
	v_ashrrev_i32_e32 v13, 31, v12
	s_sub_co_i32 s62, s42, s4
	s_delay_alu instid0(SALU_CYCLE_1) | instskip(NEXT) | instid1(VALU_DEP_2)
	s_cmp_lt_i32 s62, 1
	v_ashrrev_i32_e32 v17, 31, v16
	s_cbranch_scc1 .LBB131_58
; %bb.8:                                ;   in Loop: Header=BB131_7 Depth=2
	v_lshlrev_b64_e32 v[18:19], 4, v[12:13]
	v_sub_co_u32 v20, vcc_lo, v12, v14
	v_lshlrev_b64_e32 v[2:3], 4, v[14:15]
	s_wait_alu 0xfffd
	v_sub_co_ci_u32_e64 v21, null, v13, v15, vcc_lo
	s_delay_alu instid0(VALU_DEP_4)
	v_add_co_u32 v24, vcc_lo, 0x100, v18
	s_wait_alu 0xfffd
	v_add_co_ci_u32_e64 v25, null, 0, v19, vcc_lo
	v_mad_co_u64_u32 v[22:23], null, s18, v12, 0x100
	v_mul_lo_u32 v30, s18, v13
	v_mul_lo_u32 v31, s19, v12
	v_add_co_u32 v2, vcc_lo, 0x100, v2
	s_wait_alu 0xfffd
	v_add_co_ci_u32_e64 v3, null, 0, v3, vcc_lo
	v_mul_lo_u32 v32, s20, v25
	v_mul_lo_u32 v33, s21, v24
	v_mad_co_u64_u32 v[24:25], null, s20, v24, 0x100
	v_mad_co_u64_u32 v[26:27], null, s22, v14, s[52:53]
	v_mul_lo_u32 v34, s22, v15
	v_mul_lo_u32 v35, s23, v14
	;; [unrolled: 1-line block ×4, first 2 shown]
	v_mad_co_u64_u32 v[28:29], null, s12, v2, s[52:53]
	v_add3_u32 v23, v31, v23, v30
	v_add_co_u32 v30, vcc_lo, v16, 16
	s_wait_alu 0xfffd
	v_add_co_ci_u32_e64 v31, null, 0, v17, vcc_lo
	v_add3_u32 v25, v33, v25, v32
	v_add_co_u32 v32, s5, v20, 16
	v_add3_u32 v27, v35, v27, v34
	s_wait_alu 0xf1ff
	v_add_co_ci_u32_e64 v33, null, 0, v21, s5
	v_add_co_u32 v34, s5, v20, -16
	v_mov_b32_e32 v50, 0
	v_mov_b32_e32 v44, 0
	v_mov_b32_e32 v40, 0
	v_mov_b32_e32 v48, 0
	v_cmp_le_i64_e64 s4, s[46:47], v[30:31]
	v_dual_mov_b32 v51, 0 :: v_dual_mov_b32 v52, 0
	v_dual_mov_b32 v45, 0 :: v_dual_mov_b32 v42, 0
	;; [unrolled: 1-line block ×4, first 2 shown]
	v_add3_u32 v29, v36, v29, v3
	s_wait_alu 0xf1ff
	v_add_co_ci_u32_e64 v35, null, -1, v21, s5
	v_mov_b32_e32 v53, 0
	v_mov_b32_e32 v43, 0
	;; [unrolled: 1-line block ×4, first 2 shown]
	v_dual_mov_b32 v37, v11 :: v_dual_mov_b32 v36, v10
	s_mov_b64 s[54:55], 0
	v_cmp_le_i32_e32 vcc_lo, s42, v16
	s_branch .LBB131_10
.LBB131_9:                              ;   in Loop: Header=BB131_10 Depth=3
	s_wait_alu 0xfffe
	s_or_b32 exec_lo, exec_lo, s5
	s_wait_dscnt 0x0
	s_barrier_signal -1
	s_barrier_wait -1
	global_inv scope:SCOPE_SE
	ds_load_b128 v[54:57], v59
	ds_load_b128 v[68:71], v59 offset:16
	ds_load_b128 v[72:75], v59 offset:32
	;; [unrolled: 1-line block ×3, first 2 shown]
	ds_load_b128 v[80:83], v60
	v_add_co_u32 v36, s5, v36, s26
	s_wait_alu 0xf1ff
	v_add_co_ci_u32_e64 v37, null, s27, v37, s5
	v_add_co_u32 v26, s5, v26, s48
	s_wait_alu 0xf1ff
	v_add_co_ci_u32_e64 v27, null, s49, v27, s5
	;; [unrolled: 3-line block ×3, first 2 shown]
	s_add_nc_u64 s[54:55], s[54:55], 32
	s_wait_alu 0xfffe
	s_cmp_ge_i32 s54, s62
	s_wait_dscnt 0x0
	v_mul_f64_e32 v[2:3], v[56:57], v[82:83]
	v_mul_f64_e32 v[84:85], v[54:55], v[82:83]
	s_delay_alu instid0(VALU_DEP_2) | instskip(NEXT) | instid1(VALU_DEP_2)
	v_fma_f64 v[2:3], v[54:55], v[80:81], -v[2:3]
	v_fma_f64 v[84:85], v[56:57], v[80:81], v[84:85]
	s_delay_alu instid0(VALU_DEP_2) | instskip(NEXT) | instid1(VALU_DEP_2)
	v_add_f64_e32 v[2:3], v[46:47], v[2:3]
	v_add_f64_e32 v[84:85], v[84:85], v[48:49]
	ds_load_b128 v[46:49], v60 offset:256
	s_wait_dscnt 0x0
	v_mul_f64_e32 v[86:87], v[56:57], v[48:49]
	s_delay_alu instid0(VALU_DEP_1) | instskip(SKIP_1) | instid1(VALU_DEP_1)
	v_fma_f64 v[86:87], v[54:55], v[46:47], -v[86:87]
	v_mul_f64_e32 v[54:55], v[54:55], v[48:49]
	v_fma_f64 v[54:55], v[56:57], v[46:47], v[54:55]
	s_delay_alu instid0(VALU_DEP_3) | instskip(NEXT) | instid1(VALU_DEP_2)
	v_add_f64_e32 v[56:57], v[38:39], v[86:87]
	v_add_f64_e32 v[54:55], v[54:55], v[40:41]
	ds_load_b128 v[38:41], v59 offset:8192
	s_wait_dscnt 0x0
	v_mul_f64_e32 v[86:87], v[40:41], v[82:83]
	v_mul_f64_e32 v[82:83], v[38:39], v[82:83]
	s_delay_alu instid0(VALU_DEP_2) | instskip(NEXT) | instid1(VALU_DEP_2)
	v_fma_f64 v[86:87], v[38:39], v[80:81], -v[86:87]
	v_fma_f64 v[80:81], v[40:41], v[80:81], v[82:83]
	s_delay_alu instid0(VALU_DEP_2) | instskip(SKIP_1) | instid1(VALU_DEP_3)
	v_add_f64_e32 v[82:83], v[42:43], v[86:87]
	v_mul_f64_e32 v[42:43], v[40:41], v[48:49]
	v_add_f64_e32 v[80:81], v[80:81], v[44:45]
	s_delay_alu instid0(VALU_DEP_2) | instskip(SKIP_1) | instid1(VALU_DEP_2)
	v_fma_f64 v[42:43], v[38:39], v[46:47], -v[42:43]
	v_mul_f64_e32 v[38:39], v[38:39], v[48:49]
	v_add_f64_e32 v[52:53], v[52:53], v[42:43]
	s_delay_alu instid0(VALU_DEP_2) | instskip(NEXT) | instid1(VALU_DEP_1)
	v_fma_f64 v[38:39], v[40:41], v[46:47], v[38:39]
	v_add_f64_e32 v[50:51], v[38:39], v[50:51]
	ds_load_b128 v[38:41], v60 offset:512
	s_wait_dscnt 0x0
	v_mul_f64_e32 v[42:43], v[70:71], v[40:41]
	v_mul_f64_e32 v[44:45], v[68:69], v[40:41]
	s_delay_alu instid0(VALU_DEP_2) | instskip(NEXT) | instid1(VALU_DEP_2)
	v_fma_f64 v[42:43], v[68:69], v[38:39], -v[42:43]
	v_fma_f64 v[44:45], v[70:71], v[38:39], v[44:45]
	s_delay_alu instid0(VALU_DEP_2) | instskip(NEXT) | instid1(VALU_DEP_2)
	v_add_f64_e32 v[2:3], v[2:3], v[42:43]
	v_add_f64_e32 v[84:85], v[44:45], v[84:85]
	ds_load_b128 v[42:45], v60 offset:768
	s_wait_dscnt 0x0
	v_mul_f64_e32 v[46:47], v[70:71], v[44:45]
	v_mul_f64_e32 v[48:49], v[68:69], v[44:45]
	s_delay_alu instid0(VALU_DEP_2) | instskip(NEXT) | instid1(VALU_DEP_2)
	v_fma_f64 v[46:47], v[68:69], v[42:43], -v[46:47]
	v_fma_f64 v[48:49], v[70:71], v[42:43], v[48:49]
	s_delay_alu instid0(VALU_DEP_2) | instskip(NEXT) | instid1(VALU_DEP_2)
	v_add_f64_e32 v[56:57], v[56:57], v[46:47]
	v_add_f64_e32 v[54:55], v[48:49], v[54:55]
	ds_load_b128 v[46:49], v59 offset:8208
	s_wait_dscnt 0x0
	v_mul_f64_e32 v[68:69], v[48:49], v[40:41]
	v_mul_f64_e32 v[40:41], v[46:47], v[40:41]
	s_delay_alu instid0(VALU_DEP_2) | instskip(NEXT) | instid1(VALU_DEP_2)
	v_fma_f64 v[68:69], v[46:47], v[38:39], -v[68:69]
	v_fma_f64 v[38:39], v[48:49], v[38:39], v[40:41]
	v_mul_f64_e32 v[40:41], v[46:47], v[44:45]
	s_delay_alu instid0(VALU_DEP_3) | instskip(NEXT) | instid1(VALU_DEP_3)
	v_add_f64_e32 v[68:69], v[82:83], v[68:69]
	v_add_f64_e32 v[70:71], v[38:39], v[80:81]
	v_mul_f64_e32 v[38:39], v[48:49], v[44:45]
	s_delay_alu instid0(VALU_DEP_4) | instskip(NEXT) | instid1(VALU_DEP_2)
	v_fma_f64 v[40:41], v[48:49], v[42:43], v[40:41]
	v_fma_f64 v[38:39], v[46:47], v[42:43], -v[38:39]
	s_delay_alu instid0(VALU_DEP_2) | instskip(NEXT) | instid1(VALU_DEP_2)
	v_add_f64_e32 v[50:51], v[40:41], v[50:51]
	v_add_f64_e32 v[52:53], v[52:53], v[38:39]
	ds_load_b128 v[38:41], v60 offset:1024
	s_wait_dscnt 0x0
	v_mul_f64_e32 v[42:43], v[74:75], v[40:41]
	v_mul_f64_e32 v[44:45], v[72:73], v[40:41]
	s_delay_alu instid0(VALU_DEP_2) | instskip(NEXT) | instid1(VALU_DEP_2)
	v_fma_f64 v[42:43], v[72:73], v[38:39], -v[42:43]
	v_fma_f64 v[44:45], v[74:75], v[38:39], v[44:45]
	s_delay_alu instid0(VALU_DEP_2) | instskip(NEXT) | instid1(VALU_DEP_2)
	v_add_f64_e32 v[2:3], v[2:3], v[42:43]
	v_add_f64_e32 v[80:81], v[44:45], v[84:85]
	ds_load_b128 v[42:45], v60 offset:1280
	s_wait_dscnt 0x0
	v_mul_f64_e32 v[46:47], v[74:75], v[44:45]
	v_mul_f64_e32 v[48:49], v[72:73], v[44:45]
	s_delay_alu instid0(VALU_DEP_2) | instskip(NEXT) | instid1(VALU_DEP_2)
	v_fma_f64 v[46:47], v[72:73], v[42:43], -v[46:47]
	v_fma_f64 v[48:49], v[74:75], v[42:43], v[48:49]
	s_delay_alu instid0(VALU_DEP_2) | instskip(NEXT) | instid1(VALU_DEP_2)
	v_add_f64_e32 v[56:57], v[56:57], v[46:47]
	v_add_f64_e32 v[54:55], v[48:49], v[54:55]
	ds_load_b128 v[46:49], v59 offset:8224
	s_wait_dscnt 0x0
	v_mul_f64_e32 v[72:73], v[48:49], v[40:41]
	v_mul_f64_e32 v[40:41], v[46:47], v[40:41]
	s_delay_alu instid0(VALU_DEP_2) | instskip(NEXT) | instid1(VALU_DEP_2)
	v_fma_f64 v[72:73], v[46:47], v[38:39], -v[72:73]
	v_fma_f64 v[38:39], v[48:49], v[38:39], v[40:41]
	v_mul_f64_e32 v[40:41], v[46:47], v[44:45]
	s_delay_alu instid0(VALU_DEP_3) | instskip(NEXT) | instid1(VALU_DEP_3)
	v_add_f64_e32 v[68:69], v[68:69], v[72:73]
	v_add_f64_e32 v[70:71], v[38:39], v[70:71]
	v_mul_f64_e32 v[38:39], v[48:49], v[44:45]
	s_delay_alu instid0(VALU_DEP_4) | instskip(NEXT) | instid1(VALU_DEP_2)
	v_fma_f64 v[40:41], v[48:49], v[42:43], v[40:41]
	v_fma_f64 v[38:39], v[46:47], v[42:43], -v[38:39]
	s_delay_alu instid0(VALU_DEP_2) | instskip(NEXT) | instid1(VALU_DEP_2)
	v_add_f64_e32 v[50:51], v[40:41], v[50:51]
	;; [unrolled: 38-line block ×3, first 2 shown]
	v_add_f64_e32 v[52:53], v[52:53], v[38:39]
	ds_load_b128 v[38:41], v59 offset:64
	ds_load_b128 v[42:45], v60 offset:2048
	s_wait_dscnt 0x0
	v_mul_f64_e32 v[46:47], v[40:41], v[44:45]
	v_mul_f64_e32 v[48:49], v[38:39], v[44:45]
	s_delay_alu instid0(VALU_DEP_2) | instskip(NEXT) | instid1(VALU_DEP_2)
	v_fma_f64 v[46:47], v[38:39], v[42:43], -v[46:47]
	v_fma_f64 v[48:49], v[40:41], v[42:43], v[48:49]
	s_delay_alu instid0(VALU_DEP_2) | instskip(NEXT) | instid1(VALU_DEP_2)
	v_add_f64_e32 v[2:3], v[2:3], v[46:47]
	v_add_f64_e32 v[72:73], v[48:49], v[72:73]
	ds_load_b128 v[46:49], v60 offset:2304
	s_wait_dscnt 0x0
	v_mul_f64_e32 v[74:75], v[40:41], v[48:49]
	s_delay_alu instid0(VALU_DEP_1) | instskip(SKIP_1) | instid1(VALU_DEP_2)
	v_fma_f64 v[74:75], v[38:39], v[46:47], -v[74:75]
	v_mul_f64_e32 v[38:39], v[38:39], v[48:49]
	v_add_f64_e32 v[56:57], v[56:57], v[74:75]
	s_delay_alu instid0(VALU_DEP_2) | instskip(NEXT) | instid1(VALU_DEP_1)
	v_fma_f64 v[38:39], v[40:41], v[46:47], v[38:39]
	v_add_f64_e32 v[54:55], v[38:39], v[54:55]
	ds_load_b128 v[38:41], v59 offset:8256
	s_wait_dscnt 0x0
	v_mul_f64_e32 v[74:75], v[40:41], v[44:45]
	v_mul_f64_e32 v[44:45], v[38:39], v[44:45]
	s_delay_alu instid0(VALU_DEP_2) | instskip(NEXT) | instid1(VALU_DEP_2)
	v_fma_f64 v[74:75], v[38:39], v[42:43], -v[74:75]
	v_fma_f64 v[42:43], v[40:41], v[42:43], v[44:45]
	s_delay_alu instid0(VALU_DEP_2) | instskip(NEXT) | instid1(VALU_DEP_2)
	v_add_f64_e32 v[68:69], v[68:69], v[74:75]
	v_add_f64_e32 v[70:71], v[42:43], v[70:71]
	v_mul_f64_e32 v[42:43], v[40:41], v[48:49]
	s_delay_alu instid0(VALU_DEP_1) | instskip(SKIP_1) | instid1(VALU_DEP_2)
	v_fma_f64 v[42:43], v[38:39], v[46:47], -v[42:43]
	v_mul_f64_e32 v[38:39], v[38:39], v[48:49]
	v_add_f64_e32 v[52:53], v[52:53], v[42:43]
	s_delay_alu instid0(VALU_DEP_2) | instskip(NEXT) | instid1(VALU_DEP_1)
	v_fma_f64 v[38:39], v[40:41], v[46:47], v[38:39]
	v_add_f64_e32 v[50:51], v[38:39], v[50:51]
	ds_load_b128 v[38:41], v59 offset:80
	ds_load_b128 v[42:45], v60 offset:2560
	s_wait_dscnt 0x0
	v_mul_f64_e32 v[46:47], v[40:41], v[44:45]
	v_mul_f64_e32 v[48:49], v[38:39], v[44:45]
	s_delay_alu instid0(VALU_DEP_2) | instskip(NEXT) | instid1(VALU_DEP_2)
	v_fma_f64 v[46:47], v[38:39], v[42:43], -v[46:47]
	v_fma_f64 v[48:49], v[40:41], v[42:43], v[48:49]
	s_delay_alu instid0(VALU_DEP_2) | instskip(NEXT) | instid1(VALU_DEP_2)
	v_add_f64_e32 v[2:3], v[2:3], v[46:47]
	v_add_f64_e32 v[72:73], v[48:49], v[72:73]
	ds_load_b128 v[46:49], v60 offset:2816
	s_wait_dscnt 0x0
	v_mul_f64_e32 v[74:75], v[40:41], v[48:49]
	s_delay_alu instid0(VALU_DEP_1) | instskip(SKIP_1) | instid1(VALU_DEP_2)
	v_fma_f64 v[74:75], v[38:39], v[46:47], -v[74:75]
	v_mul_f64_e32 v[38:39], v[38:39], v[48:49]
	v_add_f64_e32 v[56:57], v[56:57], v[74:75]
	s_delay_alu instid0(VALU_DEP_2) | instskip(NEXT) | instid1(VALU_DEP_1)
	v_fma_f64 v[38:39], v[40:41], v[46:47], v[38:39]
	v_add_f64_e32 v[54:55], v[38:39], v[54:55]
	ds_load_b128 v[38:41], v59 offset:8272
	s_wait_dscnt 0x0
	v_mul_f64_e32 v[74:75], v[40:41], v[44:45]
	v_mul_f64_e32 v[44:45], v[38:39], v[44:45]
	s_delay_alu instid0(VALU_DEP_2) | instskip(NEXT) | instid1(VALU_DEP_2)
	v_fma_f64 v[74:75], v[38:39], v[42:43], -v[74:75]
	v_fma_f64 v[42:43], v[40:41], v[42:43], v[44:45]
	s_delay_alu instid0(VALU_DEP_2) | instskip(NEXT) | instid1(VALU_DEP_2)
	v_add_f64_e32 v[68:69], v[68:69], v[74:75]
	v_add_f64_e32 v[70:71], v[42:43], v[70:71]
	v_mul_f64_e32 v[42:43], v[40:41], v[48:49]
	s_delay_alu instid0(VALU_DEP_1) | instskip(SKIP_1) | instid1(VALU_DEP_2)
	v_fma_f64 v[42:43], v[38:39], v[46:47], -v[42:43]
	v_mul_f64_e32 v[38:39], v[38:39], v[48:49]
	v_add_f64_e32 v[52:53], v[52:53], v[42:43]
	s_delay_alu instid0(VALU_DEP_2) | instskip(NEXT) | instid1(VALU_DEP_1)
	v_fma_f64 v[38:39], v[40:41], v[46:47], v[38:39]
	;; [unrolled: 39-line block ×26, first 2 shown]
	v_add_f64_e32 v[50:51], v[38:39], v[50:51]
	ds_load_b128 v[38:41], v59 offset:480
	ds_load_b128 v[42:45], v60 offset:15360
	s_wait_dscnt 0x0
	v_mul_f64_e32 v[46:47], v[40:41], v[44:45]
	v_mul_f64_e32 v[48:49], v[38:39], v[44:45]
	s_delay_alu instid0(VALU_DEP_2) | instskip(NEXT) | instid1(VALU_DEP_2)
	v_fma_f64 v[46:47], v[38:39], v[42:43], -v[46:47]
	v_fma_f64 v[48:49], v[40:41], v[42:43], v[48:49]
	s_delay_alu instid0(VALU_DEP_2) | instskip(NEXT) | instid1(VALU_DEP_2)
	v_add_f64_e32 v[74:75], v[2:3], v[46:47]
	v_add_f64_e32 v[72:73], v[48:49], v[72:73]
	ds_load_b128 v[46:49], v60 offset:15616
	s_wait_dscnt 0x0
	v_mul_f64_e32 v[2:3], v[40:41], v[48:49]
	s_delay_alu instid0(VALU_DEP_1) | instskip(SKIP_1) | instid1(VALU_DEP_2)
	v_fma_f64 v[2:3], v[38:39], v[46:47], -v[2:3]
	v_mul_f64_e32 v[38:39], v[38:39], v[48:49]
	v_add_f64_e32 v[56:57], v[56:57], v[2:3]
	s_delay_alu instid0(VALU_DEP_2) | instskip(NEXT) | instid1(VALU_DEP_1)
	v_fma_f64 v[38:39], v[40:41], v[46:47], v[38:39]
	v_add_f64_e32 v[76:77], v[38:39], v[54:55]
	ds_load_b128 v[38:41], v59 offset:8672
	s_wait_dscnt 0x0
	v_mul_f64_e32 v[2:3], v[40:41], v[44:45]
	v_mul_f64_e32 v[44:45], v[38:39], v[44:45]
	s_delay_alu instid0(VALU_DEP_2) | instskip(NEXT) | instid1(VALU_DEP_2)
	v_fma_f64 v[2:3], v[38:39], v[42:43], -v[2:3]
	v_fma_f64 v[42:43], v[40:41], v[42:43], v[44:45]
	s_delay_alu instid0(VALU_DEP_2) | instskip(SKIP_1) | instid1(VALU_DEP_3)
	v_add_f64_e32 v[78:79], v[68:69], v[2:3]
	v_mul_f64_e32 v[2:3], v[40:41], v[48:49]
	v_add_f64_e32 v[80:81], v[42:43], v[70:71]
	s_delay_alu instid0(VALU_DEP_2) | instskip(SKIP_1) | instid1(VALU_DEP_2)
	v_fma_f64 v[2:3], v[38:39], v[46:47], -v[2:3]
	v_mul_f64_e32 v[38:39], v[38:39], v[48:49]
	v_add_f64_e32 v[2:3], v[52:53], v[2:3]
	s_delay_alu instid0(VALU_DEP_2) | instskip(NEXT) | instid1(VALU_DEP_1)
	v_fma_f64 v[38:39], v[40:41], v[46:47], v[38:39]
	v_add_f64_e32 v[50:51], v[38:39], v[50:51]
	ds_load_b128 v[38:41], v59 offset:496
	ds_load_b128 v[42:45], v60 offset:15872
	;; [unrolled: 1-line block ×3, first 2 shown]
	s_wait_dscnt 0x1
	v_mul_f64_e32 v[46:47], v[40:41], v[44:45]
	s_wait_dscnt 0x0
	v_mul_f64_e32 v[68:69], v[40:41], v[54:55]
	v_mul_f64_e32 v[48:49], v[38:39], v[44:45]
	s_delay_alu instid0(VALU_DEP_3) | instskip(NEXT) | instid1(VALU_DEP_3)
	v_fma_f64 v[46:47], v[38:39], v[42:43], -v[46:47]
	v_fma_f64 v[68:69], v[38:39], v[52:53], -v[68:69]
	v_mul_f64_e32 v[38:39], v[38:39], v[54:55]
	s_delay_alu instid0(VALU_DEP_4) | instskip(NEXT) | instid1(VALU_DEP_4)
	v_fma_f64 v[48:49], v[40:41], v[42:43], v[48:49]
	v_add_f64_e32 v[46:47], v[74:75], v[46:47]
	s_delay_alu instid0(VALU_DEP_3)
	v_fma_f64 v[40:41], v[40:41], v[52:53], v[38:39]
	v_add_f64_e32 v[38:39], v[56:57], v[68:69]
	ds_load_b128 v[68:71], v59 offset:8688
	v_add_f64_e32 v[48:49], v[48:49], v[72:73]
	s_wait_loadcnt_dscnt 0x0
	s_barrier_signal -1
	s_barrier_wait -1
	global_inv scope:SCOPE_SE
	v_mul_f64_e32 v[56:57], v[70:71], v[44:45]
	v_mul_f64_e32 v[44:45], v[68:69], v[44:45]
	v_add_f64_e32 v[40:41], v[40:41], v[76:77]
	s_delay_alu instid0(VALU_DEP_3) | instskip(NEXT) | instid1(VALU_DEP_3)
	v_fma_f64 v[56:57], v[68:69], v[42:43], -v[56:57]
	v_fma_f64 v[44:45], v[70:71], v[42:43], v[44:45]
	s_delay_alu instid0(VALU_DEP_2) | instskip(SKIP_2) | instid1(VALU_DEP_4)
	v_add_f64_e32 v[42:43], v[78:79], v[56:57]
	v_mul_f64_e32 v[56:57], v[70:71], v[54:55]
	v_mul_f64_e32 v[54:55], v[68:69], v[54:55]
	v_add_f64_e32 v[44:45], v[44:45], v[80:81]
	s_delay_alu instid0(VALU_DEP_3) | instskip(NEXT) | instid1(VALU_DEP_3)
	v_fma_f64 v[56:57], v[68:69], v[52:53], -v[56:57]
	v_fma_f64 v[54:55], v[70:71], v[52:53], v[54:55]
	s_delay_alu instid0(VALU_DEP_2) | instskip(NEXT) | instid1(VALU_DEP_2)
	v_add_f64_e32 v[52:53], v[2:3], v[56:57]
	v_add_f64_e32 v[50:51], v[54:55], v[50:51]
	s_cbranch_scc1 .LBB131_59
.LBB131_10:                             ;   Parent Loop BB131_4 Depth=1
                                        ;     Parent Loop BB131_7 Depth=2
                                        ; =>    This Inner Loop Header: Depth=3
	s_wait_alu 0xfffe
	v_add_co_u32 v54, s5, v14, s54
	s_wait_alu 0xf1ff
	v_add_co_ci_u32_e64 v55, null, s55, v15, s5
	v_cmp_eq_u64_e64 s7, s[54:55], v[20:21]
	v_add_co_u32 v56, s8, v26, v18
	s_delay_alu instid0(VALU_DEP_3)
	v_cmp_lt_i64_e64 s5, v[54:55], v[16:17]
	v_cmp_le_i64_e64 s6, s[46:47], v[54:55]
	s_wait_alu 0xf1ff
	v_add_co_ci_u32_e64 v57, null, v27, v19, s8
	s_and_b32 s64, s58, s7
	s_or_b32 s8, vcc_lo, s5
	s_wait_alu 0xfffe
	s_or_b32 s7, s6, s8
	s_wait_alu 0xfffe
	s_nor_b32 s7, s7, s64
	s_wait_alu 0xfffe
	s_and_saveexec_b32 s8, s7
	s_wait_alu 0xfffe
	s_xor_b32 s7, exec_lo, s8
	s_cbranch_execz .LBB131_12
; %bb.11:                               ;   in Loop: Header=BB131_10 Depth=3
	global_load_b128 v[68:71], v[56:57], off
	s_wait_loadcnt 0x0
	v_xor_b32_e32 v71, 0x80000000, v71
	ds_store_b128 v61, v[68:71]
.LBB131_12:                             ;   in Loop: Header=BB131_10 Depth=3
	s_wait_alu 0xfffe
	s_or_saveexec_b32 s7, s7
	s_xor_b32 s63, s64, -1
	s_wait_alu 0xfffe
	s_xor_b32 exec_lo, exec_lo, s7
	s_cbranch_execz .LBB131_18
; %bb.13:                               ;   in Loop: Header=BB131_10 Depth=3
	s_and_saveexec_b32 s8, s63
	s_wait_alu 0xfffe
	s_xor_b32 s8, exec_lo, s8
; %bb.14:                               ;   in Loop: Header=BB131_10 Depth=3
	v_dual_mov_b32 v68, v0 :: v_dual_mov_b32 v69, v0
	v_dual_mov_b32 v70, v0 :: v_dual_mov_b32 v71, v0
	ds_store_b128 v61, v[68:71]
; %bb.15:                               ;   in Loop: Header=BB131_10 Depth=3
	s_wait_alu 0xfffe
	s_and_not1_saveexec_b32 s8, s8
; %bb.16:                               ;   in Loop: Header=BB131_10 Depth=3
	v_dual_mov_b32 v2, v0 :: v_dual_mov_b32 v3, v0
	ds_store_b128 v61, v[0:3]
; %bb.17:                               ;   in Loop: Header=BB131_10 Depth=3
	s_wait_alu 0xfffe
	s_or_b32 exec_lo, exec_lo, s8
.LBB131_18:                             ;   in Loop: Header=BB131_10 Depth=3
	s_delay_alu instid0(SALU_CYCLE_1) | instskip(SKIP_4) | instid1(VALU_DEP_2)
	s_or_b32 exec_lo, exec_lo, s7
	v_add_co_u32 v2, s7, v54, 16
	s_wait_alu 0xf1ff
	v_add_co_ci_u32_e64 v3, null, 0, v55, s7
	v_cmp_eq_u64_e64 s9, s[54:55], v[34:35]
	v_cmp_lt_i64_e64 s8, v[2:3], v[16:17]
	v_cmp_le_i64_e64 s7, s[46:47], v[2:3]
	s_and_b32 s9, s58, s9
	s_or_b32 s8, vcc_lo, s8
	s_wait_alu 0xfffe
	s_or_b32 s8, s7, s8
	s_wait_alu 0xfffe
	s_nor_b32 s8, s8, s9
	s_wait_alu 0xfffe
	s_and_saveexec_b32 s65, s8
	s_delay_alu instid0(SALU_CYCLE_1)
	s_xor_b32 s65, exec_lo, s65
	s_cbranch_execz .LBB131_20
; %bb.19:                               ;   in Loop: Header=BB131_10 Depth=3
	v_add_co_u32 v2, s8, v28, v18
	s_wait_alu 0xf1ff
	v_add_co_ci_u32_e64 v3, null, v29, v19, s8
	global_load_b128 v[68:71], v[2:3], off
	s_wait_loadcnt 0x0
	v_xor_b32_e32 v71, 0x80000000, v71
	ds_store_b128 v61, v[68:71] offset:256
.LBB131_20:                             ;   in Loop: Header=BB131_10 Depth=3
	s_and_not1_saveexec_b32 s8, s65
	s_cbranch_execz .LBB131_26
; %bb.21:                               ;   in Loop: Header=BB131_10 Depth=3
	s_xor_b32 s9, s9, -1
	s_wait_alu 0xfffe
	s_and_saveexec_b32 s65, s9
	s_delay_alu instid0(SALU_CYCLE_1)
	s_xor_b32 s9, exec_lo, s65
; %bb.22:                               ;   in Loop: Header=BB131_10 Depth=3
	v_dual_mov_b32 v68, v0 :: v_dual_mov_b32 v69, v0
	v_dual_mov_b32 v70, v0 :: v_dual_mov_b32 v71, v0
	ds_store_b128 v61, v[68:71] offset:256
; %bb.23:                               ;   in Loop: Header=BB131_10 Depth=3
	s_wait_alu 0xfffe
	s_and_not1_saveexec_b32 s9, s9
; %bb.24:                               ;   in Loop: Header=BB131_10 Depth=3
	v_dual_mov_b32 v2, v0 :: v_dual_mov_b32 v3, v0
	ds_store_b128 v61, v[0:3] offset:256
; %bb.25:                               ;   in Loop: Header=BB131_10 Depth=3
	s_wait_alu 0xfffe
	s_or_b32 exec_lo, exec_lo, s9
.LBB131_26:                             ;   in Loop: Header=BB131_10 Depth=3
	s_wait_alu 0xfffe
	s_or_b32 exec_lo, exec_lo, s8
	v_cmp_eq_u64_e64 s8, s[54:55], v[32:33]
	v_cmp_lt_i64_e64 s9, v[54:55], v[30:31]
	s_and_b32 s8, s58, s8
	s_or_b32 s9, s4, s9
	s_wait_alu 0xfffe
	s_or_b32 s9, s9, s8
	s_wait_alu 0xfffe
	s_nor_b32 s6, s6, s9
	s_wait_alu 0xfffe
	s_and_saveexec_b32 s9, s6
	s_wait_alu 0xfffe
	s_xor_b32 s6, exec_lo, s9
	s_cbranch_execz .LBB131_28
; %bb.27:                               ;   in Loop: Header=BB131_10 Depth=3
	global_load_b128 v[54:57], v[56:57], off offset:256
	s_wait_loadcnt 0x0
	v_xor_b32_e32 v57, 0x80000000, v57
	ds_store_b128 v61, v[54:57] offset:8192
.LBB131_28:                             ;   in Loop: Header=BB131_10 Depth=3
	s_wait_alu 0xfffe
	s_and_not1_saveexec_b32 s6, s6
	s_cbranch_execz .LBB131_34
; %bb.29:                               ;   in Loop: Header=BB131_10 Depth=3
	s_xor_b32 s8, s8, -1
	s_wait_alu 0xfffe
	s_and_saveexec_b32 s9, s8
	s_wait_alu 0xfffe
	s_xor_b32 s8, exec_lo, s9
; %bb.30:                               ;   in Loop: Header=BB131_10 Depth=3
	v_dual_mov_b32 v54, v0 :: v_dual_mov_b32 v55, v0
	v_dual_mov_b32 v56, v0 :: v_dual_mov_b32 v57, v0
	ds_store_b128 v61, v[54:57] offset:8192
; %bb.31:                               ;   in Loop: Header=BB131_10 Depth=3
	s_wait_alu 0xfffe
	s_and_not1_saveexec_b32 s8, s8
; %bb.32:                               ;   in Loop: Header=BB131_10 Depth=3
	v_dual_mov_b32 v2, v0 :: v_dual_mov_b32 v3, v0
	ds_store_b128 v61, v[0:3] offset:8192
; %bb.33:                               ;   in Loop: Header=BB131_10 Depth=3
	s_wait_alu 0xfffe
	s_or_b32 exec_lo, exec_lo, s8
.LBB131_34:                             ;   in Loop: Header=BB131_10 Depth=3
	s_wait_alu 0xfffe
	s_or_b32 exec_lo, exec_lo, s6
	s_or_b32 s5, s4, s5
	s_wait_alu 0xfffe
	s_or_b32 s5, s7, s5
	s_wait_alu 0xfffe
	s_nor_b32 s5, s5, s64
	s_wait_alu 0xfffe
	s_and_saveexec_b32 s6, s5
	s_wait_alu 0xfffe
	s_xor_b32 s6, exec_lo, s6
	s_cbranch_execz .LBB131_36
; %bb.35:                               ;   in Loop: Header=BB131_10 Depth=3
	v_add_co_u32 v2, s5, v28, v18
	s_wait_alu 0xf1ff
	v_add_co_ci_u32_e64 v3, null, v29, v19, s5
	global_load_b128 v[54:57], v[2:3], off offset:256
	s_wait_loadcnt 0x0
	v_xor_b32_e32 v57, 0x80000000, v57
	ds_store_b128 v61, v[54:57] offset:8448
.LBB131_36:                             ;   in Loop: Header=BB131_10 Depth=3
	s_wait_alu 0xfffe
	s_and_not1_saveexec_b32 s5, s6
	s_cbranch_execz .LBB131_42
; %bb.37:                               ;   in Loop: Header=BB131_10 Depth=3
	s_and_saveexec_b32 s6, s63
	s_wait_alu 0xfffe
	s_xor_b32 s6, exec_lo, s6
; %bb.38:                               ;   in Loop: Header=BB131_10 Depth=3
	v_dual_mov_b32 v54, v0 :: v_dual_mov_b32 v55, v0
	v_dual_mov_b32 v56, v0 :: v_dual_mov_b32 v57, v0
	ds_store_b128 v61, v[54:57] offset:8448
; %bb.39:                               ;   in Loop: Header=BB131_10 Depth=3
	s_wait_alu 0xfffe
	s_and_not1_saveexec_b32 s6, s6
; %bb.40:                               ;   in Loop: Header=BB131_10 Depth=3
	v_dual_mov_b32 v2, v0 :: v_dual_mov_b32 v3, v0
	ds_store_b128 v61, v[0:3] offset:8448
; %bb.41:                               ;   in Loop: Header=BB131_10 Depth=3
	s_wait_alu 0xfffe
	s_or_b32 exec_lo, exec_lo, s6
.LBB131_42:                             ;   in Loop: Header=BB131_10 Depth=3
	s_wait_alu 0xfffe
	s_or_b32 exec_lo, exec_lo, s5
	v_add_co_u32 v2, s5, v12, s54
	s_wait_alu 0xf1ff
	v_add_co_ci_u32_e64 v3, null, s55, v13, s5
	v_add_co_u32 v54, s6, v36, v22
	s_wait_alu 0xf1ff
	v_add_co_ci_u32_e64 v55, null, v37, v23, s6
	s_delay_alu instid0(VALU_DEP_3)
	v_cmp_le_i64_e64 s5, s[46:47], v[2:3]
	s_nor_b32 s6, s5, s1
	s_wait_alu 0xfffe
	s_and_saveexec_b32 s7, s6
	s_wait_alu 0xfffe
	s_xor_b32 s6, exec_lo, s7
	s_cbranch_execz .LBB131_44
; %bb.43:                               ;   in Loop: Header=BB131_10 Depth=3
	global_load_b128 v[68:71], v[54:55], off offset:-256
	s_wait_loadcnt 0x0
	ds_store_2addr_b64 v62, v[68:69], v[70:71] offset1:1
.LBB131_44:                             ;   in Loop: Header=BB131_10 Depth=3
	s_wait_alu 0xfffe
	s_and_not1_saveexec_b32 s6, s6
; %bb.45:                               ;   in Loop: Header=BB131_10 Depth=3
	v_dual_mov_b32 v68, v0 :: v_dual_mov_b32 v69, v0
	v_dual_mov_b32 v70, v0 :: v_dual_mov_b32 v71, v0
	ds_store_b128 v62, v[68:71]
; %bb.46:                               ;   in Loop: Header=BB131_10 Depth=3
	s_wait_alu 0xfffe
	s_or_b32 exec_lo, exec_lo, s6
	s_nor_b32 s5, s5, s2
	s_wait_alu 0xfffe
	s_and_saveexec_b32 s6, s5
	s_wait_alu 0xfffe
	s_xor_b32 s5, exec_lo, s6
	s_cbranch_execz .LBB131_48
; %bb.47:                               ;   in Loop: Header=BB131_10 Depth=3
	global_load_b128 v[54:57], v[54:55], off
	s_wait_loadcnt 0x0
	ds_store_2addr_b64 v63, v[54:55], v[56:57] offset1:1
.LBB131_48:                             ;   in Loop: Header=BB131_10 Depth=3
	s_wait_alu 0xfffe
	s_and_not1_saveexec_b32 s5, s5
; %bb.49:                               ;   in Loop: Header=BB131_10 Depth=3
	v_dual_mov_b32 v54, v0 :: v_dual_mov_b32 v55, v0
	v_dual_mov_b32 v56, v0 :: v_dual_mov_b32 v57, v0
	ds_store_b128 v62, v[54:57] offset:256
; %bb.50:                               ;   in Loop: Header=BB131_10 Depth=3
	s_wait_alu 0xfffe
	s_or_b32 exec_lo, exec_lo, s5
	v_cmp_le_i64_e64 s5, s[50:51], v[2:3]
	v_add_co_u32 v2, s6, v36, v24
	s_wait_alu 0xf1ff
	v_add_co_ci_u32_e64 v3, null, v37, v25, s6
	s_nor_b32 s6, s5, s1
	s_wait_alu 0xfffe
	s_and_saveexec_b32 s7, s6
	s_wait_alu 0xfffe
	s_xor_b32 s6, exec_lo, s7
	s_cbranch_execz .LBB131_52
; %bb.51:                               ;   in Loop: Header=BB131_10 Depth=3
	global_load_b128 v[54:57], v[2:3], off offset:-256
	s_wait_loadcnt 0x0
	ds_store_2addr_b64 v64, v[54:55], v[56:57] offset1:1
.LBB131_52:                             ;   in Loop: Header=BB131_10 Depth=3
	s_wait_alu 0xfffe
	s_and_not1_saveexec_b32 s6, s6
; %bb.53:                               ;   in Loop: Header=BB131_10 Depth=3
	v_dual_mov_b32 v54, v0 :: v_dual_mov_b32 v55, v0
	v_dual_mov_b32 v56, v0 :: v_dual_mov_b32 v57, v0
	ds_store_b128 v62, v[54:57] offset:8192
; %bb.54:                               ;   in Loop: Header=BB131_10 Depth=3
	s_wait_alu 0xfffe
	s_or_b32 exec_lo, exec_lo, s6
	s_nor_b32 s5, s5, s2
	s_wait_alu 0xfffe
	s_and_saveexec_b32 s6, s5
	s_wait_alu 0xfffe
	s_xor_b32 s5, exec_lo, s6
	s_cbranch_execz .LBB131_56
; %bb.55:                               ;   in Loop: Header=BB131_10 Depth=3
	global_load_b128 v[54:57], v[2:3], off
	s_wait_loadcnt 0x0
	ds_store_2addr_b64 v65, v[54:55], v[56:57] offset1:1
.LBB131_56:                             ;   in Loop: Header=BB131_10 Depth=3
	s_wait_alu 0xfffe
	s_and_not1_saveexec_b32 s5, s5
	s_cbranch_execz .LBB131_9
; %bb.57:                               ;   in Loop: Header=BB131_10 Depth=3
	v_dual_mov_b32 v54, v0 :: v_dual_mov_b32 v55, v0
	v_dual_mov_b32 v56, v0 :: v_dual_mov_b32 v57, v0
	ds_store_b128 v62, v[54:57] offset:8448
	s_branch .LBB131_9
.LBB131_58:                             ;   in Loop: Header=BB131_7 Depth=2
	v_mov_b32_e32 v46, 0
	v_mov_b32_e32 v38, 0
	;; [unrolled: 1-line block ×3, first 2 shown]
	v_dual_mov_b32 v52, 0 :: v_dual_mov_b32 v47, 0
	v_dual_mov_b32 v48, 0 :: v_dual_mov_b32 v39, 0
	;; [unrolled: 1-line block ×5, first 2 shown]
	v_mov_b32_e32 v41, 0
	v_mov_b32_e32 v45, 0
	;; [unrolled: 1-line block ×3, first 2 shown]
.LBB131_59:                             ;   in Loop: Header=BB131_7 Depth=2
	v_mul_lo_u32 v13, s29, v16
	v_mul_lo_u32 v15, s28, v17
	v_mad_co_u64_u32 v[2:3], null, s28, v16, 0
	v_cmp_gt_i32_e32 vcc_lo, s42, v16
	s_delay_alu instid0(VALU_DEP_2) | instskip(NEXT) | instid1(VALU_DEP_1)
	v_add3_u32 v3, v3, v15, v13
	v_lshlrev_b64_e32 v[2:3], 4, v[2:3]
	s_delay_alu instid0(VALU_DEP_1) | instskip(SKIP_1) | instid1(VALU_DEP_2)
	v_add_co_u32 v2, s4, s40, v2
	s_wait_alu 0xf1ff
	v_add_co_ci_u32_e64 v3, null, s41, v3, s4
	s_and_b32 s4, s0, vcc_lo
	s_wait_alu 0xfffe
	s_and_saveexec_b32 s5, s4
	s_cbranch_execz .LBB131_61
; %bb.60:                               ;   in Loop: Header=BB131_7 Depth=2
	v_add_co_u32 v21, s4, v2, v6
	s_wait_alu 0xf1ff
	v_add_co_ci_u32_e64 v22, null, v3, v7, s4
	v_mul_f64_e32 v[23:24], s[38:39], v[48:49]
	v_mul_f64_e32 v[25:26], s[36:37], v[48:49]
	global_load_b128 v[17:20], v[21:22], off
	v_fma_f64 v[23:24], s[36:37], v[46:47], -v[23:24]
	v_fma_f64 v[25:26], s[38:39], v[46:47], v[25:26]
	s_wait_loadcnt 0x0
	s_delay_alu instid0(VALU_DEP_2) | instskip(NEXT) | instid1(VALU_DEP_2)
	v_add_f64_e32 v[17:18], v[17:18], v[23:24]
	v_add_f64_e32 v[19:20], v[25:26], v[19:20]
	global_store_b128 v[21:22], v[17:20], off
.LBB131_61:                             ;   in Loop: Header=BB131_7 Depth=2
	s_wait_alu 0xfffe
	s_or_b32 exec_lo, exec_lo, s5
	s_and_b32 s5, s3, vcc_lo
	s_wait_alu 0xfffe
	s_and_saveexec_b32 s4, s5
	s_cbranch_execz .LBB131_63
; %bb.62:                               ;   in Loop: Header=BB131_7 Depth=2
	v_lshlrev_b64_e32 v[17:18], 4, v[4:5]
	v_mul_f64_e32 v[21:22], s[38:39], v[40:41]
	v_mul_f64_e32 v[23:24], s[36:37], v[40:41]
	s_delay_alu instid0(VALU_DEP_3) | instskip(SKIP_1) | instid1(VALU_DEP_4)
	v_add_co_u32 v2, vcc_lo, v2, v17
	s_wait_alu 0xfffd
	v_add_co_ci_u32_e64 v3, null, v3, v18, vcc_lo
	global_load_b128 v[17:20], v[2:3], off
	v_fma_f64 v[21:22], s[36:37], v[38:39], -v[21:22]
	v_fma_f64 v[23:24], s[38:39], v[38:39], v[23:24]
	s_wait_loadcnt 0x0
	s_delay_alu instid0(VALU_DEP_2) | instskip(NEXT) | instid1(VALU_DEP_2)
	v_add_f64_e32 v[17:18], v[17:18], v[21:22]
	v_add_f64_e32 v[19:20], v[23:24], v[19:20]
	global_store_b128 v[2:3], v[17:20], off
.LBB131_63:                             ;   in Loop: Header=BB131_7 Depth=2
	s_wait_alu 0xfffe
	s_or_b32 exec_lo, exec_lo, s4
	v_add_nc_u32_e32 v13, 16, v16
	s_delay_alu instid0(VALU_DEP_1) | instskip(SKIP_3) | instid1(VALU_DEP_4)
	v_ashrrev_i32_e32 v15, 31, v13
	v_mul_lo_u32 v16, s29, v13
	v_mad_co_u64_u32 v[2:3], null, s28, v13, 0
	v_cmp_gt_i32_e32 vcc_lo, s42, v13
	v_mul_lo_u32 v15, s28, v15
	s_delay_alu instid0(VALU_DEP_1) | instskip(NEXT) | instid1(VALU_DEP_1)
	v_add3_u32 v3, v3, v15, v16
	v_lshlrev_b64_e32 v[2:3], 4, v[2:3]
	s_delay_alu instid0(VALU_DEP_1) | instskip(SKIP_1) | instid1(VALU_DEP_2)
	v_add_co_u32 v2, s4, s40, v2
	s_wait_alu 0xf1ff
	v_add_co_ci_u32_e64 v3, null, s41, v3, s4
	s_and_b32 s4, s0, vcc_lo
	s_wait_alu 0xfffe
	s_and_saveexec_b32 s5, s4
	s_cbranch_execz .LBB131_65
; %bb.64:                               ;   in Loop: Header=BB131_7 Depth=2
	v_add_co_u32 v19, s4, v2, v6
	s_wait_alu 0xf1ff
	v_add_co_ci_u32_e64 v20, null, v3, v7, s4
	v_mul_f64_e32 v[21:22], s[38:39], v[44:45]
	v_mul_f64_e32 v[23:24], s[36:37], v[44:45]
	global_load_b128 v[15:18], v[19:20], off
	v_fma_f64 v[21:22], s[36:37], v[42:43], -v[21:22]
	v_fma_f64 v[23:24], s[38:39], v[42:43], v[23:24]
	s_wait_loadcnt 0x0
	s_delay_alu instid0(VALU_DEP_2) | instskip(NEXT) | instid1(VALU_DEP_2)
	v_add_f64_e32 v[15:16], v[15:16], v[21:22]
	v_add_f64_e32 v[17:18], v[23:24], v[17:18]
	global_store_b128 v[19:20], v[15:18], off
.LBB131_65:                             ;   in Loop: Header=BB131_7 Depth=2
	s_wait_alu 0xfffe
	s_or_b32 exec_lo, exec_lo, s5
	s_and_b32 s5, s3, vcc_lo
	s_wait_alu 0xfffe
	s_and_saveexec_b32 s4, s5
	s_cbranch_execz .LBB131_6
; %bb.66:                               ;   in Loop: Header=BB131_7 Depth=2
	v_lshlrev_b64_e32 v[15:16], 4, v[4:5]
	v_mul_f64_e32 v[19:20], s[38:39], v[50:51]
	v_mul_f64_e32 v[21:22], s[36:37], v[50:51]
	s_delay_alu instid0(VALU_DEP_3) | instskip(SKIP_1) | instid1(VALU_DEP_4)
	v_add_co_u32 v2, vcc_lo, v2, v15
	s_wait_alu 0xfffd
	v_add_co_ci_u32_e64 v3, null, v3, v16, vcc_lo
	global_load_b128 v[15:18], v[2:3], off
	v_fma_f64 v[19:20], s[36:37], v[52:53], -v[19:20]
	v_fma_f64 v[21:22], s[38:39], v[52:53], v[21:22]
	s_wait_loadcnt 0x0
	s_delay_alu instid0(VALU_DEP_2) | instskip(NEXT) | instid1(VALU_DEP_2)
	v_add_f64_e32 v[15:16], v[15:16], v[19:20]
	v_add_f64_e32 v[17:18], v[21:22], v[17:18]
	global_store_b128 v[2:3], v[15:18], off
	s_branch .LBB131_6
.LBB131_67:
	s_endpgm
	.section	.rodata,"a",@progbits
	.p2align	6, 0x0
	.amdhsa_kernel _ZL30rocblas_trmm_outofplace_kernelI19rocblas_complex_numIdELi32ELi2ELb0ELb1ELb1ELb1ES1_KS1_S1_Ev17rocblas_diagonal_iiT6_lPT7_lllS6_lllPT8_llli
		.amdhsa_group_segment_fixed_size 32768
		.amdhsa_private_segment_fixed_size 0
		.amdhsa_kernarg_size 400
		.amdhsa_user_sgpr_count 2
		.amdhsa_user_sgpr_dispatch_ptr 0
		.amdhsa_user_sgpr_queue_ptr 0
		.amdhsa_user_sgpr_kernarg_segment_ptr 1
		.amdhsa_user_sgpr_dispatch_id 0
		.amdhsa_user_sgpr_private_segment_size 0
		.amdhsa_wavefront_size32 1
		.amdhsa_uses_dynamic_stack 0
		.amdhsa_enable_private_segment 0
		.amdhsa_system_sgpr_workgroup_id_x 1
		.amdhsa_system_sgpr_workgroup_id_y 1
		.amdhsa_system_sgpr_workgroup_id_z 1
		.amdhsa_system_sgpr_workgroup_info 0
		.amdhsa_system_vgpr_workitem_id 1
		.amdhsa_next_free_vgpr 88
		.amdhsa_next_free_sgpr 66
		.amdhsa_reserve_vcc 1
		.amdhsa_float_round_mode_32 0
		.amdhsa_float_round_mode_16_64 0
		.amdhsa_float_denorm_mode_32 3
		.amdhsa_float_denorm_mode_16_64 3
		.amdhsa_fp16_overflow 0
		.amdhsa_workgroup_processor_mode 1
		.amdhsa_memory_ordered 1
		.amdhsa_forward_progress 1
		.amdhsa_inst_pref_size 76
		.amdhsa_round_robin_scheduling 0
		.amdhsa_exception_fp_ieee_invalid_op 0
		.amdhsa_exception_fp_denorm_src 0
		.amdhsa_exception_fp_ieee_div_zero 0
		.amdhsa_exception_fp_ieee_overflow 0
		.amdhsa_exception_fp_ieee_underflow 0
		.amdhsa_exception_fp_ieee_inexact 0
		.amdhsa_exception_int_div_zero 0
	.end_amdhsa_kernel
	.section	.text._ZL30rocblas_trmm_outofplace_kernelI19rocblas_complex_numIdELi32ELi2ELb0ELb1ELb1ELb1ES1_KS1_S1_Ev17rocblas_diagonal_iiT6_lPT7_lllS6_lllPT8_llli,"axG",@progbits,_ZL30rocblas_trmm_outofplace_kernelI19rocblas_complex_numIdELi32ELi2ELb0ELb1ELb1ELb1ES1_KS1_S1_Ev17rocblas_diagonal_iiT6_lPT7_lllS6_lllPT8_llli,comdat
.Lfunc_end131:
	.size	_ZL30rocblas_trmm_outofplace_kernelI19rocblas_complex_numIdELi32ELi2ELb0ELb1ELb1ELb1ES1_KS1_S1_Ev17rocblas_diagonal_iiT6_lPT7_lllS6_lllPT8_llli, .Lfunc_end131-_ZL30rocblas_trmm_outofplace_kernelI19rocblas_complex_numIdELi32ELi2ELb0ELb1ELb1ELb1ES1_KS1_S1_Ev17rocblas_diagonal_iiT6_lPT7_lllS6_lllPT8_llli
                                        ; -- End function
	.set _ZL30rocblas_trmm_outofplace_kernelI19rocblas_complex_numIdELi32ELi2ELb0ELb1ELb1ELb1ES1_KS1_S1_Ev17rocblas_diagonal_iiT6_lPT7_lllS6_lllPT8_llli.num_vgpr, 88
	.set _ZL30rocblas_trmm_outofplace_kernelI19rocblas_complex_numIdELi32ELi2ELb0ELb1ELb1ELb1ES1_KS1_S1_Ev17rocblas_diagonal_iiT6_lPT7_lllS6_lllPT8_llli.num_agpr, 0
	.set _ZL30rocblas_trmm_outofplace_kernelI19rocblas_complex_numIdELi32ELi2ELb0ELb1ELb1ELb1ES1_KS1_S1_Ev17rocblas_diagonal_iiT6_lPT7_lllS6_lllPT8_llli.numbered_sgpr, 66
	.set _ZL30rocblas_trmm_outofplace_kernelI19rocblas_complex_numIdELi32ELi2ELb0ELb1ELb1ELb1ES1_KS1_S1_Ev17rocblas_diagonal_iiT6_lPT7_lllS6_lllPT8_llli.num_named_barrier, 0
	.set _ZL30rocblas_trmm_outofplace_kernelI19rocblas_complex_numIdELi32ELi2ELb0ELb1ELb1ELb1ES1_KS1_S1_Ev17rocblas_diagonal_iiT6_lPT7_lllS6_lllPT8_llli.private_seg_size, 0
	.set _ZL30rocblas_trmm_outofplace_kernelI19rocblas_complex_numIdELi32ELi2ELb0ELb1ELb1ELb1ES1_KS1_S1_Ev17rocblas_diagonal_iiT6_lPT7_lllS6_lllPT8_llli.uses_vcc, 1
	.set _ZL30rocblas_trmm_outofplace_kernelI19rocblas_complex_numIdELi32ELi2ELb0ELb1ELb1ELb1ES1_KS1_S1_Ev17rocblas_diagonal_iiT6_lPT7_lllS6_lllPT8_llli.uses_flat_scratch, 0
	.set _ZL30rocblas_trmm_outofplace_kernelI19rocblas_complex_numIdELi32ELi2ELb0ELb1ELb1ELb1ES1_KS1_S1_Ev17rocblas_diagonal_iiT6_lPT7_lllS6_lllPT8_llli.has_dyn_sized_stack, 0
	.set _ZL30rocblas_trmm_outofplace_kernelI19rocblas_complex_numIdELi32ELi2ELb0ELb1ELb1ELb1ES1_KS1_S1_Ev17rocblas_diagonal_iiT6_lPT7_lllS6_lllPT8_llli.has_recursion, 0
	.set _ZL30rocblas_trmm_outofplace_kernelI19rocblas_complex_numIdELi32ELi2ELb0ELb1ELb1ELb1ES1_KS1_S1_Ev17rocblas_diagonal_iiT6_lPT7_lllS6_lllPT8_llli.has_indirect_call, 0
	.section	.AMDGPU.csdata,"",@progbits
; Kernel info:
; codeLenInByte = 9604
; TotalNumSgprs: 68
; NumVgprs: 88
; ScratchSize: 0
; MemoryBound: 0
; FloatMode: 240
; IeeeMode: 1
; LDSByteSize: 32768 bytes/workgroup (compile time only)
; SGPRBlocks: 0
; VGPRBlocks: 10
; NumSGPRsForWavesPerEU: 68
; NumVGPRsForWavesPerEU: 88
; Occupancy: 16
; WaveLimiterHint : 0
; COMPUTE_PGM_RSRC2:SCRATCH_EN: 0
; COMPUTE_PGM_RSRC2:USER_SGPR: 2
; COMPUTE_PGM_RSRC2:TRAP_HANDLER: 0
; COMPUTE_PGM_RSRC2:TGID_X_EN: 1
; COMPUTE_PGM_RSRC2:TGID_Y_EN: 1
; COMPUTE_PGM_RSRC2:TGID_Z_EN: 1
; COMPUTE_PGM_RSRC2:TIDIG_COMP_CNT: 1
	.section	.text._ZL23rocblas_trmm_lNx_kernelILi16E19rocblas_complex_numIdEPKS1_S2_S1_Ev13rocblas_fill_17rocblas_diagonal_iiT1_lPT2_llS8_llPT3_lli,"axG",@progbits,_ZL23rocblas_trmm_lNx_kernelILi16E19rocblas_complex_numIdEPKS1_S2_S1_Ev13rocblas_fill_17rocblas_diagonal_iiT1_lPT2_llS8_llPT3_lli,comdat
	.globl	_ZL23rocblas_trmm_lNx_kernelILi16E19rocblas_complex_numIdEPKS1_S2_S1_Ev13rocblas_fill_17rocblas_diagonal_iiT1_lPT2_llS8_llPT3_lli ; -- Begin function _ZL23rocblas_trmm_lNx_kernelILi16E19rocblas_complex_numIdEPKS1_S2_S1_Ev13rocblas_fill_17rocblas_diagonal_iiT1_lPT2_llS8_llPT3_lli
	.p2align	8
	.type	_ZL23rocblas_trmm_lNx_kernelILi16E19rocblas_complex_numIdEPKS1_S2_S1_Ev13rocblas_fill_17rocblas_diagonal_iiT1_lPT2_llS8_llPT3_lli,@function
_ZL23rocblas_trmm_lNx_kernelILi16E19rocblas_complex_numIdEPKS1_S2_S1_Ev13rocblas_fill_17rocblas_diagonal_iiT1_lPT2_llS8_llPT3_lli: ; @_ZL23rocblas_trmm_lNx_kernelILi16E19rocblas_complex_numIdEPKS1_S2_S1_Ev13rocblas_fill_17rocblas_diagonal_iiT1_lPT2_llS8_llPT3_lli
; %bb.0:
	s_load_b32 s3, s[0:1], 0x68
	s_lshr_b32 s28, ttmp7, 16
	s_wait_kmcnt 0x0
	s_cmp_ge_u32 s28, s3
	s_cbranch_scc1 .LBB132_19
; %bb.1:
	s_clause 0x3
	s_load_b128 s[20:23], s[0:1], 0x0
	s_load_b512 s[4:19], s[0:1], 0x10
	s_load_b128 s[24:27], s[0:1], 0x50
	s_load_b64 s[30:31], s[0:1], 0x60
	v_bfe_u32 v7, v0, 10, 10
	v_and_b32_e32 v15, 0x3ff, v0
	s_mov_b32 s29, 0
	s_delay_alu instid0(VALU_DEP_2) | instskip(NEXT) | instid1(VALU_DEP_1)
	v_lshlrev_b32_e32 v0, 4, v7
	v_add_lshl_u32 v8, v0, v15, 4
	v_mov_b32_e32 v0, 0
	s_delay_alu instid0(VALU_DEP_2)
	v_add_nc_u32_e32 v10, 0x1000, v8
	s_wait_kmcnt 0x0
	s_add_co_i32 s1, s23, -1
	v_mad_co_u64_u32 v[1:2], null, s10, v7, 0
	v_mad_co_u64_u32 v[3:4], null, s16, v7, 0
	;; [unrolled: 1-line block ×3, first 2 shown]
	s_ashr_i32 s0, s1, 31
	v_cmp_gt_i32_e32 vcc_lo, s22, v7
	s_lshr_b32 s2, s0, 28
	v_cmp_gt_i32_e64 s0, s22, v15
	v_mad_co_u64_u32 v[11:12], null, s11, v7, v[2:3]
	v_lshlrev_b32_e32 v9, 4, v15
	v_mad_co_u64_u32 v[12:13], null, s17, v7, v[4:5]
	s_add_co_i32 s1, s1, s2
	s_delay_alu instid0(SALU_CYCLE_1) | instskip(SKIP_2) | instid1(SALU_CYCLE_1)
	s_ashr_i32 s2, s1, 4
	v_mov_b32_e32 v2, v11
	s_and_b32 s1, s1, -16
	s_sub_co_i32 s1, s23, s1
	s_cmp_ge_i32 ttmp9, s2
	s_delay_alu instid0(VALU_DEP_1)
	v_lshlrev_b64_e32 v[1:2], 4, v[1:2]
	v_mov_b32_e32 v4, v12
	s_cselect_b32 s1, s1, 16
	s_lshl_b32 s22, ttmp9, 4
	s_and_b32 s10, vcc_lo, s0
	s_wait_alu 0xfffe
	s_ashr_i32 s23, s22, 31
	v_cmp_gt_i32_e32 vcc_lo, s1, v7
	v_add_co_u32 v11, s1, s8, v1
	s_wait_alu 0xfffe
	s_mul_u64 s[16:17], s[16:17], s[22:23]
	v_add_co_ci_u32_e64 v12, null, s9, v2, s1
	v_lshlrev_b64_e32 v[1:2], 4, v[3:4]
	v_mad_co_u64_u32 v[3:4], null, s27, v7, v[6:7]
	s_wait_alu 0xfffe
	s_lshl_b64 s[16:17], s[16:17], 4
	s_and_b32 s8, s0, vcc_lo
	s_wait_alu 0xfffe
	s_add_nc_u64 s[14:15], s[14:15], s[16:17]
	s_mul_u64 s[22:23], s[26:27], s[22:23]
	v_add_co_u32 v1, vcc_lo, s14, v1
	s_delay_alu instid0(VALU_DEP_1) | instskip(SKIP_1) | instid1(VALU_DEP_3)
	v_add_co_ci_u32_e64 v2, null, s15, v2, vcc_lo
	v_mov_b32_e32 v6, v3
	v_add_co_u32 v13, s0, v1, v9
	s_wait_alu 0xf1ff
	s_delay_alu instid0(VALU_DEP_3) | instskip(NEXT) | instid1(VALU_DEP_3)
	v_add_co_ci_u32_e64 v14, null, 0, v2, s0
	v_lshlrev_b64_e32 v[1:2], 4, v[5:6]
	s_wait_alu 0xfffe
	s_lshl_b64 s[22:23], s[22:23], 4
	v_cmp_eq_u32_e32 vcc_lo, v7, v15
	s_cmp_eq_u32 s21, 0x84
	s_wait_alu 0xfffe
	s_add_nc_u64 s[16:17], s[24:25], s[22:23]
	s_cselect_b32 s0, -1, 0
	v_add_co_u32 v11, s1, v11, v9
	s_wait_alu 0xfffe
	s_and_b32 s9, vcc_lo, s0
	v_add_co_u32 v1, vcc_lo, s16, v1
	s_wait_alu 0xfffd
	v_add_co_ci_u32_e64 v2, null, s17, v2, vcc_lo
	v_add_co_ci_u32_e64 v12, null, 0, v12, s1
	s_delay_alu instid0(VALU_DEP_3)
	v_add_co_u32 v16, vcc_lo, v1, v9
	v_cmp_lt_u32_e64 s0, v15, v7
	v_cmp_gt_u32_e64 s1, v15, v7
	v_lshl_add_u32 v15, v7, 8, 0x1000
	s_wait_alu 0xfffd
	v_add_co_ci_u32_e64 v17, null, 0, v2, vcc_lo
	v_mov_b32_e32 v1, 0x3ff00000
	s_cmp_lg_u32 s20, 0x79
	s_cselect_b32 s11, -1, 0
	s_branch .LBB132_4
.LBB132_2:                              ;   in Loop: Header=BB132_4 Depth=1
	s_or_b32 exec_lo, exec_lo, s2
.LBB132_3:                              ;   in Loop: Header=BB132_4 Depth=1
	s_add_co_i32 s28, s28, 0x10000
	s_delay_alu instid0(SALU_CYCLE_1)
	s_cmp_lt_u32 s28, s3
	s_cbranch_scc0 .LBB132_19
.LBB132_4:                              ; =>This Inner Loop Header: Depth=1
	s_mul_u64 s[14:15], s[6:7], s[28:29]
	s_wait_alu 0xfffe
	s_lshl_b64 s[14:15], s[14:15], 4
	s_wait_alu 0xfffe
	s_add_nc_u64 s[14:15], s[4:5], s[14:15]
	global_load_b128 v[4:7], v0, s[14:15]
	s_wait_loadcnt 0x0
	v_cmp_neq_f64_e32 vcc_lo, 0, v[4:5]
	v_cmp_neq_f64_e64 s2, 0, v[6:7]
	s_or_b32 s2, vcc_lo, s2
	s_delay_alu instid0(SALU_CYCLE_1)
	s_and_not1_b32 vcc_lo, exec_lo, s2
	s_wait_alu 0xfffe
	s_cbranch_vccnz .LBB132_3
; %bb.5:                                ;   in Loop: Header=BB132_4 Depth=1
	s_mov_b32 s20, s29
	s_mov_b32 s21, s29
	;; [unrolled: 1-line block ×4, first 2 shown]
	s_wait_alu 0xfffe
	v_dual_mov_b32 v18, s20 :: v_dual_mov_b32 v19, s21
	v_dual_mov_b32 v20, s22 :: v_dual_mov_b32 v21, s23
	ds_store_b128 v8, v[18:21]
	ds_store_b128 v10, v[18:21]
	s_and_saveexec_b32 s2, s10
	s_cbranch_execnz .LBB132_10
; %bb.6:                                ;   in Loop: Header=BB132_4 Depth=1
	s_or_b32 exec_lo, exec_lo, s2
	s_and_saveexec_b32 s2, s8
	s_cbranch_execnz .LBB132_11
.LBB132_7:                              ;   in Loop: Header=BB132_4 Depth=1
	s_or_b32 exec_lo, exec_lo, s2
	s_and_saveexec_b32 s2, s9
	s_cbranch_execnz .LBB132_12
.LBB132_8:                              ;   in Loop: Header=BB132_4 Depth=1
	s_or_b32 exec_lo, exec_lo, s2
	s_delay_alu instid0(SALU_CYCLE_1)
	s_and_b32 vcc_lo, exec_lo, s11
	s_wait_alu 0xfffe
	s_cbranch_vccz .LBB132_13
.LBB132_9:                              ;   in Loop: Header=BB132_4 Depth=1
	s_and_b32 s2, s0, exec_lo
	s_cbranch_execz .LBB132_14
	s_branch .LBB132_15
.LBB132_10:                             ;   in Loop: Header=BB132_4 Depth=1
	s_mul_u64 s[14:15], s[12:13], s[28:29]
	s_wait_alu 0xfffe
	s_lshl_b64 s[14:15], s[14:15], 4
	s_wait_alu 0xfffe
	v_add_co_u32 v2, vcc_lo, v11, s14
	s_wait_alu 0xfffd
	v_add_co_ci_u32_e64 v3, null, s15, v12, vcc_lo
	global_load_b128 v[18:21], v[2:3], off
	s_wait_loadcnt 0x0
	ds_store_2addr_b64 v8, v[18:19], v[20:21] offset1:1
	s_or_b32 exec_lo, exec_lo, s2
	s_and_saveexec_b32 s2, s8
	s_cbranch_execz .LBB132_7
.LBB132_11:                             ;   in Loop: Header=BB132_4 Depth=1
	s_mul_u64 s[14:15], s[18:19], s[28:29]
	s_wait_alu 0xfffe
	s_lshl_b64 s[14:15], s[14:15], 4
	s_wait_alu 0xfffe
	v_add_co_u32 v2, vcc_lo, v13, s14
	s_wait_alu 0xfffd
	v_add_co_ci_u32_e64 v3, null, s15, v14, vcc_lo
	global_load_b128 v[18:21], v[2:3], off
	s_wait_loadcnt 0x0
	ds_store_2addr_b64 v10, v[18:19], v[20:21] offset1:1
	s_or_b32 exec_lo, exec_lo, s2
	s_and_saveexec_b32 s2, s9
	s_cbranch_execz .LBB132_8
.LBB132_12:                             ;   in Loop: Header=BB132_4 Depth=1
	v_dual_mov_b32 v2, v0 :: v_dual_mov_b32 v3, v0
	ds_store_b128 v8, v[0:3]
	s_or_b32 exec_lo, exec_lo, s2
	s_delay_alu instid0(SALU_CYCLE_1)
	s_and_b32 vcc_lo, exec_lo, s11
	s_wait_alu 0xfffe
	s_cbranch_vccnz .LBB132_9
.LBB132_13:                             ;   in Loop: Header=BB132_4 Depth=1
	s_mov_b32 s2, 0
.LBB132_14:                             ;   in Loop: Header=BB132_4 Depth=1
	s_delay_alu instid0(SALU_CYCLE_1)
	s_and_not1_b32 s2, s2, exec_lo
	s_and_b32 s14, s1, exec_lo
	s_wait_alu 0xfffe
	s_or_b32 s2, s2, s14
.LBB132_15:                             ;   in Loop: Header=BB132_4 Depth=1
	s_delay_alu instid0(SALU_CYCLE_1)
	s_and_saveexec_b32 s14, s2
; %bb.16:                               ;   in Loop: Header=BB132_4 Depth=1
	v_dual_mov_b32 v18, v0 :: v_dual_mov_b32 v19, v0
	v_dual_mov_b32 v20, v0 :: v_dual_mov_b32 v21, v0
	ds_store_b128 v8, v[18:21]
; %bb.17:                               ;   in Loop: Header=BB132_4 Depth=1
	s_wait_alu 0xfffe
	s_or_b32 exec_lo, exec_lo, s14
	s_wait_dscnt 0x0
	s_barrier_signal -1
	s_barrier_wait -1
	global_inv scope:SCOPE_SE
	s_and_saveexec_b32 s2, s8
	s_cbranch_execz .LBB132_2
; %bb.18:                               ;   in Loop: Header=BB132_4 Depth=1
	ds_load_b128 v[18:21], v9
	ds_load_b128 v[22:25], v15
	ds_load_b128 v[26:29], v15 offset:16
	ds_load_b128 v[30:33], v9 offset:256
	;; [unrolled: 1-line block ×6, first 2 shown]
	s_mul_u64 s[14:15], s[30:31], s[28:29]
	s_wait_alu 0xfffe
	s_lshl_b64 s[14:15], s[14:15], 4
	s_wait_dscnt 0x6
	v_mul_f64_e32 v[2:3], v[22:23], v[20:21]
	v_mul_f64_e32 v[20:21], v[24:25], v[20:21]
	s_wait_dscnt 0x4
	v_mul_f64_e32 v[50:51], v[26:27], v[32:33]
	v_mul_f64_e32 v[32:33], v[28:29], v[32:33]
	s_delay_alu instid0(VALU_DEP_4) | instskip(SKIP_2) | instid1(VALU_DEP_4)
	v_fma_f64 v[2:3], v[24:25], v[18:19], v[2:3]
	s_wait_dscnt 0x2
	v_mul_f64_e32 v[24:25], v[38:39], v[36:37]
	v_fma_f64 v[28:29], v[28:29], v[30:31], v[50:51]
	v_fma_f64 v[18:19], v[22:23], v[18:19], -v[20:21]
	s_wait_dscnt 0x0
	v_mul_f64_e32 v[50:51], v[42:43], v[48:49]
	v_mul_f64_e32 v[36:37], v[40:41], v[36:37]
	v_fma_f64 v[52:53], v[26:27], v[30:31], -v[32:33]
	v_mul_f64_e32 v[48:49], v[44:45], v[48:49]
	v_add_f64_e32 v[2:3], 0, v[2:3]
	v_fma_f64 v[40:41], v[40:41], v[34:35], v[24:25]
	v_add_f64_e32 v[54:55], 0, v[18:19]
	v_fma_f64 v[44:45], v[44:45], v[46:47], v[50:51]
	v_fma_f64 v[34:35], v[38:39], v[34:35], -v[36:37]
	v_add_f64_e32 v[2:3], v[2:3], v[28:29]
	ds_load_b128 v[18:21], v9 offset:1024
	ds_load_b128 v[22:25], v15 offset:64
	ds_load_b128 v[26:29], v15 offset:80
	ds_load_b128 v[30:33], v9 offset:1280
	v_add_f64_e32 v[36:37], v[54:55], v[52:53]
	v_fma_f64 v[52:53], v[42:43], v[46:47], -v[48:49]
	s_wait_dscnt 0x2
	v_mul_f64_e32 v[56:57], v[22:23], v[20:21]
	v_mul_f64_e32 v[20:21], v[24:25], v[20:21]
	s_wait_dscnt 0x0
	v_mul_f64_e32 v[50:51], v[26:27], v[32:33]
	v_mul_f64_e32 v[32:33], v[28:29], v[32:33]
	v_add_f64_e32 v[2:3], v[2:3], v[40:41]
	v_add_f64_e32 v[54:55], v[36:37], v[34:35]
	v_fma_f64 v[24:25], v[24:25], v[18:19], v[56:57]
	v_fma_f64 v[18:19], v[22:23], v[18:19], -v[20:21]
	v_fma_f64 v[28:29], v[28:29], v[30:31], v[50:51]
	v_add_f64_e32 v[2:3], v[2:3], v[44:45]
	ds_load_b128 v[34:37], v9 offset:1536
	ds_load_b128 v[38:41], v15 offset:96
	ds_load_b128 v[42:45], v15 offset:112
	ds_load_b128 v[46:49], v9 offset:1792
	v_add_f64_e32 v[20:21], v[54:55], v[52:53]
	v_fma_f64 v[52:53], v[26:27], v[30:31], -v[32:33]
	s_wait_dscnt 0x2
	v_mul_f64_e32 v[56:57], v[38:39], v[36:37]
	v_mul_f64_e32 v[36:37], v[40:41], v[36:37]
	s_wait_dscnt 0x0
	v_mul_f64_e32 v[50:51], v[42:43], v[48:49]
	v_mul_f64_e32 v[48:49], v[44:45], v[48:49]
	v_add_f64_e32 v[2:3], v[2:3], v[24:25]
	v_add_f64_e32 v[54:55], v[20:21], v[18:19]
	v_fma_f64 v[40:41], v[40:41], v[34:35], v[56:57]
	v_fma_f64 v[34:35], v[38:39], v[34:35], -v[36:37]
	v_fma_f64 v[44:45], v[44:45], v[46:47], v[50:51]
	;; [unrolled: 18-line block ×5, first 2 shown]
	v_fma_f64 v[26:27], v[26:27], v[30:31], -v[32:33]
	v_add_f64_e32 v[2:3], v[2:3], v[44:45]
	ds_load_b128 v[34:37], v9 offset:3584
	ds_load_b128 v[38:41], v15 offset:224
	;; [unrolled: 1-line block ×4, first 2 shown]
	v_add_f64_e32 v[20:21], v[54:55], v[52:53]
	s_wait_dscnt 0x2
	v_mul_f64_e32 v[56:57], v[38:39], v[36:37]
	s_wait_dscnt 0x0
	v_mul_f64_e32 v[22:23], v[42:43], v[48:49]
	v_add_f64_e32 v[2:3], v[2:3], v[24:25]
	v_mul_f64_e32 v[24:25], v[40:41], v[36:37]
	v_add_f64_e32 v[18:19], v[20:21], v[18:19]
	v_mul_f64_e32 v[20:21], v[44:45], v[48:49]
	v_fma_f64 v[36:37], v[40:41], v[34:35], v[56:57]
	v_fma_f64 v[22:23], v[44:45], v[46:47], v[22:23]
	v_add_f64_e32 v[2:3], v[2:3], v[28:29]
	v_fma_f64 v[24:25], v[38:39], v[34:35], -v[24:25]
	v_add_f64_e32 v[18:19], v[18:19], v[26:27]
	v_fma_f64 v[20:21], v[42:43], v[46:47], -v[20:21]
	s_delay_alu instid0(VALU_DEP_4) | instskip(NEXT) | instid1(VALU_DEP_3)
	v_add_f64_e32 v[2:3], v[2:3], v[36:37]
	v_add_f64_e32 v[18:19], v[18:19], v[24:25]
	s_delay_alu instid0(VALU_DEP_2) | instskip(NEXT) | instid1(VALU_DEP_2)
	v_add_f64_e32 v[2:3], v[2:3], v[22:23]
	v_add_f64_e32 v[18:19], v[18:19], v[20:21]
	s_delay_alu instid0(VALU_DEP_2) | instskip(SKIP_1) | instid1(VALU_DEP_2)
	v_mul_f64_e32 v[20:21], v[4:5], v[2:3]
	v_mul_f64_e32 v[2:3], v[6:7], v[2:3]
	v_fma_f64 v[6:7], v[6:7], v[18:19], v[20:21]
	s_delay_alu instid0(VALU_DEP_2)
	v_fma_f64 v[4:5], v[4:5], v[18:19], -v[2:3]
	s_wait_alu 0xfffe
	v_add_co_u32 v2, vcc_lo, v16, s14
	s_wait_alu 0xfffd
	v_add_co_ci_u32_e64 v3, null, s15, v17, vcc_lo
	global_store_b128 v[2:3], v[4:7], off
	s_branch .LBB132_2
.LBB132_19:
	s_endpgm
	.section	.rodata,"a",@progbits
	.p2align	6, 0x0
	.amdhsa_kernel _ZL23rocblas_trmm_lNx_kernelILi16E19rocblas_complex_numIdEPKS1_S2_S1_Ev13rocblas_fill_17rocblas_diagonal_iiT1_lPT2_llS8_llPT3_lli
		.amdhsa_group_segment_fixed_size 8192
		.amdhsa_private_segment_fixed_size 0
		.amdhsa_kernarg_size 108
		.amdhsa_user_sgpr_count 2
		.amdhsa_user_sgpr_dispatch_ptr 0
		.amdhsa_user_sgpr_queue_ptr 0
		.amdhsa_user_sgpr_kernarg_segment_ptr 1
		.amdhsa_user_sgpr_dispatch_id 0
		.amdhsa_user_sgpr_private_segment_size 0
		.amdhsa_wavefront_size32 1
		.amdhsa_uses_dynamic_stack 0
		.amdhsa_enable_private_segment 0
		.amdhsa_system_sgpr_workgroup_id_x 1
		.amdhsa_system_sgpr_workgroup_id_y 0
		.amdhsa_system_sgpr_workgroup_id_z 1
		.amdhsa_system_sgpr_workgroup_info 0
		.amdhsa_system_vgpr_workitem_id 1
		.amdhsa_next_free_vgpr 58
		.amdhsa_next_free_sgpr 32
		.amdhsa_reserve_vcc 1
		.amdhsa_float_round_mode_32 0
		.amdhsa_float_round_mode_16_64 0
		.amdhsa_float_denorm_mode_32 3
		.amdhsa_float_denorm_mode_16_64 3
		.amdhsa_fp16_overflow 0
		.amdhsa_workgroup_processor_mode 1
		.amdhsa_memory_ordered 1
		.amdhsa_forward_progress 1
		.amdhsa_inst_pref_size 16
		.amdhsa_round_robin_scheduling 0
		.amdhsa_exception_fp_ieee_invalid_op 0
		.amdhsa_exception_fp_denorm_src 0
		.amdhsa_exception_fp_ieee_div_zero 0
		.amdhsa_exception_fp_ieee_overflow 0
		.amdhsa_exception_fp_ieee_underflow 0
		.amdhsa_exception_fp_ieee_inexact 0
		.amdhsa_exception_int_div_zero 0
	.end_amdhsa_kernel
	.section	.text._ZL23rocblas_trmm_lNx_kernelILi16E19rocblas_complex_numIdEPKS1_S2_S1_Ev13rocblas_fill_17rocblas_diagonal_iiT1_lPT2_llS8_llPT3_lli,"axG",@progbits,_ZL23rocblas_trmm_lNx_kernelILi16E19rocblas_complex_numIdEPKS1_S2_S1_Ev13rocblas_fill_17rocblas_diagonal_iiT1_lPT2_llS8_llPT3_lli,comdat
.Lfunc_end132:
	.size	_ZL23rocblas_trmm_lNx_kernelILi16E19rocblas_complex_numIdEPKS1_S2_S1_Ev13rocblas_fill_17rocblas_diagonal_iiT1_lPT2_llS8_llPT3_lli, .Lfunc_end132-_ZL23rocblas_trmm_lNx_kernelILi16E19rocblas_complex_numIdEPKS1_S2_S1_Ev13rocblas_fill_17rocblas_diagonal_iiT1_lPT2_llS8_llPT3_lli
                                        ; -- End function
	.set _ZL23rocblas_trmm_lNx_kernelILi16E19rocblas_complex_numIdEPKS1_S2_S1_Ev13rocblas_fill_17rocblas_diagonal_iiT1_lPT2_llS8_llPT3_lli.num_vgpr, 58
	.set _ZL23rocblas_trmm_lNx_kernelILi16E19rocblas_complex_numIdEPKS1_S2_S1_Ev13rocblas_fill_17rocblas_diagonal_iiT1_lPT2_llS8_llPT3_lli.num_agpr, 0
	.set _ZL23rocblas_trmm_lNx_kernelILi16E19rocblas_complex_numIdEPKS1_S2_S1_Ev13rocblas_fill_17rocblas_diagonal_iiT1_lPT2_llS8_llPT3_lli.numbered_sgpr, 32
	.set _ZL23rocblas_trmm_lNx_kernelILi16E19rocblas_complex_numIdEPKS1_S2_S1_Ev13rocblas_fill_17rocblas_diagonal_iiT1_lPT2_llS8_llPT3_lli.num_named_barrier, 0
	.set _ZL23rocblas_trmm_lNx_kernelILi16E19rocblas_complex_numIdEPKS1_S2_S1_Ev13rocblas_fill_17rocblas_diagonal_iiT1_lPT2_llS8_llPT3_lli.private_seg_size, 0
	.set _ZL23rocblas_trmm_lNx_kernelILi16E19rocblas_complex_numIdEPKS1_S2_S1_Ev13rocblas_fill_17rocblas_diagonal_iiT1_lPT2_llS8_llPT3_lli.uses_vcc, 1
	.set _ZL23rocblas_trmm_lNx_kernelILi16E19rocblas_complex_numIdEPKS1_S2_S1_Ev13rocblas_fill_17rocblas_diagonal_iiT1_lPT2_llS8_llPT3_lli.uses_flat_scratch, 0
	.set _ZL23rocblas_trmm_lNx_kernelILi16E19rocblas_complex_numIdEPKS1_S2_S1_Ev13rocblas_fill_17rocblas_diagonal_iiT1_lPT2_llS8_llPT3_lli.has_dyn_sized_stack, 0
	.set _ZL23rocblas_trmm_lNx_kernelILi16E19rocblas_complex_numIdEPKS1_S2_S1_Ev13rocblas_fill_17rocblas_diagonal_iiT1_lPT2_llS8_llPT3_lli.has_recursion, 0
	.set _ZL23rocblas_trmm_lNx_kernelILi16E19rocblas_complex_numIdEPKS1_S2_S1_Ev13rocblas_fill_17rocblas_diagonal_iiT1_lPT2_llS8_llPT3_lli.has_indirect_call, 0
	.section	.AMDGPU.csdata,"",@progbits
; Kernel info:
; codeLenInByte = 1928
; TotalNumSgprs: 34
; NumVgprs: 58
; ScratchSize: 0
; MemoryBound: 0
; FloatMode: 240
; IeeeMode: 1
; LDSByteSize: 8192 bytes/workgroup (compile time only)
; SGPRBlocks: 0
; VGPRBlocks: 7
; NumSGPRsForWavesPerEU: 34
; NumVGPRsForWavesPerEU: 58
; Occupancy: 16
; WaveLimiterHint : 0
; COMPUTE_PGM_RSRC2:SCRATCH_EN: 0
; COMPUTE_PGM_RSRC2:USER_SGPR: 2
; COMPUTE_PGM_RSRC2:TRAP_HANDLER: 0
; COMPUTE_PGM_RSRC2:TGID_X_EN: 1
; COMPUTE_PGM_RSRC2:TGID_Y_EN: 0
; COMPUTE_PGM_RSRC2:TGID_Z_EN: 1
; COMPUTE_PGM_RSRC2:TIDIG_COMP_CNT: 1
	.section	.text._ZL23rocblas_trmm_lNx_kernelILi16E19rocblas_complex_numIdES1_KS1_S1_Ev13rocblas_fill_17rocblas_diagonal_iiT1_lPT2_llS7_llPT3_lli,"axG",@progbits,_ZL23rocblas_trmm_lNx_kernelILi16E19rocblas_complex_numIdES1_KS1_S1_Ev13rocblas_fill_17rocblas_diagonal_iiT1_lPT2_llS7_llPT3_lli,comdat
	.globl	_ZL23rocblas_trmm_lNx_kernelILi16E19rocblas_complex_numIdES1_KS1_S1_Ev13rocblas_fill_17rocblas_diagonal_iiT1_lPT2_llS7_llPT3_lli ; -- Begin function _ZL23rocblas_trmm_lNx_kernelILi16E19rocblas_complex_numIdES1_KS1_S1_Ev13rocblas_fill_17rocblas_diagonal_iiT1_lPT2_llS7_llPT3_lli
	.p2align	8
	.type	_ZL23rocblas_trmm_lNx_kernelILi16E19rocblas_complex_numIdES1_KS1_S1_Ev13rocblas_fill_17rocblas_diagonal_iiT1_lPT2_llS7_llPT3_lli,@function
_ZL23rocblas_trmm_lNx_kernelILi16E19rocblas_complex_numIdES1_KS1_S1_Ev13rocblas_fill_17rocblas_diagonal_iiT1_lPT2_llS7_llPT3_lli: ; @_ZL23rocblas_trmm_lNx_kernelILi16E19rocblas_complex_numIdES1_KS1_S1_Ev13rocblas_fill_17rocblas_diagonal_iiT1_lPT2_llS7_llPT3_lli
; %bb.0:
	s_load_b32 s33, s[0:1], 0x70
	s_lshr_b32 s28, ttmp7, 16
	s_wait_kmcnt 0x0
	s_cmp_ge_u32 s28, s33
	s_cbranch_scc1 .LBB133_19
; %bb.1:
	s_clause 0x1
	s_load_b256 s[20:27], s[0:1], 0x0
	s_load_b512 s[4:19], s[0:1], 0x28
	v_bfe_u32 v13, v0, 10, 10
	v_and_b32_e32 v14, 0x3ff, v0
	s_load_b64 s[30:31], s[0:1], 0x68
	s_delay_alu instid0(VALU_DEP_2) | instskip(NEXT) | instid1(VALU_DEP_1)
	v_lshlrev_b32_e32 v0, 4, v13
	v_add_lshl_u32 v5, v0, v14, 4
	s_delay_alu instid0(VALU_DEP_1)
	v_add_nc_u32_e32 v6, 0x1000, v5
	s_wait_kmcnt 0x0
	v_cmp_neq_f64_e64 s29, s[24:25], 0
	v_cmp_neq_f64_e64 s34, s[26:27], 0
	v_mad_co_u64_u32 v[0:1], null, s6, v13, 0
	v_mad_co_u64_u32 v[2:3], null, s12, v13, 0
	v_mad_co_u64_u32 v[7:8], null, s18, v13, 0
	s_add_co_i32 s2, s23, -1
	s_delay_alu instid0(SALU_CYCLE_1) | instskip(SKIP_4) | instid1(SALU_CYCLE_1)
	s_ashr_i32 s1, s2, 31
	v_mad_co_u64_u32 v[9:10], null, s7, v13, v[1:2]
	s_lshr_b32 s3, s1, 28
	v_cmp_gt_i32_e64 s1, s22, v13
	s_add_co_i32 s3, s2, s3
	s_and_b32 s6, s3, -16
	s_ashr_i32 s7, s3, 4
	v_dual_mov_b32 v1, v9 :: v_dual_lshlrev_b32 v4, 4, v14
	s_wait_alu 0xfffe
	s_sub_co_i32 s6, s23, s6
	v_cmp_gt_i32_e64 s2, s22, v14
	v_cmp_eq_u32_e32 vcc_lo, v13, v14
	v_lshlrev_b64_e32 v[0:1], 4, v[0:1]
	v_mad_co_u64_u32 v[10:11], null, s13, v13, v[3:4]
	v_mad_co_u64_u32 v[11:12], null, s19, v13, v[8:9]
	v_cmp_lt_u32_e64 s0, v14, v13
	s_delay_alu instid0(VALU_DEP_4) | instskip(NEXT) | instid1(VALU_DEP_1)
	v_add_co_u32 v0, s3, s4, v0
	v_add_co_ci_u32_e64 v1, null, s5, v1, s3
	s_delay_alu instid0(VALU_DEP_4) | instskip(SKIP_2) | instid1(VALU_DEP_1)
	v_dual_mov_b32 v3, v10 :: v_dual_mov_b32 v8, v11
	s_or_b32 s4, s29, s34
	s_cmp_ge_i32 ttmp9, s7
	v_lshlrev_b64_e32 v[11:12], 4, v[7:8]
	s_wait_alu 0xfffe
	s_cselect_b32 s5, s6, 16
	s_lshl_b32 s6, ttmp9, 4
	v_add_co_u32 v7, s3, v0, v4
	s_wait_alu 0xfffe
	s_ashr_i32 s7, s6, 31
	v_lshlrev_b64_e32 v[2:3], 4, v[2:3]
	s_wait_alu 0xfffe
	s_mul_u64 s[12:13], s[12:13], s[6:7]
	v_add_co_ci_u32_e64 v8, null, 0, v1, s3
	s_and_b32 s3, s1, s2
	v_cmp_gt_i32_e64 s1, s5, v13
	s_wait_alu 0xfffe
	s_lshl_b64 s[12:13], s[12:13], 4
	s_mul_u64 s[6:7], s[18:19], s[6:7]
	s_wait_alu 0xfffe
	s_add_nc_u64 s[10:11], s[10:11], s[12:13]
	s_lshl_b64 s[6:7], s[6:7], 4
	s_and_b32 s2, s2, s1
	v_add_co_u32 v0, s1, s10, v2
	s_cmp_eq_u32 s21, 0x84
	v_add_co_ci_u32_e64 v1, null, s11, v3, s1
	s_cselect_b32 s5, -1, 0
	s_wait_alu 0xfffe
	s_add_nc_u64 s[6:7], s[16:17], s[6:7]
	s_and_b32 s5, vcc_lo, s5
	v_add_co_u32 v9, vcc_lo, v0, v4
	s_delay_alu instid0(VALU_DEP_1)
	v_add_co_ci_u32_e64 v10, null, 0, v1, vcc_lo
	s_wait_alu 0xfffe
	v_add_co_u32 v0, vcc_lo, s6, v11
	s_wait_alu 0xfffd
	v_add_co_ci_u32_e64 v1, null, s7, v12, vcc_lo
	v_cmp_gt_u32_e64 s1, v14, v13
	s_delay_alu instid0(VALU_DEP_3)
	v_add_co_u32 v12, vcc_lo, v0, v4
	v_lshl_add_u32 v11, v13, 8, 0x1000
	s_wait_alu 0xfffd
	v_add_co_ci_u32_e64 v13, null, 0, v1, vcc_lo
	v_dual_mov_b32 v0, 0 :: v_dual_mov_b32 v1, 0x3ff00000
	s_cmp_lg_u32 s20, 0x79
	s_mov_b32 s29, 0
	s_cselect_b32 s6, -1, 0
	s_branch .LBB133_4
.LBB133_2:                              ;   in Loop: Header=BB133_4 Depth=1
	s_wait_alu 0xfffe
	s_or_b32 exec_lo, exec_lo, s7
.LBB133_3:                              ;   in Loop: Header=BB133_4 Depth=1
	s_add_co_i32 s28, s28, 0x10000
	s_delay_alu instid0(SALU_CYCLE_1)
	s_cmp_lt_u32 s28, s33
	s_cbranch_scc0 .LBB133_19
.LBB133_4:                              ; =>This Inner Loop Header: Depth=1
	s_and_not1_b32 vcc_lo, exec_lo, s4
	s_wait_alu 0xfffe
	s_cbranch_vccnz .LBB133_3
; %bb.5:                                ;   in Loop: Header=BB133_4 Depth=1
	s_mov_b32 s16, s29
	s_mov_b32 s17, s29
	;; [unrolled: 1-line block ×4, first 2 shown]
	s_wait_alu 0xfffe
	v_dual_mov_b32 v14, s16 :: v_dual_mov_b32 v15, s17
	v_dual_mov_b32 v16, s18 :: v_dual_mov_b32 v17, s19
	ds_store_b128 v5, v[14:17]
	ds_store_b128 v6, v[14:17]
	s_and_saveexec_b32 s7, s3
	s_cbranch_execnz .LBB133_10
; %bb.6:                                ;   in Loop: Header=BB133_4 Depth=1
	s_wait_alu 0xfffe
	s_or_b32 exec_lo, exec_lo, s7
	s_and_saveexec_b32 s7, s2
	s_cbranch_execnz .LBB133_11
.LBB133_7:                              ;   in Loop: Header=BB133_4 Depth=1
	s_wait_alu 0xfffe
	s_or_b32 exec_lo, exec_lo, s7
	s_and_saveexec_b32 s7, s5
	s_cbranch_execnz .LBB133_12
.LBB133_8:                              ;   in Loop: Header=BB133_4 Depth=1
	s_wait_alu 0xfffe
	s_or_b32 exec_lo, exec_lo, s7
	s_delay_alu instid0(SALU_CYCLE_1)
	s_and_b32 vcc_lo, exec_lo, s6
	s_wait_alu 0xfffe
	s_cbranch_vccz .LBB133_13
.LBB133_9:                              ;   in Loop: Header=BB133_4 Depth=1
	s_and_b32 s7, s0, exec_lo
	s_cbranch_execz .LBB133_14
	s_branch .LBB133_15
.LBB133_10:                             ;   in Loop: Header=BB133_4 Depth=1
	s_mul_u64 s[10:11], s[8:9], s[28:29]
	s_wait_alu 0xfffe
	s_lshl_b64 s[10:11], s[10:11], 4
	s_wait_alu 0xfffe
	v_add_co_u32 v2, vcc_lo, v7, s10
	s_wait_alu 0xfffd
	v_add_co_ci_u32_e64 v3, null, s11, v8, vcc_lo
	global_load_b128 v[14:17], v[2:3], off
	s_wait_loadcnt 0x0
	ds_store_2addr_b64 v5, v[14:15], v[16:17] offset1:1
	s_or_b32 exec_lo, exec_lo, s7
	s_and_saveexec_b32 s7, s2
	s_cbranch_execz .LBB133_7
.LBB133_11:                             ;   in Loop: Header=BB133_4 Depth=1
	s_mul_u64 s[10:11], s[14:15], s[28:29]
	s_wait_alu 0xfffe
	s_lshl_b64 s[10:11], s[10:11], 4
	s_wait_alu 0xfffe
	v_add_co_u32 v2, vcc_lo, v9, s10
	s_wait_alu 0xfffd
	v_add_co_ci_u32_e64 v3, null, s11, v10, vcc_lo
	global_load_b128 v[14:17], v[2:3], off
	s_wait_loadcnt 0x0
	ds_store_2addr_b64 v6, v[14:15], v[16:17] offset1:1
	s_or_b32 exec_lo, exec_lo, s7
	s_and_saveexec_b32 s7, s5
	s_cbranch_execz .LBB133_8
.LBB133_12:                             ;   in Loop: Header=BB133_4 Depth=1
	v_dual_mov_b32 v2, v0 :: v_dual_mov_b32 v3, v0
	ds_store_b128 v5, v[0:3]
	s_wait_alu 0xfffe
	s_or_b32 exec_lo, exec_lo, s7
	s_delay_alu instid0(SALU_CYCLE_1)
	s_and_b32 vcc_lo, exec_lo, s6
	s_wait_alu 0xfffe
	s_cbranch_vccnz .LBB133_9
.LBB133_13:                             ;   in Loop: Header=BB133_4 Depth=1
	s_mov_b32 s7, 0
.LBB133_14:                             ;   in Loop: Header=BB133_4 Depth=1
	s_wait_alu 0xfffe
	s_and_not1_b32 s7, s7, exec_lo
	s_and_b32 s10, s1, exec_lo
	s_wait_alu 0xfffe
	s_or_b32 s7, s7, s10
.LBB133_15:                             ;   in Loop: Header=BB133_4 Depth=1
	s_wait_alu 0xfffe
	s_and_saveexec_b32 s10, s7
; %bb.16:                               ;   in Loop: Header=BB133_4 Depth=1
	v_dual_mov_b32 v14, v0 :: v_dual_mov_b32 v15, v0
	v_dual_mov_b32 v16, v0 :: v_dual_mov_b32 v17, v0
	ds_store_b128 v5, v[14:17]
; %bb.17:                               ;   in Loop: Header=BB133_4 Depth=1
	s_wait_alu 0xfffe
	s_or_b32 exec_lo, exec_lo, s10
	s_wait_dscnt 0x0
	s_barrier_signal -1
	s_barrier_wait -1
	global_inv scope:SCOPE_SE
	s_and_saveexec_b32 s7, s2
	s_cbranch_execz .LBB133_2
; %bb.18:                               ;   in Loop: Header=BB133_4 Depth=1
	ds_load_b128 v[14:17], v4
	ds_load_b128 v[18:21], v11
	ds_load_b128 v[22:25], v11 offset:16
	ds_load_b128 v[26:29], v4 offset:256
	ds_load_b128 v[30:33], v4 offset:512
	ds_load_b128 v[34:37], v11 offset:32
	ds_load_b128 v[38:41], v11 offset:48
	ds_load_b128 v[42:45], v4 offset:768
	s_mul_u64 s[10:11], s[30:31], s[28:29]
	s_wait_alu 0xfffe
	s_lshl_b64 s[10:11], s[10:11], 4
	s_wait_dscnt 0x6
	v_mul_f64_e32 v[2:3], v[18:19], v[16:17]
	v_mul_f64_e32 v[16:17], v[20:21], v[16:17]
	s_wait_dscnt 0x4
	v_mul_f64_e32 v[46:47], v[22:23], v[28:29]
	v_mul_f64_e32 v[28:29], v[24:25], v[28:29]
	s_delay_alu instid0(VALU_DEP_4) | instskip(SKIP_2) | instid1(VALU_DEP_4)
	v_fma_f64 v[2:3], v[20:21], v[14:15], v[2:3]
	s_wait_dscnt 0x2
	v_mul_f64_e32 v[20:21], v[34:35], v[32:33]
	v_fma_f64 v[24:25], v[24:25], v[26:27], v[46:47]
	v_fma_f64 v[14:15], v[18:19], v[14:15], -v[16:17]
	s_wait_dscnt 0x0
	v_mul_f64_e32 v[46:47], v[38:39], v[44:45]
	v_mul_f64_e32 v[32:33], v[36:37], v[32:33]
	v_fma_f64 v[48:49], v[22:23], v[26:27], -v[28:29]
	v_mul_f64_e32 v[44:45], v[40:41], v[44:45]
	v_add_f64_e32 v[2:3], 0, v[2:3]
	v_fma_f64 v[36:37], v[36:37], v[30:31], v[20:21]
	v_add_f64_e32 v[50:51], 0, v[14:15]
	v_fma_f64 v[40:41], v[40:41], v[42:43], v[46:47]
	v_fma_f64 v[30:31], v[34:35], v[30:31], -v[32:33]
	v_add_f64_e32 v[2:3], v[2:3], v[24:25]
	ds_load_b128 v[14:17], v4 offset:1024
	ds_load_b128 v[18:21], v11 offset:64
	ds_load_b128 v[22:25], v11 offset:80
	ds_load_b128 v[26:29], v4 offset:1280
	v_add_f64_e32 v[32:33], v[50:51], v[48:49]
	v_fma_f64 v[48:49], v[38:39], v[42:43], -v[44:45]
	s_wait_dscnt 0x2
	v_mul_f64_e32 v[52:53], v[18:19], v[16:17]
	v_mul_f64_e32 v[16:17], v[20:21], v[16:17]
	s_wait_dscnt 0x0
	v_mul_f64_e32 v[46:47], v[22:23], v[28:29]
	v_mul_f64_e32 v[28:29], v[24:25], v[28:29]
	v_add_f64_e32 v[2:3], v[2:3], v[36:37]
	v_add_f64_e32 v[50:51], v[32:33], v[30:31]
	v_fma_f64 v[20:21], v[20:21], v[14:15], v[52:53]
	v_fma_f64 v[14:15], v[18:19], v[14:15], -v[16:17]
	v_fma_f64 v[24:25], v[24:25], v[26:27], v[46:47]
	v_add_f64_e32 v[2:3], v[2:3], v[40:41]
	ds_load_b128 v[30:33], v4 offset:1536
	ds_load_b128 v[34:37], v11 offset:96
	ds_load_b128 v[38:41], v11 offset:112
	ds_load_b128 v[42:45], v4 offset:1792
	v_add_f64_e32 v[16:17], v[50:51], v[48:49]
	v_fma_f64 v[48:49], v[22:23], v[26:27], -v[28:29]
	s_wait_dscnt 0x2
	v_mul_f64_e32 v[52:53], v[34:35], v[32:33]
	v_mul_f64_e32 v[32:33], v[36:37], v[32:33]
	s_wait_dscnt 0x0
	v_mul_f64_e32 v[46:47], v[38:39], v[44:45]
	v_mul_f64_e32 v[44:45], v[40:41], v[44:45]
	v_add_f64_e32 v[2:3], v[2:3], v[20:21]
	v_add_f64_e32 v[50:51], v[16:17], v[14:15]
	v_fma_f64 v[36:37], v[36:37], v[30:31], v[52:53]
	v_fma_f64 v[30:31], v[34:35], v[30:31], -v[32:33]
	v_fma_f64 v[40:41], v[40:41], v[42:43], v[46:47]
	;; [unrolled: 18-line block ×5, first 2 shown]
	v_fma_f64 v[22:23], v[22:23], v[26:27], -v[28:29]
	v_add_f64_e32 v[2:3], v[2:3], v[40:41]
	ds_load_b128 v[30:33], v4 offset:3584
	ds_load_b128 v[34:37], v11 offset:224
	;; [unrolled: 1-line block ×4, first 2 shown]
	v_add_f64_e32 v[16:17], v[50:51], v[48:49]
	s_wait_dscnt 0x2
	v_mul_f64_e32 v[52:53], v[34:35], v[32:33]
	s_wait_dscnt 0x0
	v_mul_f64_e32 v[18:19], v[38:39], v[44:45]
	v_add_f64_e32 v[2:3], v[2:3], v[20:21]
	v_mul_f64_e32 v[20:21], v[36:37], v[32:33]
	v_add_f64_e32 v[14:15], v[16:17], v[14:15]
	v_mul_f64_e32 v[16:17], v[40:41], v[44:45]
	v_fma_f64 v[32:33], v[36:37], v[30:31], v[52:53]
	v_fma_f64 v[18:19], v[40:41], v[42:43], v[18:19]
	v_add_f64_e32 v[2:3], v[2:3], v[24:25]
	v_fma_f64 v[20:21], v[34:35], v[30:31], -v[20:21]
	v_add_f64_e32 v[14:15], v[14:15], v[22:23]
	v_fma_f64 v[16:17], v[38:39], v[42:43], -v[16:17]
	s_delay_alu instid0(VALU_DEP_4) | instskip(NEXT) | instid1(VALU_DEP_3)
	v_add_f64_e32 v[2:3], v[2:3], v[32:33]
	v_add_f64_e32 v[14:15], v[14:15], v[20:21]
	s_delay_alu instid0(VALU_DEP_2) | instskip(NEXT) | instid1(VALU_DEP_2)
	v_add_f64_e32 v[2:3], v[2:3], v[18:19]
	v_add_f64_e32 v[14:15], v[14:15], v[16:17]
	s_delay_alu instid0(VALU_DEP_2) | instskip(SKIP_1) | instid1(VALU_DEP_2)
	v_mul_f64_e32 v[16:17], s[24:25], v[2:3]
	v_mul_f64_e32 v[2:3], s[26:27], v[2:3]
	v_fma_f64 v[16:17], s[26:27], v[14:15], v[16:17]
	s_delay_alu instid0(VALU_DEP_2)
	v_fma_f64 v[14:15], s[24:25], v[14:15], -v[2:3]
	s_wait_alu 0xfffe
	v_add_co_u32 v2, vcc_lo, v12, s10
	s_wait_alu 0xfffd
	v_add_co_ci_u32_e64 v3, null, s11, v13, vcc_lo
	global_store_b128 v[2:3], v[14:17], off
	s_branch .LBB133_2
.LBB133_19:
	s_endpgm
	.section	.rodata,"a",@progbits
	.p2align	6, 0x0
	.amdhsa_kernel _ZL23rocblas_trmm_lNx_kernelILi16E19rocblas_complex_numIdES1_KS1_S1_Ev13rocblas_fill_17rocblas_diagonal_iiT1_lPT2_llS7_llPT3_lli
		.amdhsa_group_segment_fixed_size 8192
		.amdhsa_private_segment_fixed_size 0
		.amdhsa_kernarg_size 116
		.amdhsa_user_sgpr_count 2
		.amdhsa_user_sgpr_dispatch_ptr 0
		.amdhsa_user_sgpr_queue_ptr 0
		.amdhsa_user_sgpr_kernarg_segment_ptr 1
		.amdhsa_user_sgpr_dispatch_id 0
		.amdhsa_user_sgpr_private_segment_size 0
		.amdhsa_wavefront_size32 1
		.amdhsa_uses_dynamic_stack 0
		.amdhsa_enable_private_segment 0
		.amdhsa_system_sgpr_workgroup_id_x 1
		.amdhsa_system_sgpr_workgroup_id_y 0
		.amdhsa_system_sgpr_workgroup_id_z 1
		.amdhsa_system_sgpr_workgroup_info 0
		.amdhsa_system_vgpr_workitem_id 1
		.amdhsa_next_free_vgpr 54
		.amdhsa_next_free_sgpr 35
		.amdhsa_reserve_vcc 1
		.amdhsa_float_round_mode_32 0
		.amdhsa_float_round_mode_16_64 0
		.amdhsa_float_denorm_mode_32 3
		.amdhsa_float_denorm_mode_16_64 3
		.amdhsa_fp16_overflow 0
		.amdhsa_workgroup_processor_mode 1
		.amdhsa_memory_ordered 1
		.amdhsa_forward_progress 1
		.amdhsa_inst_pref_size 15
		.amdhsa_round_robin_scheduling 0
		.amdhsa_exception_fp_ieee_invalid_op 0
		.amdhsa_exception_fp_denorm_src 0
		.amdhsa_exception_fp_ieee_div_zero 0
		.amdhsa_exception_fp_ieee_overflow 0
		.amdhsa_exception_fp_ieee_underflow 0
		.amdhsa_exception_fp_ieee_inexact 0
		.amdhsa_exception_int_div_zero 0
	.end_amdhsa_kernel
	.section	.text._ZL23rocblas_trmm_lNx_kernelILi16E19rocblas_complex_numIdES1_KS1_S1_Ev13rocblas_fill_17rocblas_diagonal_iiT1_lPT2_llS7_llPT3_lli,"axG",@progbits,_ZL23rocblas_trmm_lNx_kernelILi16E19rocblas_complex_numIdES1_KS1_S1_Ev13rocblas_fill_17rocblas_diagonal_iiT1_lPT2_llS7_llPT3_lli,comdat
.Lfunc_end133:
	.size	_ZL23rocblas_trmm_lNx_kernelILi16E19rocblas_complex_numIdES1_KS1_S1_Ev13rocblas_fill_17rocblas_diagonal_iiT1_lPT2_llS7_llPT3_lli, .Lfunc_end133-_ZL23rocblas_trmm_lNx_kernelILi16E19rocblas_complex_numIdES1_KS1_S1_Ev13rocblas_fill_17rocblas_diagonal_iiT1_lPT2_llS7_llPT3_lli
                                        ; -- End function
	.set _ZL23rocblas_trmm_lNx_kernelILi16E19rocblas_complex_numIdES1_KS1_S1_Ev13rocblas_fill_17rocblas_diagonal_iiT1_lPT2_llS7_llPT3_lli.num_vgpr, 54
	.set _ZL23rocblas_trmm_lNx_kernelILi16E19rocblas_complex_numIdES1_KS1_S1_Ev13rocblas_fill_17rocblas_diagonal_iiT1_lPT2_llS7_llPT3_lli.num_agpr, 0
	.set _ZL23rocblas_trmm_lNx_kernelILi16E19rocblas_complex_numIdES1_KS1_S1_Ev13rocblas_fill_17rocblas_diagonal_iiT1_lPT2_llS7_llPT3_lli.numbered_sgpr, 35
	.set _ZL23rocblas_trmm_lNx_kernelILi16E19rocblas_complex_numIdES1_KS1_S1_Ev13rocblas_fill_17rocblas_diagonal_iiT1_lPT2_llS7_llPT3_lli.num_named_barrier, 0
	.set _ZL23rocblas_trmm_lNx_kernelILi16E19rocblas_complex_numIdES1_KS1_S1_Ev13rocblas_fill_17rocblas_diagonal_iiT1_lPT2_llS7_llPT3_lli.private_seg_size, 0
	.set _ZL23rocblas_trmm_lNx_kernelILi16E19rocblas_complex_numIdES1_KS1_S1_Ev13rocblas_fill_17rocblas_diagonal_iiT1_lPT2_llS7_llPT3_lli.uses_vcc, 1
	.set _ZL23rocblas_trmm_lNx_kernelILi16E19rocblas_complex_numIdES1_KS1_S1_Ev13rocblas_fill_17rocblas_diagonal_iiT1_lPT2_llS7_llPT3_lli.uses_flat_scratch, 0
	.set _ZL23rocblas_trmm_lNx_kernelILi16E19rocblas_complex_numIdES1_KS1_S1_Ev13rocblas_fill_17rocblas_diagonal_iiT1_lPT2_llS7_llPT3_lli.has_dyn_sized_stack, 0
	.set _ZL23rocblas_trmm_lNx_kernelILi16E19rocblas_complex_numIdES1_KS1_S1_Ev13rocblas_fill_17rocblas_diagonal_iiT1_lPT2_llS7_llPT3_lli.has_recursion, 0
	.set _ZL23rocblas_trmm_lNx_kernelILi16E19rocblas_complex_numIdES1_KS1_S1_Ev13rocblas_fill_17rocblas_diagonal_iiT1_lPT2_llS7_llPT3_lli.has_indirect_call, 0
	.section	.AMDGPU.csdata,"",@progbits
; Kernel info:
; codeLenInByte = 1912
; TotalNumSgprs: 37
; NumVgprs: 54
; ScratchSize: 0
; MemoryBound: 0
; FloatMode: 240
; IeeeMode: 1
; LDSByteSize: 8192 bytes/workgroup (compile time only)
; SGPRBlocks: 0
; VGPRBlocks: 6
; NumSGPRsForWavesPerEU: 37
; NumVGPRsForWavesPerEU: 54
; Occupancy: 16
; WaveLimiterHint : 1
; COMPUTE_PGM_RSRC2:SCRATCH_EN: 0
; COMPUTE_PGM_RSRC2:USER_SGPR: 2
; COMPUTE_PGM_RSRC2:TRAP_HANDLER: 0
; COMPUTE_PGM_RSRC2:TGID_X_EN: 1
; COMPUTE_PGM_RSRC2:TGID_Y_EN: 0
; COMPUTE_PGM_RSRC2:TGID_Z_EN: 1
; COMPUTE_PGM_RSRC2:TIDIG_COMP_CNT: 1
	.section	.text._ZL23rocblas_trmm_lTx_kernelILi16ELb0E19rocblas_complex_numIdEPKS1_S2_S1_Ev13rocblas_fill_17rocblas_diagonal_iiT2_lPT3_llS8_llPT4_lli,"axG",@progbits,_ZL23rocblas_trmm_lTx_kernelILi16ELb0E19rocblas_complex_numIdEPKS1_S2_S1_Ev13rocblas_fill_17rocblas_diagonal_iiT2_lPT3_llS8_llPT4_lli,comdat
	.globl	_ZL23rocblas_trmm_lTx_kernelILi16ELb0E19rocblas_complex_numIdEPKS1_S2_S1_Ev13rocblas_fill_17rocblas_diagonal_iiT2_lPT3_llS8_llPT4_lli ; -- Begin function _ZL23rocblas_trmm_lTx_kernelILi16ELb0E19rocblas_complex_numIdEPKS1_S2_S1_Ev13rocblas_fill_17rocblas_diagonal_iiT2_lPT3_llS8_llPT4_lli
	.p2align	8
	.type	_ZL23rocblas_trmm_lTx_kernelILi16ELb0E19rocblas_complex_numIdEPKS1_S2_S1_Ev13rocblas_fill_17rocblas_diagonal_iiT2_lPT3_llS8_llPT4_lli,@function
_ZL23rocblas_trmm_lTx_kernelILi16ELb0E19rocblas_complex_numIdEPKS1_S2_S1_Ev13rocblas_fill_17rocblas_diagonal_iiT2_lPT3_llS8_llPT4_lli: ; @_ZL23rocblas_trmm_lTx_kernelILi16ELb0E19rocblas_complex_numIdEPKS1_S2_S1_Ev13rocblas_fill_17rocblas_diagonal_iiT2_lPT3_llS8_llPT4_lli
; %bb.0:
	s_load_b32 s3, s[0:1], 0x68
	s_lshr_b32 s28, ttmp7, 16
	s_wait_kmcnt 0x0
	s_cmp_ge_u32 s28, s3
	s_cbranch_scc1 .LBB134_19
; %bb.1:
	s_clause 0x3
	s_load_b128 s[20:23], s[0:1], 0x0
	s_load_b512 s[4:19], s[0:1], 0x10
	s_load_b128 s[24:27], s[0:1], 0x50
	s_load_b64 s[30:31], s[0:1], 0x60
	v_bfe_u32 v7, v0, 10, 10
	v_and_b32_e32 v16, 0x3ff, v0
	v_mov_b32_e32 v0, 0
	s_mov_b32 s29, 0
	s_delay_alu instid0(VALU_DEP_3) | instskip(NEXT) | instid1(VALU_DEP_1)
	v_lshlrev_b32_e32 v1, 4, v7
	v_add_lshl_u32 v8, v1, v16, 4
	v_lshl_add_u32 v10, v16, 8, v1
	s_wait_kmcnt 0x0
	s_add_co_i32 s1, s23, -1
	v_mad_co_u64_u32 v[1:2], null, s10, v7, 0
	v_mad_co_u64_u32 v[3:4], null, s16, v7, 0
	;; [unrolled: 1-line block ×3, first 2 shown]
	s_ashr_i32 s0, s1, 31
	v_cmp_gt_i32_e32 vcc_lo, s22, v7
	s_lshr_b32 s2, s0, 28
	v_cmp_gt_i32_e64 s0, s22, v16
	v_mad_co_u64_u32 v[12:13], null, s11, v7, v[2:3]
	v_lshlrev_b32_e32 v9, 4, v16
	v_mad_co_u64_u32 v[13:14], null, s17, v7, v[4:5]
	s_add_co_i32 s1, s1, s2
	v_add_nc_u32_e32 v11, 0x1000, v8
	s_ashr_i32 s2, s1, 4
	v_mov_b32_e32 v2, v12
	s_and_b32 s1, s1, -16
	s_delay_alu instid0(SALU_CYCLE_1) | instskip(SKIP_1) | instid1(VALU_DEP_1)
	s_sub_co_i32 s1, s23, s1
	s_cmp_ge_i32 ttmp9, s2
	v_lshlrev_b64_e32 v[1:2], 4, v[1:2]
	v_mov_b32_e32 v4, v13
	s_cselect_b32 s1, s1, 16
	s_lshl_b32 s22, ttmp9, 4
	s_and_b32 s10, vcc_lo, s0
	s_wait_alu 0xfffe
	s_ashr_i32 s23, s22, 31
	v_cmp_gt_i32_e32 vcc_lo, s1, v7
	v_add_co_u32 v12, s1, s8, v1
	s_wait_alu 0xfffe
	s_mul_u64 s[16:17], s[16:17], s[22:23]
	v_add_co_ci_u32_e64 v13, null, s9, v2, s1
	v_lshlrev_b64_e32 v[1:2], 4, v[3:4]
	v_mad_co_u64_u32 v[3:4], null, s27, v7, v[6:7]
	s_wait_alu 0xfffe
	s_lshl_b64 s[16:17], s[16:17], 4
	s_and_b32 s8, s0, vcc_lo
	s_wait_alu 0xfffe
	s_add_nc_u64 s[14:15], s[14:15], s[16:17]
	s_mul_u64 s[22:23], s[26:27], s[22:23]
	v_add_co_u32 v1, vcc_lo, s14, v1
	s_delay_alu instid0(VALU_DEP_1) | instskip(SKIP_1) | instid1(VALU_DEP_3)
	v_add_co_ci_u32_e64 v2, null, s15, v2, vcc_lo
	v_mov_b32_e32 v6, v3
	v_add_co_u32 v14, s0, v1, v9
	s_wait_alu 0xf1ff
	s_delay_alu instid0(VALU_DEP_3) | instskip(NEXT) | instid1(VALU_DEP_3)
	v_add_co_ci_u32_e64 v15, null, 0, v2, s0
	v_lshlrev_b64_e32 v[1:2], 4, v[5:6]
	s_wait_alu 0xfffe
	s_lshl_b64 s[22:23], s[22:23], 4
	v_cmp_eq_u32_e32 vcc_lo, v7, v16
	s_cmp_eq_u32 s21, 0x84
	s_wait_alu 0xfffe
	s_add_nc_u64 s[16:17], s[24:25], s[22:23]
	s_cselect_b32 s0, -1, 0
	v_add_co_u32 v12, s1, v12, v9
	s_wait_alu 0xfffe
	s_and_b32 s9, vcc_lo, s0
	v_add_co_u32 v1, vcc_lo, s16, v1
	s_wait_alu 0xfffd
	v_add_co_ci_u32_e64 v2, null, s17, v2, vcc_lo
	v_add_co_ci_u32_e64 v13, null, 0, v13, s1
	s_delay_alu instid0(VALU_DEP_3)
	v_add_co_u32 v17, vcc_lo, v1, v9
	v_cmp_lt_u32_e64 s0, v16, v7
	v_cmp_gt_u32_e64 s1, v16, v7
	v_lshl_add_u32 v16, v7, 8, 0x1000
	s_wait_alu 0xfffd
	v_add_co_ci_u32_e64 v18, null, 0, v2, vcc_lo
	v_mov_b32_e32 v1, 0x3ff00000
	s_cmp_lg_u32 s20, 0x7a
	s_cselect_b32 s11, -1, 0
	s_branch .LBB134_4
.LBB134_2:                              ;   in Loop: Header=BB134_4 Depth=1
	s_or_b32 exec_lo, exec_lo, s2
.LBB134_3:                              ;   in Loop: Header=BB134_4 Depth=1
	s_add_co_i32 s28, s28, 0x10000
	s_delay_alu instid0(SALU_CYCLE_1)
	s_cmp_lt_u32 s28, s3
	s_cbranch_scc0 .LBB134_19
.LBB134_4:                              ; =>This Inner Loop Header: Depth=1
	s_mul_u64 s[14:15], s[6:7], s[28:29]
	s_wait_alu 0xfffe
	s_lshl_b64 s[14:15], s[14:15], 4
	s_wait_alu 0xfffe
	s_add_nc_u64 s[14:15], s[4:5], s[14:15]
	global_load_b128 v[4:7], v0, s[14:15]
	s_wait_loadcnt 0x0
	v_cmp_neq_f64_e32 vcc_lo, 0, v[4:5]
	v_cmp_neq_f64_e64 s2, 0, v[6:7]
	s_or_b32 s2, vcc_lo, s2
	s_delay_alu instid0(SALU_CYCLE_1)
	s_and_not1_b32 vcc_lo, exec_lo, s2
	s_wait_alu 0xfffe
	s_cbranch_vccnz .LBB134_3
; %bb.5:                                ;   in Loop: Header=BB134_4 Depth=1
	s_mov_b32 s20, s29
	s_mov_b32 s21, s29
	;; [unrolled: 1-line block ×4, first 2 shown]
	s_wait_alu 0xfffe
	v_dual_mov_b32 v19, s20 :: v_dual_mov_b32 v20, s21
	v_dual_mov_b32 v21, s22 :: v_dual_mov_b32 v22, s23
	ds_store_b128 v8, v[19:22]
	ds_store_b128 v11, v[19:22]
	s_wait_dscnt 0x0
	s_barrier_signal -1
	s_barrier_wait -1
	global_inv scope:SCOPE_SE
	s_and_saveexec_b32 s2, s10
	s_cbranch_execnz .LBB134_11
; %bb.6:                                ;   in Loop: Header=BB134_4 Depth=1
	s_or_b32 exec_lo, exec_lo, s2
	s_and_saveexec_b32 s2, s8
	s_cbranch_execnz .LBB134_12
.LBB134_7:                              ;   in Loop: Header=BB134_4 Depth=1
	s_or_b32 exec_lo, exec_lo, s2
	s_and_saveexec_b32 s2, s9
.LBB134_8:                              ;   in Loop: Header=BB134_4 Depth=1
	v_dual_mov_b32 v2, v0 :: v_dual_mov_b32 v3, v0
	ds_store_b128 v8, v[0:3]
.LBB134_9:                              ;   in Loop: Header=BB134_4 Depth=1
	s_or_b32 exec_lo, exec_lo, s2
	s_delay_alu instid0(SALU_CYCLE_1)
	s_and_b32 vcc_lo, exec_lo, s11
	s_wait_loadcnt_dscnt 0x0
	s_barrier_signal -1
	s_barrier_wait -1
	global_inv scope:SCOPE_SE
	s_wait_alu 0xfffe
	s_cbranch_vccz .LBB134_13
; %bb.10:                               ;   in Loop: Header=BB134_4 Depth=1
	s_and_b32 s2, s0, exec_lo
	s_cbranch_execz .LBB134_14
	s_branch .LBB134_15
.LBB134_11:                             ;   in Loop: Header=BB134_4 Depth=1
	s_mul_u64 s[14:15], s[12:13], s[28:29]
	s_wait_alu 0xfffe
	s_lshl_b64 s[14:15], s[14:15], 4
	s_wait_alu 0xfffe
	v_add_co_u32 v2, vcc_lo, v12, s14
	s_wait_alu 0xfffd
	v_add_co_ci_u32_e64 v3, null, s15, v13, vcc_lo
	global_load_b128 v[19:22], v[2:3], off
	s_wait_loadcnt 0x0
	ds_store_2addr_b64 v10, v[19:20], v[21:22] offset1:1
	s_or_b32 exec_lo, exec_lo, s2
	s_and_saveexec_b32 s2, s8
	s_cbranch_execz .LBB134_7
.LBB134_12:                             ;   in Loop: Header=BB134_4 Depth=1
	s_mul_u64 s[14:15], s[18:19], s[28:29]
	s_wait_alu 0xfffe
	s_lshl_b64 s[14:15], s[14:15], 4
	s_wait_alu 0xfffe
	v_add_co_u32 v2, vcc_lo, v14, s14
	s_wait_alu 0xfffd
	v_add_co_ci_u32_e64 v3, null, s15, v15, vcc_lo
	global_load_b128 v[19:22], v[2:3], off
	s_wait_loadcnt 0x0
	ds_store_2addr_b64 v11, v[19:20], v[21:22] offset1:1
	s_or_b32 exec_lo, exec_lo, s2
	s_and_saveexec_b32 s2, s9
	s_cbranch_execnz .LBB134_8
	s_branch .LBB134_9
.LBB134_13:                             ;   in Loop: Header=BB134_4 Depth=1
	s_mov_b32 s2, 0
.LBB134_14:                             ;   in Loop: Header=BB134_4 Depth=1
	s_delay_alu instid0(SALU_CYCLE_1)
	s_and_not1_b32 s2, s2, exec_lo
	s_and_b32 s14, s1, exec_lo
	s_wait_alu 0xfffe
	s_or_b32 s2, s2, s14
.LBB134_15:                             ;   in Loop: Header=BB134_4 Depth=1
	s_delay_alu instid0(SALU_CYCLE_1)
	s_and_saveexec_b32 s14, s2
; %bb.16:                               ;   in Loop: Header=BB134_4 Depth=1
	v_dual_mov_b32 v19, v0 :: v_dual_mov_b32 v20, v0
	v_dual_mov_b32 v21, v0 :: v_dual_mov_b32 v22, v0
	ds_store_b128 v8, v[19:22]
; %bb.17:                               ;   in Loop: Header=BB134_4 Depth=1
	s_wait_alu 0xfffe
	s_or_b32 exec_lo, exec_lo, s14
	s_wait_loadcnt_dscnt 0x0
	s_barrier_signal -1
	s_barrier_wait -1
	global_inv scope:SCOPE_SE
	s_and_saveexec_b32 s2, s8
	s_cbranch_execz .LBB134_2
; %bb.18:                               ;   in Loop: Header=BB134_4 Depth=1
	ds_load_b128 v[19:22], v9
	ds_load_b128 v[23:26], v16
	ds_load_b128 v[27:30], v16 offset:16
	ds_load_b128 v[31:34], v9 offset:256
	;; [unrolled: 1-line block ×6, first 2 shown]
	s_mul_u64 s[14:15], s[30:31], s[28:29]
	s_wait_alu 0xfffe
	s_lshl_b64 s[14:15], s[14:15], 4
	s_wait_dscnt 0x6
	v_mul_f64_e32 v[2:3], v[23:24], v[21:22]
	v_mul_f64_e32 v[21:22], v[25:26], v[21:22]
	s_wait_dscnt 0x4
	v_mul_f64_e32 v[51:52], v[27:28], v[33:34]
	v_mul_f64_e32 v[33:34], v[29:30], v[33:34]
	s_delay_alu instid0(VALU_DEP_4) | instskip(SKIP_2) | instid1(VALU_DEP_4)
	v_fma_f64 v[2:3], v[25:26], v[19:20], v[2:3]
	s_wait_dscnt 0x2
	v_mul_f64_e32 v[25:26], v[39:40], v[37:38]
	v_fma_f64 v[29:30], v[29:30], v[31:32], v[51:52]
	v_fma_f64 v[19:20], v[23:24], v[19:20], -v[21:22]
	s_wait_dscnt 0x0
	v_mul_f64_e32 v[51:52], v[43:44], v[49:50]
	v_mul_f64_e32 v[37:38], v[41:42], v[37:38]
	v_fma_f64 v[53:54], v[27:28], v[31:32], -v[33:34]
	v_mul_f64_e32 v[49:50], v[45:46], v[49:50]
	v_add_f64_e32 v[2:3], 0, v[2:3]
	v_fma_f64 v[41:42], v[41:42], v[35:36], v[25:26]
	v_add_f64_e32 v[55:56], 0, v[19:20]
	v_fma_f64 v[45:46], v[45:46], v[47:48], v[51:52]
	v_fma_f64 v[35:36], v[39:40], v[35:36], -v[37:38]
	v_add_f64_e32 v[2:3], v[2:3], v[29:30]
	ds_load_b128 v[19:22], v9 offset:1024
	ds_load_b128 v[23:26], v16 offset:64
	ds_load_b128 v[27:30], v16 offset:80
	ds_load_b128 v[31:34], v9 offset:1280
	v_add_f64_e32 v[37:38], v[55:56], v[53:54]
	v_fma_f64 v[53:54], v[43:44], v[47:48], -v[49:50]
	s_wait_dscnt 0x2
	v_mul_f64_e32 v[57:58], v[23:24], v[21:22]
	v_mul_f64_e32 v[21:22], v[25:26], v[21:22]
	s_wait_dscnt 0x0
	v_mul_f64_e32 v[51:52], v[27:28], v[33:34]
	v_mul_f64_e32 v[33:34], v[29:30], v[33:34]
	v_add_f64_e32 v[2:3], v[2:3], v[41:42]
	v_add_f64_e32 v[55:56], v[37:38], v[35:36]
	v_fma_f64 v[25:26], v[25:26], v[19:20], v[57:58]
	v_fma_f64 v[19:20], v[23:24], v[19:20], -v[21:22]
	v_fma_f64 v[29:30], v[29:30], v[31:32], v[51:52]
	v_add_f64_e32 v[2:3], v[2:3], v[45:46]
	ds_load_b128 v[35:38], v9 offset:1536
	ds_load_b128 v[39:42], v16 offset:96
	ds_load_b128 v[43:46], v16 offset:112
	ds_load_b128 v[47:50], v9 offset:1792
	v_add_f64_e32 v[21:22], v[55:56], v[53:54]
	v_fma_f64 v[53:54], v[27:28], v[31:32], -v[33:34]
	s_wait_dscnt 0x2
	v_mul_f64_e32 v[57:58], v[39:40], v[37:38]
	v_mul_f64_e32 v[37:38], v[41:42], v[37:38]
	s_wait_dscnt 0x0
	v_mul_f64_e32 v[51:52], v[43:44], v[49:50]
	v_mul_f64_e32 v[49:50], v[45:46], v[49:50]
	v_add_f64_e32 v[2:3], v[2:3], v[25:26]
	v_add_f64_e32 v[55:56], v[21:22], v[19:20]
	v_fma_f64 v[41:42], v[41:42], v[35:36], v[57:58]
	v_fma_f64 v[35:36], v[39:40], v[35:36], -v[37:38]
	v_fma_f64 v[45:46], v[45:46], v[47:48], v[51:52]
	;; [unrolled: 18-line block ×5, first 2 shown]
	v_fma_f64 v[27:28], v[27:28], v[31:32], -v[33:34]
	v_add_f64_e32 v[2:3], v[2:3], v[45:46]
	ds_load_b128 v[35:38], v9 offset:3584
	ds_load_b128 v[39:42], v16 offset:224
	;; [unrolled: 1-line block ×4, first 2 shown]
	v_add_f64_e32 v[21:22], v[55:56], v[53:54]
	s_wait_dscnt 0x2
	v_mul_f64_e32 v[57:58], v[39:40], v[37:38]
	s_wait_dscnt 0x0
	v_mul_f64_e32 v[23:24], v[43:44], v[49:50]
	v_add_f64_e32 v[2:3], v[2:3], v[25:26]
	v_mul_f64_e32 v[25:26], v[41:42], v[37:38]
	v_add_f64_e32 v[19:20], v[21:22], v[19:20]
	v_mul_f64_e32 v[21:22], v[45:46], v[49:50]
	v_fma_f64 v[37:38], v[41:42], v[35:36], v[57:58]
	v_fma_f64 v[23:24], v[45:46], v[47:48], v[23:24]
	v_add_f64_e32 v[2:3], v[2:3], v[29:30]
	v_fma_f64 v[25:26], v[39:40], v[35:36], -v[25:26]
	v_add_f64_e32 v[19:20], v[19:20], v[27:28]
	v_fma_f64 v[21:22], v[43:44], v[47:48], -v[21:22]
	s_delay_alu instid0(VALU_DEP_4) | instskip(NEXT) | instid1(VALU_DEP_3)
	v_add_f64_e32 v[2:3], v[2:3], v[37:38]
	v_add_f64_e32 v[19:20], v[19:20], v[25:26]
	s_delay_alu instid0(VALU_DEP_2) | instskip(NEXT) | instid1(VALU_DEP_2)
	v_add_f64_e32 v[2:3], v[2:3], v[23:24]
	v_add_f64_e32 v[19:20], v[19:20], v[21:22]
	s_delay_alu instid0(VALU_DEP_2) | instskip(SKIP_1) | instid1(VALU_DEP_2)
	v_mul_f64_e32 v[21:22], v[4:5], v[2:3]
	v_mul_f64_e32 v[2:3], v[6:7], v[2:3]
	v_fma_f64 v[6:7], v[6:7], v[19:20], v[21:22]
	s_delay_alu instid0(VALU_DEP_2)
	v_fma_f64 v[4:5], v[4:5], v[19:20], -v[2:3]
	s_wait_alu 0xfffe
	v_add_co_u32 v2, vcc_lo, v17, s14
	s_wait_alu 0xfffd
	v_add_co_ci_u32_e64 v3, null, s15, v18, vcc_lo
	global_store_b128 v[2:3], v[4:7], off
	s_branch .LBB134_2
.LBB134_19:
	s_endpgm
	.section	.rodata,"a",@progbits
	.p2align	6, 0x0
	.amdhsa_kernel _ZL23rocblas_trmm_lTx_kernelILi16ELb0E19rocblas_complex_numIdEPKS1_S2_S1_Ev13rocblas_fill_17rocblas_diagonal_iiT2_lPT3_llS8_llPT4_lli
		.amdhsa_group_segment_fixed_size 8192
		.amdhsa_private_segment_fixed_size 0
		.amdhsa_kernarg_size 108
		.amdhsa_user_sgpr_count 2
		.amdhsa_user_sgpr_dispatch_ptr 0
		.amdhsa_user_sgpr_queue_ptr 0
		.amdhsa_user_sgpr_kernarg_segment_ptr 1
		.amdhsa_user_sgpr_dispatch_id 0
		.amdhsa_user_sgpr_private_segment_size 0
		.amdhsa_wavefront_size32 1
		.amdhsa_uses_dynamic_stack 0
		.amdhsa_enable_private_segment 0
		.amdhsa_system_sgpr_workgroup_id_x 1
		.amdhsa_system_sgpr_workgroup_id_y 0
		.amdhsa_system_sgpr_workgroup_id_z 1
		.amdhsa_system_sgpr_workgroup_info 0
		.amdhsa_system_vgpr_workitem_id 1
		.amdhsa_next_free_vgpr 59
		.amdhsa_next_free_sgpr 32
		.amdhsa_reserve_vcc 1
		.amdhsa_float_round_mode_32 0
		.amdhsa_float_round_mode_16_64 0
		.amdhsa_float_denorm_mode_32 3
		.amdhsa_float_denorm_mode_16_64 3
		.amdhsa_fp16_overflow 0
		.amdhsa_workgroup_processor_mode 1
		.amdhsa_memory_ordered 1
		.amdhsa_forward_progress 1
		.amdhsa_inst_pref_size 16
		.amdhsa_round_robin_scheduling 0
		.amdhsa_exception_fp_ieee_invalid_op 0
		.amdhsa_exception_fp_denorm_src 0
		.amdhsa_exception_fp_ieee_div_zero 0
		.amdhsa_exception_fp_ieee_overflow 0
		.amdhsa_exception_fp_ieee_underflow 0
		.amdhsa_exception_fp_ieee_inexact 0
		.amdhsa_exception_int_div_zero 0
	.end_amdhsa_kernel
	.section	.text._ZL23rocblas_trmm_lTx_kernelILi16ELb0E19rocblas_complex_numIdEPKS1_S2_S1_Ev13rocblas_fill_17rocblas_diagonal_iiT2_lPT3_llS8_llPT4_lli,"axG",@progbits,_ZL23rocblas_trmm_lTx_kernelILi16ELb0E19rocblas_complex_numIdEPKS1_S2_S1_Ev13rocblas_fill_17rocblas_diagonal_iiT2_lPT3_llS8_llPT4_lli,comdat
.Lfunc_end134:
	.size	_ZL23rocblas_trmm_lTx_kernelILi16ELb0E19rocblas_complex_numIdEPKS1_S2_S1_Ev13rocblas_fill_17rocblas_diagonal_iiT2_lPT3_llS8_llPT4_lli, .Lfunc_end134-_ZL23rocblas_trmm_lTx_kernelILi16ELb0E19rocblas_complex_numIdEPKS1_S2_S1_Ev13rocblas_fill_17rocblas_diagonal_iiT2_lPT3_llS8_llPT4_lli
                                        ; -- End function
	.set _ZL23rocblas_trmm_lTx_kernelILi16ELb0E19rocblas_complex_numIdEPKS1_S2_S1_Ev13rocblas_fill_17rocblas_diagonal_iiT2_lPT3_llS8_llPT4_lli.num_vgpr, 59
	.set _ZL23rocblas_trmm_lTx_kernelILi16ELb0E19rocblas_complex_numIdEPKS1_S2_S1_Ev13rocblas_fill_17rocblas_diagonal_iiT2_lPT3_llS8_llPT4_lli.num_agpr, 0
	.set _ZL23rocblas_trmm_lTx_kernelILi16ELb0E19rocblas_complex_numIdEPKS1_S2_S1_Ev13rocblas_fill_17rocblas_diagonal_iiT2_lPT3_llS8_llPT4_lli.numbered_sgpr, 32
	.set _ZL23rocblas_trmm_lTx_kernelILi16ELb0E19rocblas_complex_numIdEPKS1_S2_S1_Ev13rocblas_fill_17rocblas_diagonal_iiT2_lPT3_llS8_llPT4_lli.num_named_barrier, 0
	.set _ZL23rocblas_trmm_lTx_kernelILi16ELb0E19rocblas_complex_numIdEPKS1_S2_S1_Ev13rocblas_fill_17rocblas_diagonal_iiT2_lPT3_llS8_llPT4_lli.private_seg_size, 0
	.set _ZL23rocblas_trmm_lTx_kernelILi16ELb0E19rocblas_complex_numIdEPKS1_S2_S1_Ev13rocblas_fill_17rocblas_diagonal_iiT2_lPT3_llS8_llPT4_lli.uses_vcc, 1
	.set _ZL23rocblas_trmm_lTx_kernelILi16ELb0E19rocblas_complex_numIdEPKS1_S2_S1_Ev13rocblas_fill_17rocblas_diagonal_iiT2_lPT3_llS8_llPT4_lli.uses_flat_scratch, 0
	.set _ZL23rocblas_trmm_lTx_kernelILi16ELb0E19rocblas_complex_numIdEPKS1_S2_S1_Ev13rocblas_fill_17rocblas_diagonal_iiT2_lPT3_llS8_llPT4_lli.has_dyn_sized_stack, 0
	.set _ZL23rocblas_trmm_lTx_kernelILi16ELb0E19rocblas_complex_numIdEPKS1_S2_S1_Ev13rocblas_fill_17rocblas_diagonal_iiT2_lPT3_llS8_llPT4_lli.has_recursion, 0
	.set _ZL23rocblas_trmm_lTx_kernelILi16ELb0E19rocblas_complex_numIdEPKS1_S2_S1_Ev13rocblas_fill_17rocblas_diagonal_iiT2_lPT3_llS8_llPT4_lli.has_indirect_call, 0
	.section	.AMDGPU.csdata,"",@progbits
; Kernel info:
; codeLenInByte = 1956
; TotalNumSgprs: 34
; NumVgprs: 59
; ScratchSize: 0
; MemoryBound: 0
; FloatMode: 240
; IeeeMode: 1
; LDSByteSize: 8192 bytes/workgroup (compile time only)
; SGPRBlocks: 0
; VGPRBlocks: 7
; NumSGPRsForWavesPerEU: 34
; NumVGPRsForWavesPerEU: 59
; Occupancy: 16
; WaveLimiterHint : 0
; COMPUTE_PGM_RSRC2:SCRATCH_EN: 0
; COMPUTE_PGM_RSRC2:USER_SGPR: 2
; COMPUTE_PGM_RSRC2:TRAP_HANDLER: 0
; COMPUTE_PGM_RSRC2:TGID_X_EN: 1
; COMPUTE_PGM_RSRC2:TGID_Y_EN: 0
; COMPUTE_PGM_RSRC2:TGID_Z_EN: 1
; COMPUTE_PGM_RSRC2:TIDIG_COMP_CNT: 1
	.section	.text._ZL23rocblas_trmm_lTx_kernelILi16ELb0E19rocblas_complex_numIdES1_KS1_S1_Ev13rocblas_fill_17rocblas_diagonal_iiT2_lPT3_llS7_llPT4_lli,"axG",@progbits,_ZL23rocblas_trmm_lTx_kernelILi16ELb0E19rocblas_complex_numIdES1_KS1_S1_Ev13rocblas_fill_17rocblas_diagonal_iiT2_lPT3_llS7_llPT4_lli,comdat
	.globl	_ZL23rocblas_trmm_lTx_kernelILi16ELb0E19rocblas_complex_numIdES1_KS1_S1_Ev13rocblas_fill_17rocblas_diagonal_iiT2_lPT3_llS7_llPT4_lli ; -- Begin function _ZL23rocblas_trmm_lTx_kernelILi16ELb0E19rocblas_complex_numIdES1_KS1_S1_Ev13rocblas_fill_17rocblas_diagonal_iiT2_lPT3_llS7_llPT4_lli
	.p2align	8
	.type	_ZL23rocblas_trmm_lTx_kernelILi16ELb0E19rocblas_complex_numIdES1_KS1_S1_Ev13rocblas_fill_17rocblas_diagonal_iiT2_lPT3_llS7_llPT4_lli,@function
_ZL23rocblas_trmm_lTx_kernelILi16ELb0E19rocblas_complex_numIdES1_KS1_S1_Ev13rocblas_fill_17rocblas_diagonal_iiT2_lPT3_llS7_llPT4_lli: ; @_ZL23rocblas_trmm_lTx_kernelILi16ELb0E19rocblas_complex_numIdES1_KS1_S1_Ev13rocblas_fill_17rocblas_diagonal_iiT2_lPT3_llS7_llPT4_lli
; %bb.0:
	s_load_b32 s3, s[0:1], 0x70
	s_lshr_b32 s28, ttmp7, 16
	s_wait_kmcnt 0x0
	s_cmp_ge_u32 s28, s3
	s_cbranch_scc1 .LBB135_19
; %bb.1:
	s_clause 0x1
	s_load_b256 s[20:27], s[0:1], 0x0
	s_load_b512 s[4:19], s[0:1], 0x28
	v_bfe_u32 v14, v0, 10, 10
	v_and_b32_e32 v15, 0x3ff, v0
	s_load_b64 s[30:31], s[0:1], 0x68
	s_delay_alu instid0(VALU_DEP_1) | instskip(NEXT) | instid1(VALU_DEP_3)
	v_lshlrev_b32_e32 v4, 4, v15
	v_cmp_eq_u32_e32 vcc_lo, v14, v15
	s_wait_kmcnt 0x0
	v_cmp_neq_f64_e64 s29, s[24:25], 0
	v_cmp_neq_f64_e64 s33, s[26:27], 0
	v_mad_co_u64_u32 v[0:1], null, s6, v14, 0
	v_mad_co_u64_u32 v[2:3], null, s12, v14, 0
	;; [unrolled: 1-line block ×3, first 2 shown]
	s_add_co_i32 s1, s23, -1
	s_delay_alu instid0(SALU_CYCLE_1)
	s_ashr_i32 s0, s1, 31
	v_mad_co_u64_u32 v[10:11], null, s7, v14, v[1:2]
	v_lshlrev_b32_e32 v6, 4, v14
	v_mad_co_u64_u32 v[11:12], null, s13, v14, v[3:4]
	s_lshr_b32 s2, s0, 28
	v_cmp_gt_i32_e64 s0, s22, v14
	s_add_co_i32 s2, s1, s2
	v_mov_b32_e32 v1, v10
	v_mad_co_u64_u32 v[12:13], null, s19, v14, v[9:10]
	s_and_b32 s6, s2, -16
	s_ashr_i32 s7, s2, 4
	v_lshlrev_b64_e32 v[0:1], 4, v[0:1]
	s_wait_alu 0xfffe
	s_sub_co_i32 s6, s23, s6
	v_cmp_gt_i32_e64 s1, s22, v15
	v_mov_b32_e32 v3, v11
	v_mov_b32_e32 v9, v12
	v_add_co_u32 v0, s2, s4, v0
	s_delay_alu instid0(VALU_DEP_1) | instskip(NEXT) | instid1(VALU_DEP_3)
	v_add_co_ci_u32_e64 v1, null, s5, v1, s2
	v_lshlrev_b64_e32 v[12:13], 4, v[8:9]
	s_delay_alu instid0(VALU_DEP_3) | instskip(SKIP_1) | instid1(VALU_DEP_3)
	v_add_co_u32 v8, s2, v0, v4
	s_wait_alu 0xf1ff
	v_add_co_ci_u32_e64 v9, null, 0, v1, s2
	s_or_b32 s4, s29, s33
	s_cmp_ge_i32 ttmp9, s7
	v_lshlrev_b64_e32 v[2:3], 4, v[2:3]
	s_wait_alu 0xfffe
	s_cselect_b32 s5, s6, 16
	s_lshl_b32 s6, ttmp9, 4
	s_and_b32 s2, s0, s1
	s_wait_alu 0xfffe
	s_ashr_i32 s7, s6, 31
	v_cmp_gt_i32_e64 s0, s5, v14
	s_wait_alu 0xfffe
	s_mul_u64 s[12:13], s[12:13], s[6:7]
	s_mul_u64 s[6:7], s[18:19], s[6:7]
	s_wait_alu 0xfffe
	s_lshl_b64 s[12:13], s[12:13], 4
	s_lshl_b64 s[6:7], s[6:7], 4
	s_and_b32 s5, s1, s0
	s_wait_alu 0xfffe
	s_add_nc_u64 s[0:1], s[10:11], s[12:13]
	s_cmp_eq_u32 s21, 0x84
	v_add_co_u32 v0, s0, s0, v2
	s_wait_alu 0xf1ff
	v_add_co_ci_u32_e64 v1, null, s1, v3, s0
	s_add_nc_u64 s[10:11], s[16:17], s[6:7]
	s_cselect_b32 s6, -1, 0
	s_mov_b32 s29, 0
	s_wait_alu 0xfffe
	s_and_b32 s6, vcc_lo, s6
	v_add_co_u32 v10, vcc_lo, v0, v4
	s_delay_alu instid0(VALU_DEP_1) | instskip(SKIP_4) | instid1(VALU_DEP_3)
	v_add_co_ci_u32_e64 v11, null, 0, v1, vcc_lo
	v_add_co_u32 v0, vcc_lo, s10, v12
	s_wait_alu 0xfffd
	v_add_co_ci_u32_e64 v1, null, s11, v13, vcc_lo
	v_lshl_add_u32 v12, v14, 8, 0x1000
	v_add_co_u32 v13, vcc_lo, v0, v4
	v_mov_b32_e32 v0, 0
	v_add_lshl_u32 v5, v6, v15, 4
	v_lshl_add_u32 v6, v15, 8, v6
	v_cmp_lt_u32_e64 s0, v15, v14
	v_cmp_gt_u32_e64 s1, v15, v14
	s_wait_alu 0xfffd
	v_add_co_ci_u32_e64 v14, null, 0, v1, vcc_lo
	v_add_nc_u32_e32 v7, 0x1000, v5
	v_mov_b32_e32 v1, 0x3ff00000
	s_cmp_lg_u32 s20, 0x7a
	s_cselect_b32 s7, -1, 0
	s_branch .LBB135_4
.LBB135_2:                              ;   in Loop: Header=BB135_4 Depth=1
	s_wait_alu 0xfffe
	s_or_b32 exec_lo, exec_lo, s10
.LBB135_3:                              ;   in Loop: Header=BB135_4 Depth=1
	s_add_co_i32 s28, s28, 0x10000
	s_delay_alu instid0(SALU_CYCLE_1)
	s_cmp_lt_u32 s28, s3
	s_cbranch_scc0 .LBB135_19
.LBB135_4:                              ; =>This Inner Loop Header: Depth=1
	s_and_not1_b32 vcc_lo, exec_lo, s4
	s_wait_alu 0xfffe
	s_cbranch_vccnz .LBB135_3
; %bb.5:                                ;   in Loop: Header=BB135_4 Depth=1
	s_mov_b32 s16, s29
	s_mov_b32 s17, s29
	;; [unrolled: 1-line block ×4, first 2 shown]
	s_wait_alu 0xfffe
	v_dual_mov_b32 v15, s16 :: v_dual_mov_b32 v16, s17
	v_dual_mov_b32 v17, s18 :: v_dual_mov_b32 v18, s19
	ds_store_b128 v5, v[15:18]
	ds_store_b128 v7, v[15:18]
	s_wait_dscnt 0x0
	s_barrier_signal -1
	s_barrier_wait -1
	global_inv scope:SCOPE_SE
	s_and_saveexec_b32 s10, s2
	s_cbranch_execnz .LBB135_11
; %bb.6:                                ;   in Loop: Header=BB135_4 Depth=1
	s_wait_alu 0xfffe
	s_or_b32 exec_lo, exec_lo, s10
	s_and_saveexec_b32 s10, s5
	s_cbranch_execnz .LBB135_12
.LBB135_7:                              ;   in Loop: Header=BB135_4 Depth=1
	s_wait_alu 0xfffe
	s_or_b32 exec_lo, exec_lo, s10
	s_and_saveexec_b32 s10, s6
.LBB135_8:                              ;   in Loop: Header=BB135_4 Depth=1
	v_dual_mov_b32 v2, v0 :: v_dual_mov_b32 v3, v0
	ds_store_b128 v5, v[0:3]
.LBB135_9:                              ;   in Loop: Header=BB135_4 Depth=1
	s_wait_alu 0xfffe
	s_or_b32 exec_lo, exec_lo, s10
	s_delay_alu instid0(SALU_CYCLE_1)
	s_and_b32 vcc_lo, exec_lo, s7
	s_wait_loadcnt_dscnt 0x0
	s_barrier_signal -1
	s_barrier_wait -1
	global_inv scope:SCOPE_SE
	s_wait_alu 0xfffe
	s_cbranch_vccz .LBB135_13
; %bb.10:                               ;   in Loop: Header=BB135_4 Depth=1
	s_and_b32 s10, s0, exec_lo
	s_cbranch_execz .LBB135_14
	s_branch .LBB135_15
.LBB135_11:                             ;   in Loop: Header=BB135_4 Depth=1
	s_mul_u64 s[12:13], s[8:9], s[28:29]
	s_wait_alu 0xfffe
	s_lshl_b64 s[12:13], s[12:13], 4
	s_wait_alu 0xfffe
	v_add_co_u32 v2, vcc_lo, v8, s12
	s_wait_alu 0xfffd
	v_add_co_ci_u32_e64 v3, null, s13, v9, vcc_lo
	global_load_b128 v[15:18], v[2:3], off
	s_wait_loadcnt 0x0
	ds_store_2addr_b64 v6, v[15:16], v[17:18] offset1:1
	s_or_b32 exec_lo, exec_lo, s10
	s_and_saveexec_b32 s10, s5
	s_cbranch_execz .LBB135_7
.LBB135_12:                             ;   in Loop: Header=BB135_4 Depth=1
	s_mul_u64 s[12:13], s[14:15], s[28:29]
	s_wait_alu 0xfffe
	s_lshl_b64 s[12:13], s[12:13], 4
	s_wait_alu 0xfffe
	v_add_co_u32 v2, vcc_lo, v10, s12
	s_wait_alu 0xfffd
	v_add_co_ci_u32_e64 v3, null, s13, v11, vcc_lo
	global_load_b128 v[15:18], v[2:3], off
	s_wait_loadcnt 0x0
	ds_store_2addr_b64 v7, v[15:16], v[17:18] offset1:1
	s_or_b32 exec_lo, exec_lo, s10
	s_and_saveexec_b32 s10, s6
	s_cbranch_execnz .LBB135_8
	s_branch .LBB135_9
.LBB135_13:                             ;   in Loop: Header=BB135_4 Depth=1
	s_mov_b32 s10, 0
.LBB135_14:                             ;   in Loop: Header=BB135_4 Depth=1
	s_wait_alu 0xfffe
	s_and_not1_b32 s10, s10, exec_lo
	s_and_b32 s11, s1, exec_lo
	s_wait_alu 0xfffe
	s_or_b32 s10, s10, s11
.LBB135_15:                             ;   in Loop: Header=BB135_4 Depth=1
	s_wait_alu 0xfffe
	s_and_saveexec_b32 s11, s10
; %bb.16:                               ;   in Loop: Header=BB135_4 Depth=1
	v_dual_mov_b32 v15, v0 :: v_dual_mov_b32 v16, v0
	v_dual_mov_b32 v17, v0 :: v_dual_mov_b32 v18, v0
	ds_store_b128 v5, v[15:18]
; %bb.17:                               ;   in Loop: Header=BB135_4 Depth=1
	s_wait_alu 0xfffe
	s_or_b32 exec_lo, exec_lo, s11
	s_wait_loadcnt_dscnt 0x0
	s_barrier_signal -1
	s_barrier_wait -1
	global_inv scope:SCOPE_SE
	s_and_saveexec_b32 s10, s5
	s_cbranch_execz .LBB135_2
; %bb.18:                               ;   in Loop: Header=BB135_4 Depth=1
	ds_load_b128 v[15:18], v4
	ds_load_b128 v[19:22], v12
	ds_load_b128 v[23:26], v12 offset:16
	ds_load_b128 v[27:30], v4 offset:256
	;; [unrolled: 1-line block ×6, first 2 shown]
	s_mul_u64 s[12:13], s[30:31], s[28:29]
	s_wait_alu 0xfffe
	s_lshl_b64 s[12:13], s[12:13], 4
	s_wait_dscnt 0x6
	v_mul_f64_e32 v[2:3], v[19:20], v[17:18]
	v_mul_f64_e32 v[17:18], v[21:22], v[17:18]
	s_wait_dscnt 0x4
	v_mul_f64_e32 v[47:48], v[23:24], v[29:30]
	v_mul_f64_e32 v[29:30], v[25:26], v[29:30]
	s_delay_alu instid0(VALU_DEP_4) | instskip(SKIP_2) | instid1(VALU_DEP_4)
	v_fma_f64 v[2:3], v[21:22], v[15:16], v[2:3]
	s_wait_dscnt 0x2
	v_mul_f64_e32 v[21:22], v[35:36], v[33:34]
	v_fma_f64 v[25:26], v[25:26], v[27:28], v[47:48]
	v_fma_f64 v[15:16], v[19:20], v[15:16], -v[17:18]
	s_wait_dscnt 0x0
	v_mul_f64_e32 v[47:48], v[39:40], v[45:46]
	v_mul_f64_e32 v[33:34], v[37:38], v[33:34]
	v_fma_f64 v[49:50], v[23:24], v[27:28], -v[29:30]
	v_mul_f64_e32 v[45:46], v[41:42], v[45:46]
	v_add_f64_e32 v[2:3], 0, v[2:3]
	v_fma_f64 v[37:38], v[37:38], v[31:32], v[21:22]
	v_add_f64_e32 v[51:52], 0, v[15:16]
	v_fma_f64 v[41:42], v[41:42], v[43:44], v[47:48]
	v_fma_f64 v[31:32], v[35:36], v[31:32], -v[33:34]
	v_add_f64_e32 v[2:3], v[2:3], v[25:26]
	ds_load_b128 v[15:18], v4 offset:1024
	ds_load_b128 v[19:22], v12 offset:64
	ds_load_b128 v[23:26], v12 offset:80
	ds_load_b128 v[27:30], v4 offset:1280
	v_add_f64_e32 v[33:34], v[51:52], v[49:50]
	v_fma_f64 v[49:50], v[39:40], v[43:44], -v[45:46]
	s_wait_dscnt 0x2
	v_mul_f64_e32 v[53:54], v[19:20], v[17:18]
	v_mul_f64_e32 v[17:18], v[21:22], v[17:18]
	s_wait_dscnt 0x0
	v_mul_f64_e32 v[47:48], v[23:24], v[29:30]
	v_mul_f64_e32 v[29:30], v[25:26], v[29:30]
	v_add_f64_e32 v[2:3], v[2:3], v[37:38]
	v_add_f64_e32 v[51:52], v[33:34], v[31:32]
	v_fma_f64 v[21:22], v[21:22], v[15:16], v[53:54]
	v_fma_f64 v[15:16], v[19:20], v[15:16], -v[17:18]
	v_fma_f64 v[25:26], v[25:26], v[27:28], v[47:48]
	v_add_f64_e32 v[2:3], v[2:3], v[41:42]
	ds_load_b128 v[31:34], v4 offset:1536
	ds_load_b128 v[35:38], v12 offset:96
	ds_load_b128 v[39:42], v12 offset:112
	ds_load_b128 v[43:46], v4 offset:1792
	v_add_f64_e32 v[17:18], v[51:52], v[49:50]
	v_fma_f64 v[49:50], v[23:24], v[27:28], -v[29:30]
	s_wait_dscnt 0x2
	v_mul_f64_e32 v[53:54], v[35:36], v[33:34]
	v_mul_f64_e32 v[33:34], v[37:38], v[33:34]
	s_wait_dscnt 0x0
	v_mul_f64_e32 v[47:48], v[39:40], v[45:46]
	v_mul_f64_e32 v[45:46], v[41:42], v[45:46]
	v_add_f64_e32 v[2:3], v[2:3], v[21:22]
	v_add_f64_e32 v[51:52], v[17:18], v[15:16]
	v_fma_f64 v[37:38], v[37:38], v[31:32], v[53:54]
	v_fma_f64 v[31:32], v[35:36], v[31:32], -v[33:34]
	v_fma_f64 v[41:42], v[41:42], v[43:44], v[47:48]
	;; [unrolled: 18-line block ×5, first 2 shown]
	v_fma_f64 v[23:24], v[23:24], v[27:28], -v[29:30]
	v_add_f64_e32 v[2:3], v[2:3], v[41:42]
	ds_load_b128 v[31:34], v4 offset:3584
	ds_load_b128 v[35:38], v12 offset:224
	;; [unrolled: 1-line block ×4, first 2 shown]
	v_add_f64_e32 v[17:18], v[51:52], v[49:50]
	s_wait_dscnt 0x2
	v_mul_f64_e32 v[53:54], v[35:36], v[33:34]
	s_wait_dscnt 0x0
	v_mul_f64_e32 v[19:20], v[39:40], v[45:46]
	v_add_f64_e32 v[2:3], v[2:3], v[21:22]
	v_mul_f64_e32 v[21:22], v[37:38], v[33:34]
	v_add_f64_e32 v[15:16], v[17:18], v[15:16]
	v_mul_f64_e32 v[17:18], v[41:42], v[45:46]
	v_fma_f64 v[33:34], v[37:38], v[31:32], v[53:54]
	v_fma_f64 v[19:20], v[41:42], v[43:44], v[19:20]
	v_add_f64_e32 v[2:3], v[2:3], v[25:26]
	v_fma_f64 v[21:22], v[35:36], v[31:32], -v[21:22]
	v_add_f64_e32 v[15:16], v[15:16], v[23:24]
	v_fma_f64 v[17:18], v[39:40], v[43:44], -v[17:18]
	s_delay_alu instid0(VALU_DEP_4) | instskip(NEXT) | instid1(VALU_DEP_3)
	v_add_f64_e32 v[2:3], v[2:3], v[33:34]
	v_add_f64_e32 v[15:16], v[15:16], v[21:22]
	s_delay_alu instid0(VALU_DEP_2) | instskip(NEXT) | instid1(VALU_DEP_2)
	v_add_f64_e32 v[2:3], v[2:3], v[19:20]
	v_add_f64_e32 v[15:16], v[15:16], v[17:18]
	s_delay_alu instid0(VALU_DEP_2) | instskip(SKIP_1) | instid1(VALU_DEP_2)
	v_mul_f64_e32 v[17:18], s[24:25], v[2:3]
	v_mul_f64_e32 v[2:3], s[26:27], v[2:3]
	v_fma_f64 v[17:18], s[26:27], v[15:16], v[17:18]
	s_delay_alu instid0(VALU_DEP_2)
	v_fma_f64 v[15:16], s[24:25], v[15:16], -v[2:3]
	s_wait_alu 0xfffe
	v_add_co_u32 v2, vcc_lo, v13, s12
	s_wait_alu 0xfffd
	v_add_co_ci_u32_e64 v3, null, s13, v14, vcc_lo
	global_store_b128 v[2:3], v[15:18], off
	s_branch .LBB135_2
.LBB135_19:
	s_endpgm
	.section	.rodata,"a",@progbits
	.p2align	6, 0x0
	.amdhsa_kernel _ZL23rocblas_trmm_lTx_kernelILi16ELb0E19rocblas_complex_numIdES1_KS1_S1_Ev13rocblas_fill_17rocblas_diagonal_iiT2_lPT3_llS7_llPT4_lli
		.amdhsa_group_segment_fixed_size 8192
		.amdhsa_private_segment_fixed_size 0
		.amdhsa_kernarg_size 116
		.amdhsa_user_sgpr_count 2
		.amdhsa_user_sgpr_dispatch_ptr 0
		.amdhsa_user_sgpr_queue_ptr 0
		.amdhsa_user_sgpr_kernarg_segment_ptr 1
		.amdhsa_user_sgpr_dispatch_id 0
		.amdhsa_user_sgpr_private_segment_size 0
		.amdhsa_wavefront_size32 1
		.amdhsa_uses_dynamic_stack 0
		.amdhsa_enable_private_segment 0
		.amdhsa_system_sgpr_workgroup_id_x 1
		.amdhsa_system_sgpr_workgroup_id_y 0
		.amdhsa_system_sgpr_workgroup_id_z 1
		.amdhsa_system_sgpr_workgroup_info 0
		.amdhsa_system_vgpr_workitem_id 1
		.amdhsa_next_free_vgpr 55
		.amdhsa_next_free_sgpr 34
		.amdhsa_reserve_vcc 1
		.amdhsa_float_round_mode_32 0
		.amdhsa_float_round_mode_16_64 0
		.amdhsa_float_denorm_mode_32 3
		.amdhsa_float_denorm_mode_16_64 3
		.amdhsa_fp16_overflow 0
		.amdhsa_workgroup_processor_mode 1
		.amdhsa_memory_ordered 1
		.amdhsa_forward_progress 1
		.amdhsa_inst_pref_size 16
		.amdhsa_round_robin_scheduling 0
		.amdhsa_exception_fp_ieee_invalid_op 0
		.amdhsa_exception_fp_denorm_src 0
		.amdhsa_exception_fp_ieee_div_zero 0
		.amdhsa_exception_fp_ieee_overflow 0
		.amdhsa_exception_fp_ieee_underflow 0
		.amdhsa_exception_fp_ieee_inexact 0
		.amdhsa_exception_int_div_zero 0
	.end_amdhsa_kernel
	.section	.text._ZL23rocblas_trmm_lTx_kernelILi16ELb0E19rocblas_complex_numIdES1_KS1_S1_Ev13rocblas_fill_17rocblas_diagonal_iiT2_lPT3_llS7_llPT4_lli,"axG",@progbits,_ZL23rocblas_trmm_lTx_kernelILi16ELb0E19rocblas_complex_numIdES1_KS1_S1_Ev13rocblas_fill_17rocblas_diagonal_iiT2_lPT3_llS7_llPT4_lli,comdat
.Lfunc_end135:
	.size	_ZL23rocblas_trmm_lTx_kernelILi16ELb0E19rocblas_complex_numIdES1_KS1_S1_Ev13rocblas_fill_17rocblas_diagonal_iiT2_lPT3_llS7_llPT4_lli, .Lfunc_end135-_ZL23rocblas_trmm_lTx_kernelILi16ELb0E19rocblas_complex_numIdES1_KS1_S1_Ev13rocblas_fill_17rocblas_diagonal_iiT2_lPT3_llS7_llPT4_lli
                                        ; -- End function
	.set _ZL23rocblas_trmm_lTx_kernelILi16ELb0E19rocblas_complex_numIdES1_KS1_S1_Ev13rocblas_fill_17rocblas_diagonal_iiT2_lPT3_llS7_llPT4_lli.num_vgpr, 55
	.set _ZL23rocblas_trmm_lTx_kernelILi16ELb0E19rocblas_complex_numIdES1_KS1_S1_Ev13rocblas_fill_17rocblas_diagonal_iiT2_lPT3_llS7_llPT4_lli.num_agpr, 0
	.set _ZL23rocblas_trmm_lTx_kernelILi16ELb0E19rocblas_complex_numIdES1_KS1_S1_Ev13rocblas_fill_17rocblas_diagonal_iiT2_lPT3_llS7_llPT4_lli.numbered_sgpr, 34
	.set _ZL23rocblas_trmm_lTx_kernelILi16ELb0E19rocblas_complex_numIdES1_KS1_S1_Ev13rocblas_fill_17rocblas_diagonal_iiT2_lPT3_llS7_llPT4_lli.num_named_barrier, 0
	.set _ZL23rocblas_trmm_lTx_kernelILi16ELb0E19rocblas_complex_numIdES1_KS1_S1_Ev13rocblas_fill_17rocblas_diagonal_iiT2_lPT3_llS7_llPT4_lli.private_seg_size, 0
	.set _ZL23rocblas_trmm_lTx_kernelILi16ELb0E19rocblas_complex_numIdES1_KS1_S1_Ev13rocblas_fill_17rocblas_diagonal_iiT2_lPT3_llS7_llPT4_lli.uses_vcc, 1
	.set _ZL23rocblas_trmm_lTx_kernelILi16ELb0E19rocblas_complex_numIdES1_KS1_S1_Ev13rocblas_fill_17rocblas_diagonal_iiT2_lPT3_llS7_llPT4_lli.uses_flat_scratch, 0
	.set _ZL23rocblas_trmm_lTx_kernelILi16ELb0E19rocblas_complex_numIdES1_KS1_S1_Ev13rocblas_fill_17rocblas_diagonal_iiT2_lPT3_llS7_llPT4_lli.has_dyn_sized_stack, 0
	.set _ZL23rocblas_trmm_lTx_kernelILi16ELb0E19rocblas_complex_numIdES1_KS1_S1_Ev13rocblas_fill_17rocblas_diagonal_iiT2_lPT3_llS7_llPT4_lli.has_recursion, 0
	.set _ZL23rocblas_trmm_lTx_kernelILi16ELb0E19rocblas_complex_numIdES1_KS1_S1_Ev13rocblas_fill_17rocblas_diagonal_iiT2_lPT3_llS7_llPT4_lli.has_indirect_call, 0
	.section	.AMDGPU.csdata,"",@progbits
; Kernel info:
; codeLenInByte = 1940
; TotalNumSgprs: 36
; NumVgprs: 55
; ScratchSize: 0
; MemoryBound: 0
; FloatMode: 240
; IeeeMode: 1
; LDSByteSize: 8192 bytes/workgroup (compile time only)
; SGPRBlocks: 0
; VGPRBlocks: 6
; NumSGPRsForWavesPerEU: 36
; NumVGPRsForWavesPerEU: 55
; Occupancy: 16
; WaveLimiterHint : 1
; COMPUTE_PGM_RSRC2:SCRATCH_EN: 0
; COMPUTE_PGM_RSRC2:USER_SGPR: 2
; COMPUTE_PGM_RSRC2:TRAP_HANDLER: 0
; COMPUTE_PGM_RSRC2:TGID_X_EN: 1
; COMPUTE_PGM_RSRC2:TGID_Y_EN: 0
; COMPUTE_PGM_RSRC2:TGID_Z_EN: 1
; COMPUTE_PGM_RSRC2:TIDIG_COMP_CNT: 1
	.section	.text._ZL23rocblas_trmm_lTx_kernelILi16ELb1E19rocblas_complex_numIdEPKS1_S2_S1_Ev13rocblas_fill_17rocblas_diagonal_iiT2_lPT3_llS8_llPT4_lli,"axG",@progbits,_ZL23rocblas_trmm_lTx_kernelILi16ELb1E19rocblas_complex_numIdEPKS1_S2_S1_Ev13rocblas_fill_17rocblas_diagonal_iiT2_lPT3_llS8_llPT4_lli,comdat
	.globl	_ZL23rocblas_trmm_lTx_kernelILi16ELb1E19rocblas_complex_numIdEPKS1_S2_S1_Ev13rocblas_fill_17rocblas_diagonal_iiT2_lPT3_llS8_llPT4_lli ; -- Begin function _ZL23rocblas_trmm_lTx_kernelILi16ELb1E19rocblas_complex_numIdEPKS1_S2_S1_Ev13rocblas_fill_17rocblas_diagonal_iiT2_lPT3_llS8_llPT4_lli
	.p2align	8
	.type	_ZL23rocblas_trmm_lTx_kernelILi16ELb1E19rocblas_complex_numIdEPKS1_S2_S1_Ev13rocblas_fill_17rocblas_diagonal_iiT2_lPT3_llS8_llPT4_lli,@function
_ZL23rocblas_trmm_lTx_kernelILi16ELb1E19rocblas_complex_numIdEPKS1_S2_S1_Ev13rocblas_fill_17rocblas_diagonal_iiT2_lPT3_llS8_llPT4_lli: ; @_ZL23rocblas_trmm_lTx_kernelILi16ELb1E19rocblas_complex_numIdEPKS1_S2_S1_Ev13rocblas_fill_17rocblas_diagonal_iiT2_lPT3_llS8_llPT4_lli
; %bb.0:
	s_load_b32 s3, s[0:1], 0x68
	s_lshr_b32 s28, ttmp7, 16
	s_wait_kmcnt 0x0
	s_cmp_ge_u32 s28, s3
	s_cbranch_scc1 .LBB136_19
; %bb.1:
	s_clause 0x3
	s_load_b128 s[20:23], s[0:1], 0x0
	s_load_b512 s[4:19], s[0:1], 0x10
	s_load_b128 s[24:27], s[0:1], 0x50
	s_load_b64 s[30:31], s[0:1], 0x60
	v_bfe_u32 v7, v0, 10, 10
	v_dual_mov_b32 v0, 0 :: v_dual_and_b32 v15, 0x3ff, v0
	s_mov_b32 s29, 0
	s_delay_alu instid0(VALU_DEP_2)
	v_lshlrev_b32_e32 v18, 4, v7
	s_wait_kmcnt 0x0
	s_add_co_i32 s1, s23, -1
	v_mad_co_u64_u32 v[1:2], null, s10, v7, 0
	v_mad_co_u64_u32 v[3:4], null, s16, v7, 0
	;; [unrolled: 1-line block ×3, first 2 shown]
	s_ashr_i32 s0, s1, 31
	v_cmp_gt_i32_e32 vcc_lo, s22, v7
	s_lshr_b32 s2, s0, 28
	v_cmp_gt_i32_e64 s0, s22, v15
	v_mad_co_u64_u32 v[11:12], null, s11, v7, v[2:3]
	v_lshlrev_b32_e32 v9, 4, v15
	v_mad_co_u64_u32 v[12:13], null, s17, v7, v[4:5]
	s_add_co_i32 s1, s1, s2
	v_lshlrev_b32_e32 v19, 8, v15
	s_ashr_i32 s2, s1, 4
	v_mov_b32_e32 v2, v11
	s_and_b32 s1, s1, -16
	s_delay_alu instid0(SALU_CYCLE_1) | instskip(SKIP_1) | instid1(VALU_DEP_1)
	s_sub_co_i32 s1, s23, s1
	s_cmp_ge_i32 ttmp9, s2
	v_lshlrev_b64_e32 v[1:2], 4, v[1:2]
	v_mov_b32_e32 v4, v12
	s_cselect_b32 s1, s1, 16
	s_lshl_b32 s22, ttmp9, 4
	s_and_b32 s10, vcc_lo, s0
	s_wait_alu 0xfffe
	s_ashr_i32 s23, s22, 31
	v_cmp_gt_i32_e32 vcc_lo, s1, v7
	v_add_co_u32 v11, s1, s8, v1
	s_wait_alu 0xfffe
	s_mul_u64 s[16:17], s[16:17], s[22:23]
	v_add_co_ci_u32_e64 v12, null, s9, v2, s1
	v_lshlrev_b64_e32 v[1:2], 4, v[3:4]
	v_mad_co_u64_u32 v[3:4], null, s27, v7, v[6:7]
	s_wait_alu 0xfffe
	s_lshl_b64 s[16:17], s[16:17], 4
	s_and_b32 s8, s0, vcc_lo
	s_wait_alu 0xfffe
	s_add_nc_u64 s[14:15], s[14:15], s[16:17]
	s_mul_u64 s[22:23], s[26:27], s[22:23]
	v_add_co_u32 v1, vcc_lo, s14, v1
	s_delay_alu instid0(VALU_DEP_1) | instskip(SKIP_1) | instid1(VALU_DEP_3)
	v_add_co_ci_u32_e64 v2, null, s15, v2, vcc_lo
	v_mov_b32_e32 v6, v3
	v_add_co_u32 v13, s0, v1, v9
	s_wait_alu 0xf1ff
	s_delay_alu instid0(VALU_DEP_3) | instskip(NEXT) | instid1(VALU_DEP_3)
	v_add_co_ci_u32_e64 v14, null, 0, v2, s0
	v_lshlrev_b64_e32 v[1:2], 4, v[5:6]
	s_wait_alu 0xfffe
	s_lshl_b64 s[22:23], s[22:23], 4
	v_cmp_eq_u32_e32 vcc_lo, v7, v15
	s_cmp_eq_u32 s21, 0x84
	s_wait_alu 0xfffe
	s_add_nc_u64 s[16:17], s[24:25], s[22:23]
	s_cselect_b32 s0, -1, 0
	v_add_co_u32 v11, s1, v11, v9
	s_wait_alu 0xfffe
	s_and_b32 s9, vcc_lo, s0
	v_add_co_u32 v1, vcc_lo, s16, v1
	s_wait_alu 0xfffd
	v_add_co_ci_u32_e64 v2, null, s17, v2, vcc_lo
	v_add_co_ci_u32_e64 v12, null, 0, v12, s1
	s_delay_alu instid0(VALU_DEP_3)
	v_add_co_u32 v16, vcc_lo, v1, v9
	v_mov_b32_e32 v1, 0x3ff00000
	v_add_lshl_u32 v8, v18, v15, 4
	v_cmp_lt_u32_e64 s0, v15, v7
	v_cmp_gt_u32_e64 s1, v15, v7
	v_lshl_add_u32 v15, v7, 8, 0x1000
	s_wait_alu 0xfffd
	v_add_co_ci_u32_e64 v17, null, 0, v2, vcc_lo
	v_add_nc_u32_e32 v10, 0x1000, v8
	v_add_nc_u32_e32 v18, v18, v19
	s_cmp_lg_u32 s20, 0x7a
	s_cselect_b32 s11, -1, 0
	s_branch .LBB136_4
.LBB136_2:                              ;   in Loop: Header=BB136_4 Depth=1
	s_or_b32 exec_lo, exec_lo, s2
.LBB136_3:                              ;   in Loop: Header=BB136_4 Depth=1
	s_add_co_i32 s28, s28, 0x10000
	s_delay_alu instid0(SALU_CYCLE_1)
	s_cmp_lt_u32 s28, s3
	s_cbranch_scc0 .LBB136_19
.LBB136_4:                              ; =>This Inner Loop Header: Depth=1
	s_mul_u64 s[14:15], s[6:7], s[28:29]
	s_wait_alu 0xfffe
	s_lshl_b64 s[14:15], s[14:15], 4
	s_wait_alu 0xfffe
	s_add_nc_u64 s[14:15], s[4:5], s[14:15]
	global_load_b128 v[4:7], v0, s[14:15]
	s_wait_loadcnt 0x0
	v_cmp_neq_f64_e32 vcc_lo, 0, v[4:5]
	v_cmp_neq_f64_e64 s2, 0, v[6:7]
	s_or_b32 s2, vcc_lo, s2
	s_delay_alu instid0(SALU_CYCLE_1)
	s_and_not1_b32 vcc_lo, exec_lo, s2
	s_wait_alu 0xfffe
	s_cbranch_vccnz .LBB136_3
; %bb.5:                                ;   in Loop: Header=BB136_4 Depth=1
	s_mov_b32 s20, s29
	s_mov_b32 s21, s29
	;; [unrolled: 1-line block ×4, first 2 shown]
	s_wait_alu 0xfffe
	v_dual_mov_b32 v19, s20 :: v_dual_mov_b32 v20, s21
	v_dual_mov_b32 v21, s22 :: v_dual_mov_b32 v22, s23
	ds_store_b128 v8, v[19:22]
	ds_store_b128 v10, v[19:22]
	s_wait_dscnt 0x0
	s_barrier_signal -1
	s_barrier_wait -1
	global_inv scope:SCOPE_SE
	s_and_saveexec_b32 s2, s10
	s_cbranch_execnz .LBB136_11
; %bb.6:                                ;   in Loop: Header=BB136_4 Depth=1
	s_or_b32 exec_lo, exec_lo, s2
	s_and_saveexec_b32 s2, s8
	s_cbranch_execnz .LBB136_12
.LBB136_7:                              ;   in Loop: Header=BB136_4 Depth=1
	s_or_b32 exec_lo, exec_lo, s2
	s_and_saveexec_b32 s2, s9
.LBB136_8:                              ;   in Loop: Header=BB136_4 Depth=1
	v_dual_mov_b32 v2, v0 :: v_dual_mov_b32 v3, v0
	ds_store_b128 v8, v[0:3]
.LBB136_9:                              ;   in Loop: Header=BB136_4 Depth=1
	s_or_b32 exec_lo, exec_lo, s2
	s_delay_alu instid0(SALU_CYCLE_1)
	s_and_b32 vcc_lo, exec_lo, s11
	s_wait_loadcnt_dscnt 0x0
	s_barrier_signal -1
	s_barrier_wait -1
	global_inv scope:SCOPE_SE
	s_wait_alu 0xfffe
	s_cbranch_vccz .LBB136_13
; %bb.10:                               ;   in Loop: Header=BB136_4 Depth=1
	s_and_b32 s2, s0, exec_lo
	s_cbranch_execz .LBB136_14
	s_branch .LBB136_15
.LBB136_11:                             ;   in Loop: Header=BB136_4 Depth=1
	s_mul_u64 s[14:15], s[12:13], s[28:29]
	s_wait_alu 0xfffe
	s_lshl_b64 s[14:15], s[14:15], 4
	s_wait_alu 0xfffe
	v_add_co_u32 v2, vcc_lo, v11, s14
	s_wait_alu 0xfffd
	v_add_co_ci_u32_e64 v3, null, s15, v12, vcc_lo
	global_load_b128 v[19:22], v[2:3], off
	s_wait_loadcnt 0x0
	v_xor_b32_e32 v22, 0x80000000, v22
	ds_store_b128 v18, v[19:22]
	s_or_b32 exec_lo, exec_lo, s2
	s_and_saveexec_b32 s2, s8
	s_cbranch_execz .LBB136_7
.LBB136_12:                             ;   in Loop: Header=BB136_4 Depth=1
	s_mul_u64 s[14:15], s[18:19], s[28:29]
	s_wait_alu 0xfffe
	s_lshl_b64 s[14:15], s[14:15], 4
	s_wait_alu 0xfffe
	v_add_co_u32 v2, vcc_lo, v13, s14
	s_wait_alu 0xfffd
	v_add_co_ci_u32_e64 v3, null, s15, v14, vcc_lo
	global_load_b128 v[19:22], v[2:3], off
	s_wait_loadcnt 0x0
	ds_store_2addr_b64 v10, v[19:20], v[21:22] offset1:1
	s_or_b32 exec_lo, exec_lo, s2
	s_and_saveexec_b32 s2, s9
	s_cbranch_execnz .LBB136_8
	s_branch .LBB136_9
.LBB136_13:                             ;   in Loop: Header=BB136_4 Depth=1
	s_mov_b32 s2, 0
.LBB136_14:                             ;   in Loop: Header=BB136_4 Depth=1
	s_delay_alu instid0(SALU_CYCLE_1)
	s_and_not1_b32 s2, s2, exec_lo
	s_and_b32 s14, s1, exec_lo
	s_wait_alu 0xfffe
	s_or_b32 s2, s2, s14
.LBB136_15:                             ;   in Loop: Header=BB136_4 Depth=1
	s_delay_alu instid0(SALU_CYCLE_1)
	s_and_saveexec_b32 s14, s2
; %bb.16:                               ;   in Loop: Header=BB136_4 Depth=1
	v_dual_mov_b32 v19, v0 :: v_dual_mov_b32 v20, v0
	v_dual_mov_b32 v21, v0 :: v_dual_mov_b32 v22, v0
	ds_store_b128 v8, v[19:22]
; %bb.17:                               ;   in Loop: Header=BB136_4 Depth=1
	s_wait_alu 0xfffe
	s_or_b32 exec_lo, exec_lo, s14
	s_wait_loadcnt_dscnt 0x0
	s_barrier_signal -1
	s_barrier_wait -1
	global_inv scope:SCOPE_SE
	s_and_saveexec_b32 s2, s8
	s_cbranch_execz .LBB136_2
; %bb.18:                               ;   in Loop: Header=BB136_4 Depth=1
	ds_load_b128 v[19:22], v9
	ds_load_b128 v[23:26], v15
	ds_load_b128 v[27:30], v15 offset:16
	ds_load_b128 v[31:34], v9 offset:256
	;; [unrolled: 1-line block ×6, first 2 shown]
	s_mul_u64 s[14:15], s[30:31], s[28:29]
	s_wait_alu 0xfffe
	s_lshl_b64 s[14:15], s[14:15], 4
	s_wait_dscnt 0x6
	v_mul_f64_e32 v[2:3], v[23:24], v[21:22]
	v_mul_f64_e32 v[21:22], v[25:26], v[21:22]
	s_wait_dscnt 0x4
	v_mul_f64_e32 v[51:52], v[27:28], v[33:34]
	v_mul_f64_e32 v[33:34], v[29:30], v[33:34]
	s_delay_alu instid0(VALU_DEP_4) | instskip(SKIP_2) | instid1(VALU_DEP_4)
	v_fma_f64 v[2:3], v[25:26], v[19:20], v[2:3]
	s_wait_dscnt 0x2
	v_mul_f64_e32 v[25:26], v[39:40], v[37:38]
	v_fma_f64 v[29:30], v[29:30], v[31:32], v[51:52]
	v_fma_f64 v[19:20], v[23:24], v[19:20], -v[21:22]
	s_wait_dscnt 0x0
	v_mul_f64_e32 v[51:52], v[43:44], v[49:50]
	v_mul_f64_e32 v[37:38], v[41:42], v[37:38]
	v_fma_f64 v[53:54], v[27:28], v[31:32], -v[33:34]
	v_mul_f64_e32 v[49:50], v[45:46], v[49:50]
	v_add_f64_e32 v[2:3], 0, v[2:3]
	v_fma_f64 v[41:42], v[41:42], v[35:36], v[25:26]
	v_add_f64_e32 v[55:56], 0, v[19:20]
	v_fma_f64 v[45:46], v[45:46], v[47:48], v[51:52]
	v_fma_f64 v[35:36], v[39:40], v[35:36], -v[37:38]
	v_add_f64_e32 v[2:3], v[2:3], v[29:30]
	ds_load_b128 v[19:22], v9 offset:1024
	ds_load_b128 v[23:26], v15 offset:64
	ds_load_b128 v[27:30], v15 offset:80
	ds_load_b128 v[31:34], v9 offset:1280
	v_add_f64_e32 v[37:38], v[55:56], v[53:54]
	v_fma_f64 v[53:54], v[43:44], v[47:48], -v[49:50]
	s_wait_dscnt 0x2
	v_mul_f64_e32 v[57:58], v[23:24], v[21:22]
	v_mul_f64_e32 v[21:22], v[25:26], v[21:22]
	s_wait_dscnt 0x0
	v_mul_f64_e32 v[51:52], v[27:28], v[33:34]
	v_mul_f64_e32 v[33:34], v[29:30], v[33:34]
	v_add_f64_e32 v[2:3], v[2:3], v[41:42]
	v_add_f64_e32 v[55:56], v[37:38], v[35:36]
	v_fma_f64 v[25:26], v[25:26], v[19:20], v[57:58]
	v_fma_f64 v[19:20], v[23:24], v[19:20], -v[21:22]
	v_fma_f64 v[29:30], v[29:30], v[31:32], v[51:52]
	v_add_f64_e32 v[2:3], v[2:3], v[45:46]
	ds_load_b128 v[35:38], v9 offset:1536
	ds_load_b128 v[39:42], v15 offset:96
	ds_load_b128 v[43:46], v15 offset:112
	ds_load_b128 v[47:50], v9 offset:1792
	v_add_f64_e32 v[21:22], v[55:56], v[53:54]
	v_fma_f64 v[53:54], v[27:28], v[31:32], -v[33:34]
	s_wait_dscnt 0x2
	v_mul_f64_e32 v[57:58], v[39:40], v[37:38]
	v_mul_f64_e32 v[37:38], v[41:42], v[37:38]
	s_wait_dscnt 0x0
	v_mul_f64_e32 v[51:52], v[43:44], v[49:50]
	v_mul_f64_e32 v[49:50], v[45:46], v[49:50]
	v_add_f64_e32 v[2:3], v[2:3], v[25:26]
	v_add_f64_e32 v[55:56], v[21:22], v[19:20]
	v_fma_f64 v[41:42], v[41:42], v[35:36], v[57:58]
	v_fma_f64 v[35:36], v[39:40], v[35:36], -v[37:38]
	v_fma_f64 v[45:46], v[45:46], v[47:48], v[51:52]
	;; [unrolled: 18-line block ×5, first 2 shown]
	v_fma_f64 v[27:28], v[27:28], v[31:32], -v[33:34]
	v_add_f64_e32 v[2:3], v[2:3], v[45:46]
	ds_load_b128 v[35:38], v9 offset:3584
	ds_load_b128 v[39:42], v15 offset:224
	;; [unrolled: 1-line block ×4, first 2 shown]
	v_add_f64_e32 v[21:22], v[55:56], v[53:54]
	s_wait_dscnt 0x2
	v_mul_f64_e32 v[57:58], v[39:40], v[37:38]
	s_wait_dscnt 0x0
	v_mul_f64_e32 v[23:24], v[43:44], v[49:50]
	v_add_f64_e32 v[2:3], v[2:3], v[25:26]
	v_mul_f64_e32 v[25:26], v[41:42], v[37:38]
	v_add_f64_e32 v[19:20], v[21:22], v[19:20]
	v_mul_f64_e32 v[21:22], v[45:46], v[49:50]
	v_fma_f64 v[37:38], v[41:42], v[35:36], v[57:58]
	v_fma_f64 v[23:24], v[45:46], v[47:48], v[23:24]
	v_add_f64_e32 v[2:3], v[2:3], v[29:30]
	v_fma_f64 v[25:26], v[39:40], v[35:36], -v[25:26]
	v_add_f64_e32 v[19:20], v[19:20], v[27:28]
	v_fma_f64 v[21:22], v[43:44], v[47:48], -v[21:22]
	s_delay_alu instid0(VALU_DEP_4) | instskip(NEXT) | instid1(VALU_DEP_3)
	v_add_f64_e32 v[2:3], v[2:3], v[37:38]
	v_add_f64_e32 v[19:20], v[19:20], v[25:26]
	s_delay_alu instid0(VALU_DEP_2) | instskip(NEXT) | instid1(VALU_DEP_2)
	v_add_f64_e32 v[2:3], v[2:3], v[23:24]
	v_add_f64_e32 v[19:20], v[19:20], v[21:22]
	s_delay_alu instid0(VALU_DEP_2) | instskip(SKIP_1) | instid1(VALU_DEP_2)
	v_mul_f64_e32 v[21:22], v[4:5], v[2:3]
	v_mul_f64_e32 v[2:3], v[6:7], v[2:3]
	v_fma_f64 v[6:7], v[6:7], v[19:20], v[21:22]
	s_delay_alu instid0(VALU_DEP_2)
	v_fma_f64 v[4:5], v[4:5], v[19:20], -v[2:3]
	s_wait_alu 0xfffe
	v_add_co_u32 v2, vcc_lo, v16, s14
	s_wait_alu 0xfffd
	v_add_co_ci_u32_e64 v3, null, s15, v17, vcc_lo
	global_store_b128 v[2:3], v[4:7], off
	s_branch .LBB136_2
.LBB136_19:
	s_endpgm
	.section	.rodata,"a",@progbits
	.p2align	6, 0x0
	.amdhsa_kernel _ZL23rocblas_trmm_lTx_kernelILi16ELb1E19rocblas_complex_numIdEPKS1_S2_S1_Ev13rocblas_fill_17rocblas_diagonal_iiT2_lPT3_llS8_llPT4_lli
		.amdhsa_group_segment_fixed_size 8192
		.amdhsa_private_segment_fixed_size 0
		.amdhsa_kernarg_size 108
		.amdhsa_user_sgpr_count 2
		.amdhsa_user_sgpr_dispatch_ptr 0
		.amdhsa_user_sgpr_queue_ptr 0
		.amdhsa_user_sgpr_kernarg_segment_ptr 1
		.amdhsa_user_sgpr_dispatch_id 0
		.amdhsa_user_sgpr_private_segment_size 0
		.amdhsa_wavefront_size32 1
		.amdhsa_uses_dynamic_stack 0
		.amdhsa_enable_private_segment 0
		.amdhsa_system_sgpr_workgroup_id_x 1
		.amdhsa_system_sgpr_workgroup_id_y 0
		.amdhsa_system_sgpr_workgroup_id_z 1
		.amdhsa_system_sgpr_workgroup_info 0
		.amdhsa_system_vgpr_workitem_id 1
		.amdhsa_next_free_vgpr 59
		.amdhsa_next_free_sgpr 32
		.amdhsa_reserve_vcc 1
		.amdhsa_float_round_mode_32 0
		.amdhsa_float_round_mode_16_64 0
		.amdhsa_float_denorm_mode_32 3
		.amdhsa_float_denorm_mode_16_64 3
		.amdhsa_fp16_overflow 0
		.amdhsa_workgroup_processor_mode 1
		.amdhsa_memory_ordered 1
		.amdhsa_forward_progress 1
		.amdhsa_inst_pref_size 16
		.amdhsa_round_robin_scheduling 0
		.amdhsa_exception_fp_ieee_invalid_op 0
		.amdhsa_exception_fp_denorm_src 0
		.amdhsa_exception_fp_ieee_div_zero 0
		.amdhsa_exception_fp_ieee_overflow 0
		.amdhsa_exception_fp_ieee_underflow 0
		.amdhsa_exception_fp_ieee_inexact 0
		.amdhsa_exception_int_div_zero 0
	.end_amdhsa_kernel
	.section	.text._ZL23rocblas_trmm_lTx_kernelILi16ELb1E19rocblas_complex_numIdEPKS1_S2_S1_Ev13rocblas_fill_17rocblas_diagonal_iiT2_lPT3_llS8_llPT4_lli,"axG",@progbits,_ZL23rocblas_trmm_lTx_kernelILi16ELb1E19rocblas_complex_numIdEPKS1_S2_S1_Ev13rocblas_fill_17rocblas_diagonal_iiT2_lPT3_llS8_llPT4_lli,comdat
.Lfunc_end136:
	.size	_ZL23rocblas_trmm_lTx_kernelILi16ELb1E19rocblas_complex_numIdEPKS1_S2_S1_Ev13rocblas_fill_17rocblas_diagonal_iiT2_lPT3_llS8_llPT4_lli, .Lfunc_end136-_ZL23rocblas_trmm_lTx_kernelILi16ELb1E19rocblas_complex_numIdEPKS1_S2_S1_Ev13rocblas_fill_17rocblas_diagonal_iiT2_lPT3_llS8_llPT4_lli
                                        ; -- End function
	.set _ZL23rocblas_trmm_lTx_kernelILi16ELb1E19rocblas_complex_numIdEPKS1_S2_S1_Ev13rocblas_fill_17rocblas_diagonal_iiT2_lPT3_llS8_llPT4_lli.num_vgpr, 59
	.set _ZL23rocblas_trmm_lTx_kernelILi16ELb1E19rocblas_complex_numIdEPKS1_S2_S1_Ev13rocblas_fill_17rocblas_diagonal_iiT2_lPT3_llS8_llPT4_lli.num_agpr, 0
	.set _ZL23rocblas_trmm_lTx_kernelILi16ELb1E19rocblas_complex_numIdEPKS1_S2_S1_Ev13rocblas_fill_17rocblas_diagonal_iiT2_lPT3_llS8_llPT4_lli.numbered_sgpr, 32
	.set _ZL23rocblas_trmm_lTx_kernelILi16ELb1E19rocblas_complex_numIdEPKS1_S2_S1_Ev13rocblas_fill_17rocblas_diagonal_iiT2_lPT3_llS8_llPT4_lli.num_named_barrier, 0
	.set _ZL23rocblas_trmm_lTx_kernelILi16ELb1E19rocblas_complex_numIdEPKS1_S2_S1_Ev13rocblas_fill_17rocblas_diagonal_iiT2_lPT3_llS8_llPT4_lli.private_seg_size, 0
	.set _ZL23rocblas_trmm_lTx_kernelILi16ELb1E19rocblas_complex_numIdEPKS1_S2_S1_Ev13rocblas_fill_17rocblas_diagonal_iiT2_lPT3_llS8_llPT4_lli.uses_vcc, 1
	.set _ZL23rocblas_trmm_lTx_kernelILi16ELb1E19rocblas_complex_numIdEPKS1_S2_S1_Ev13rocblas_fill_17rocblas_diagonal_iiT2_lPT3_llS8_llPT4_lli.uses_flat_scratch, 0
	.set _ZL23rocblas_trmm_lTx_kernelILi16ELb1E19rocblas_complex_numIdEPKS1_S2_S1_Ev13rocblas_fill_17rocblas_diagonal_iiT2_lPT3_llS8_llPT4_lli.has_dyn_sized_stack, 0
	.set _ZL23rocblas_trmm_lTx_kernelILi16ELb1E19rocblas_complex_numIdEPKS1_S2_S1_Ev13rocblas_fill_17rocblas_diagonal_iiT2_lPT3_llS8_llPT4_lli.has_recursion, 0
	.set _ZL23rocblas_trmm_lTx_kernelILi16ELb1E19rocblas_complex_numIdEPKS1_S2_S1_Ev13rocblas_fill_17rocblas_diagonal_iiT2_lPT3_llS8_llPT4_lli.has_indirect_call, 0
	.section	.AMDGPU.csdata,"",@progbits
; Kernel info:
; codeLenInByte = 1964
; TotalNumSgprs: 34
; NumVgprs: 59
; ScratchSize: 0
; MemoryBound: 0
; FloatMode: 240
; IeeeMode: 1
; LDSByteSize: 8192 bytes/workgroup (compile time only)
; SGPRBlocks: 0
; VGPRBlocks: 7
; NumSGPRsForWavesPerEU: 34
; NumVGPRsForWavesPerEU: 59
; Occupancy: 16
; WaveLimiterHint : 0
; COMPUTE_PGM_RSRC2:SCRATCH_EN: 0
; COMPUTE_PGM_RSRC2:USER_SGPR: 2
; COMPUTE_PGM_RSRC2:TRAP_HANDLER: 0
; COMPUTE_PGM_RSRC2:TGID_X_EN: 1
; COMPUTE_PGM_RSRC2:TGID_Y_EN: 0
; COMPUTE_PGM_RSRC2:TGID_Z_EN: 1
; COMPUTE_PGM_RSRC2:TIDIG_COMP_CNT: 1
	.section	.text._ZL23rocblas_trmm_lTx_kernelILi16ELb1E19rocblas_complex_numIdES1_KS1_S1_Ev13rocblas_fill_17rocblas_diagonal_iiT2_lPT3_llS7_llPT4_lli,"axG",@progbits,_ZL23rocblas_trmm_lTx_kernelILi16ELb1E19rocblas_complex_numIdES1_KS1_S1_Ev13rocblas_fill_17rocblas_diagonal_iiT2_lPT3_llS7_llPT4_lli,comdat
	.globl	_ZL23rocblas_trmm_lTx_kernelILi16ELb1E19rocblas_complex_numIdES1_KS1_S1_Ev13rocblas_fill_17rocblas_diagonal_iiT2_lPT3_llS7_llPT4_lli ; -- Begin function _ZL23rocblas_trmm_lTx_kernelILi16ELb1E19rocblas_complex_numIdES1_KS1_S1_Ev13rocblas_fill_17rocblas_diagonal_iiT2_lPT3_llS7_llPT4_lli
	.p2align	8
	.type	_ZL23rocblas_trmm_lTx_kernelILi16ELb1E19rocblas_complex_numIdES1_KS1_S1_Ev13rocblas_fill_17rocblas_diagonal_iiT2_lPT3_llS7_llPT4_lli,@function
_ZL23rocblas_trmm_lTx_kernelILi16ELb1E19rocblas_complex_numIdES1_KS1_S1_Ev13rocblas_fill_17rocblas_diagonal_iiT2_lPT3_llS7_llPT4_lli: ; @_ZL23rocblas_trmm_lTx_kernelILi16ELb1E19rocblas_complex_numIdES1_KS1_S1_Ev13rocblas_fill_17rocblas_diagonal_iiT2_lPT3_llS7_llPT4_lli
; %bb.0:
	s_load_b32 s3, s[0:1], 0x70
	s_lshr_b32 s28, ttmp7, 16
	s_wait_kmcnt 0x0
	s_cmp_ge_u32 s28, s3
	s_cbranch_scc1 .LBB137_19
; %bb.1:
	s_clause 0x1
	s_load_b256 s[20:27], s[0:1], 0x0
	s_load_b512 s[4:19], s[0:1], 0x28
	v_bfe_u32 v13, v0, 10, 10
	v_and_b32_e32 v14, 0x3ff, v0
	s_load_b64 s[30:31], s[0:1], 0x68
	s_wait_kmcnt 0x0
	v_cmp_neq_f64_e64 s29, s[24:25], 0
	v_cmp_neq_f64_e64 s33, s[26:27], 0
	v_mad_co_u64_u32 v[0:1], null, s6, v13, 0
	v_mad_co_u64_u32 v[2:3], null, s12, v13, 0
	;; [unrolled: 1-line block ×3, first 2 shown]
	s_add_co_i32 s1, s23, -1
	s_delay_alu instid0(SALU_CYCLE_1) | instskip(SKIP_4) | instid1(SALU_CYCLE_1)
	s_ashr_i32 s0, s1, 31
	v_mad_co_u64_u32 v[9:10], null, s7, v13, v[1:2]
	s_lshr_b32 s2, s0, 28
	v_cmp_gt_i32_e64 s0, s22, v13
	s_add_co_i32 s2, s1, s2
	s_and_b32 s6, s2, -16
	s_ashr_i32 s7, s2, 4
	v_dual_mov_b32 v1, v9 :: v_dual_lshlrev_b32 v4, 4, v14
	s_wait_alu 0xfffe
	s_sub_co_i32 s6, s23, s6
	v_cmp_gt_i32_e64 s1, s22, v14
	v_cmp_eq_u32_e32 vcc_lo, v13, v14
	v_lshlrev_b64_e32 v[0:1], 4, v[0:1]
	v_mad_co_u64_u32 v[10:11], null, s13, v13, v[3:4]
	v_mad_co_u64_u32 v[11:12], null, s19, v13, v[8:9]
	v_lshlrev_b32_e32 v15, 4, v13
	s_delay_alu instid0(VALU_DEP_4) | instskip(NEXT) | instid1(VALU_DEP_1)
	v_add_co_u32 v0, s2, s4, v0
	v_add_co_ci_u32_e64 v1, null, s5, v1, s2
	s_delay_alu instid0(VALU_DEP_4) | instskip(NEXT) | instid1(VALU_DEP_4)
	v_dual_mov_b32 v3, v10 :: v_dual_mov_b32 v8, v11
	v_add_lshl_u32 v5, v15, v14, 4
	v_lshlrev_b32_e32 v16, 8, v14
	s_or_b32 s4, s29, s33
	s_cmp_ge_i32 ttmp9, s7
	v_lshlrev_b64_e32 v[11:12], 4, v[7:8]
	s_wait_alu 0xfffe
	s_cselect_b32 s5, s6, 16
	s_lshl_b32 s6, ttmp9, 4
	v_add_co_u32 v7, s2, v0, v4
	s_wait_alu 0xfffe
	s_ashr_i32 s7, s6, 31
	v_add_co_ci_u32_e64 v8, null, 0, v1, s2
	s_and_b32 s2, s0, s1
	v_cmp_gt_i32_e64 s0, s5, v13
	v_lshlrev_b64_e32 v[2:3], 4, v[2:3]
	s_wait_alu 0xfffe
	s_mul_u64 s[12:13], s[12:13], s[6:7]
	s_mul_u64 s[6:7], s[18:19], s[6:7]
	s_wait_alu 0xfffe
	s_lshl_b64 s[12:13], s[12:13], 4
	s_and_b32 s5, s1, s0
	s_wait_alu 0xfffe
	s_add_nc_u64 s[0:1], s[10:11], s[12:13]
	s_lshl_b64 s[6:7], s[6:7], 4
	v_add_co_u32 v0, s0, s0, v2
	s_cmp_eq_u32 s21, 0x84
	s_wait_alu 0xf1ff
	v_add_co_ci_u32_e64 v1, null, s1, v3, s0
	s_wait_alu 0xfffe
	s_add_nc_u64 s[10:11], s[16:17], s[6:7]
	s_cselect_b32 s6, -1, 0
	v_add_nc_u32_e32 v6, 0x1000, v5
	s_wait_alu 0xfffe
	s_and_b32 s6, vcc_lo, s6
	v_add_co_u32 v9, vcc_lo, v0, v4
	s_delay_alu instid0(VALU_DEP_1) | instskip(SKIP_4) | instid1(VALU_DEP_3)
	v_add_co_ci_u32_e64 v10, null, 0, v1, vcc_lo
	v_add_co_u32 v0, vcc_lo, s10, v11
	s_wait_alu 0xfffd
	v_add_co_ci_u32_e64 v1, null, s11, v12, vcc_lo
	v_cmp_lt_u32_e64 s0, v14, v13
	v_add_co_u32 v12, vcc_lo, v0, v4
	v_cmp_gt_u32_e64 s1, v14, v13
	v_lshl_add_u32 v11, v13, 8, 0x1000
	s_wait_alu 0xfffd
	v_add_co_ci_u32_e64 v13, null, 0, v1, vcc_lo
	v_dual_mov_b32 v0, 0 :: v_dual_mov_b32 v1, 0x3ff00000
	v_add_nc_u32_e32 v14, v15, v16
	s_cmp_lg_u32 s20, 0x7a
	s_mov_b32 s29, 0
	s_cselect_b32 s7, -1, 0
	s_branch .LBB137_4
.LBB137_2:                              ;   in Loop: Header=BB137_4 Depth=1
	s_wait_alu 0xfffe
	s_or_b32 exec_lo, exec_lo, s10
.LBB137_3:                              ;   in Loop: Header=BB137_4 Depth=1
	s_add_co_i32 s28, s28, 0x10000
	s_delay_alu instid0(SALU_CYCLE_1)
	s_cmp_lt_u32 s28, s3
	s_cbranch_scc0 .LBB137_19
.LBB137_4:                              ; =>This Inner Loop Header: Depth=1
	s_and_not1_b32 vcc_lo, exec_lo, s4
	s_wait_alu 0xfffe
	s_cbranch_vccnz .LBB137_3
; %bb.5:                                ;   in Loop: Header=BB137_4 Depth=1
	s_mov_b32 s16, s29
	s_mov_b32 s17, s29
	;; [unrolled: 1-line block ×4, first 2 shown]
	s_wait_alu 0xfffe
	v_dual_mov_b32 v15, s16 :: v_dual_mov_b32 v16, s17
	v_dual_mov_b32 v17, s18 :: v_dual_mov_b32 v18, s19
	ds_store_b128 v5, v[15:18]
	ds_store_b128 v6, v[15:18]
	s_wait_dscnt 0x0
	s_barrier_signal -1
	s_barrier_wait -1
	global_inv scope:SCOPE_SE
	s_and_saveexec_b32 s10, s2
	s_cbranch_execnz .LBB137_11
; %bb.6:                                ;   in Loop: Header=BB137_4 Depth=1
	s_wait_alu 0xfffe
	s_or_b32 exec_lo, exec_lo, s10
	s_and_saveexec_b32 s10, s5
	s_cbranch_execnz .LBB137_12
.LBB137_7:                              ;   in Loop: Header=BB137_4 Depth=1
	s_wait_alu 0xfffe
	s_or_b32 exec_lo, exec_lo, s10
	s_and_saveexec_b32 s10, s6
.LBB137_8:                              ;   in Loop: Header=BB137_4 Depth=1
	v_dual_mov_b32 v2, v0 :: v_dual_mov_b32 v3, v0
	ds_store_b128 v5, v[0:3]
.LBB137_9:                              ;   in Loop: Header=BB137_4 Depth=1
	s_wait_alu 0xfffe
	s_or_b32 exec_lo, exec_lo, s10
	s_delay_alu instid0(SALU_CYCLE_1)
	s_and_b32 vcc_lo, exec_lo, s7
	s_wait_loadcnt_dscnt 0x0
	s_barrier_signal -1
	s_barrier_wait -1
	global_inv scope:SCOPE_SE
	s_wait_alu 0xfffe
	s_cbranch_vccz .LBB137_13
; %bb.10:                               ;   in Loop: Header=BB137_4 Depth=1
	s_and_b32 s10, s0, exec_lo
	s_cbranch_execz .LBB137_14
	s_branch .LBB137_15
.LBB137_11:                             ;   in Loop: Header=BB137_4 Depth=1
	s_mul_u64 s[12:13], s[8:9], s[28:29]
	s_wait_alu 0xfffe
	s_lshl_b64 s[12:13], s[12:13], 4
	s_wait_alu 0xfffe
	v_add_co_u32 v2, vcc_lo, v7, s12
	s_wait_alu 0xfffd
	v_add_co_ci_u32_e64 v3, null, s13, v8, vcc_lo
	global_load_b128 v[15:18], v[2:3], off
	s_wait_loadcnt 0x0
	v_xor_b32_e32 v18, 0x80000000, v18
	ds_store_b128 v14, v[15:18]
	s_or_b32 exec_lo, exec_lo, s10
	s_and_saveexec_b32 s10, s5
	s_cbranch_execz .LBB137_7
.LBB137_12:                             ;   in Loop: Header=BB137_4 Depth=1
	s_mul_u64 s[12:13], s[14:15], s[28:29]
	s_wait_alu 0xfffe
	s_lshl_b64 s[12:13], s[12:13], 4
	s_wait_alu 0xfffe
	v_add_co_u32 v2, vcc_lo, v9, s12
	s_wait_alu 0xfffd
	v_add_co_ci_u32_e64 v3, null, s13, v10, vcc_lo
	global_load_b128 v[15:18], v[2:3], off
	s_wait_loadcnt 0x0
	ds_store_2addr_b64 v6, v[15:16], v[17:18] offset1:1
	s_or_b32 exec_lo, exec_lo, s10
	s_and_saveexec_b32 s10, s6
	s_cbranch_execnz .LBB137_8
	s_branch .LBB137_9
.LBB137_13:                             ;   in Loop: Header=BB137_4 Depth=1
	s_mov_b32 s10, 0
.LBB137_14:                             ;   in Loop: Header=BB137_4 Depth=1
	s_wait_alu 0xfffe
	s_and_not1_b32 s10, s10, exec_lo
	s_and_b32 s11, s1, exec_lo
	s_wait_alu 0xfffe
	s_or_b32 s10, s10, s11
.LBB137_15:                             ;   in Loop: Header=BB137_4 Depth=1
	s_wait_alu 0xfffe
	s_and_saveexec_b32 s11, s10
; %bb.16:                               ;   in Loop: Header=BB137_4 Depth=1
	v_dual_mov_b32 v15, v0 :: v_dual_mov_b32 v16, v0
	v_dual_mov_b32 v17, v0 :: v_dual_mov_b32 v18, v0
	ds_store_b128 v5, v[15:18]
; %bb.17:                               ;   in Loop: Header=BB137_4 Depth=1
	s_wait_alu 0xfffe
	s_or_b32 exec_lo, exec_lo, s11
	s_wait_loadcnt_dscnt 0x0
	s_barrier_signal -1
	s_barrier_wait -1
	global_inv scope:SCOPE_SE
	s_and_saveexec_b32 s10, s5
	s_cbranch_execz .LBB137_2
; %bb.18:                               ;   in Loop: Header=BB137_4 Depth=1
	ds_load_b128 v[15:18], v4
	ds_load_b128 v[19:22], v11
	ds_load_b128 v[23:26], v11 offset:16
	ds_load_b128 v[27:30], v4 offset:256
	;; [unrolled: 1-line block ×6, first 2 shown]
	s_mul_u64 s[12:13], s[30:31], s[28:29]
	s_wait_alu 0xfffe
	s_lshl_b64 s[12:13], s[12:13], 4
	s_wait_dscnt 0x6
	v_mul_f64_e32 v[2:3], v[19:20], v[17:18]
	v_mul_f64_e32 v[17:18], v[21:22], v[17:18]
	s_wait_dscnt 0x4
	v_mul_f64_e32 v[47:48], v[23:24], v[29:30]
	v_mul_f64_e32 v[29:30], v[25:26], v[29:30]
	s_delay_alu instid0(VALU_DEP_4) | instskip(SKIP_2) | instid1(VALU_DEP_4)
	v_fma_f64 v[2:3], v[21:22], v[15:16], v[2:3]
	s_wait_dscnt 0x2
	v_mul_f64_e32 v[21:22], v[35:36], v[33:34]
	v_fma_f64 v[25:26], v[25:26], v[27:28], v[47:48]
	v_fma_f64 v[15:16], v[19:20], v[15:16], -v[17:18]
	s_wait_dscnt 0x0
	v_mul_f64_e32 v[47:48], v[39:40], v[45:46]
	v_mul_f64_e32 v[33:34], v[37:38], v[33:34]
	v_fma_f64 v[49:50], v[23:24], v[27:28], -v[29:30]
	v_mul_f64_e32 v[45:46], v[41:42], v[45:46]
	v_add_f64_e32 v[2:3], 0, v[2:3]
	v_fma_f64 v[37:38], v[37:38], v[31:32], v[21:22]
	v_add_f64_e32 v[51:52], 0, v[15:16]
	v_fma_f64 v[41:42], v[41:42], v[43:44], v[47:48]
	v_fma_f64 v[31:32], v[35:36], v[31:32], -v[33:34]
	v_add_f64_e32 v[2:3], v[2:3], v[25:26]
	ds_load_b128 v[15:18], v4 offset:1024
	ds_load_b128 v[19:22], v11 offset:64
	ds_load_b128 v[23:26], v11 offset:80
	ds_load_b128 v[27:30], v4 offset:1280
	v_add_f64_e32 v[33:34], v[51:52], v[49:50]
	v_fma_f64 v[49:50], v[39:40], v[43:44], -v[45:46]
	s_wait_dscnt 0x2
	v_mul_f64_e32 v[53:54], v[19:20], v[17:18]
	v_mul_f64_e32 v[17:18], v[21:22], v[17:18]
	s_wait_dscnt 0x0
	v_mul_f64_e32 v[47:48], v[23:24], v[29:30]
	v_mul_f64_e32 v[29:30], v[25:26], v[29:30]
	v_add_f64_e32 v[2:3], v[2:3], v[37:38]
	v_add_f64_e32 v[51:52], v[33:34], v[31:32]
	v_fma_f64 v[21:22], v[21:22], v[15:16], v[53:54]
	v_fma_f64 v[15:16], v[19:20], v[15:16], -v[17:18]
	v_fma_f64 v[25:26], v[25:26], v[27:28], v[47:48]
	v_add_f64_e32 v[2:3], v[2:3], v[41:42]
	ds_load_b128 v[31:34], v4 offset:1536
	ds_load_b128 v[35:38], v11 offset:96
	ds_load_b128 v[39:42], v11 offset:112
	ds_load_b128 v[43:46], v4 offset:1792
	v_add_f64_e32 v[17:18], v[51:52], v[49:50]
	v_fma_f64 v[49:50], v[23:24], v[27:28], -v[29:30]
	s_wait_dscnt 0x2
	v_mul_f64_e32 v[53:54], v[35:36], v[33:34]
	v_mul_f64_e32 v[33:34], v[37:38], v[33:34]
	s_wait_dscnt 0x0
	v_mul_f64_e32 v[47:48], v[39:40], v[45:46]
	v_mul_f64_e32 v[45:46], v[41:42], v[45:46]
	v_add_f64_e32 v[2:3], v[2:3], v[21:22]
	v_add_f64_e32 v[51:52], v[17:18], v[15:16]
	v_fma_f64 v[37:38], v[37:38], v[31:32], v[53:54]
	v_fma_f64 v[31:32], v[35:36], v[31:32], -v[33:34]
	v_fma_f64 v[41:42], v[41:42], v[43:44], v[47:48]
	;; [unrolled: 18-line block ×5, first 2 shown]
	v_fma_f64 v[23:24], v[23:24], v[27:28], -v[29:30]
	v_add_f64_e32 v[2:3], v[2:3], v[41:42]
	ds_load_b128 v[31:34], v4 offset:3584
	ds_load_b128 v[35:38], v11 offset:224
	;; [unrolled: 1-line block ×4, first 2 shown]
	v_add_f64_e32 v[17:18], v[51:52], v[49:50]
	s_wait_dscnt 0x2
	v_mul_f64_e32 v[53:54], v[35:36], v[33:34]
	s_wait_dscnt 0x0
	v_mul_f64_e32 v[19:20], v[39:40], v[45:46]
	v_add_f64_e32 v[2:3], v[2:3], v[21:22]
	v_mul_f64_e32 v[21:22], v[37:38], v[33:34]
	v_add_f64_e32 v[15:16], v[17:18], v[15:16]
	v_mul_f64_e32 v[17:18], v[41:42], v[45:46]
	v_fma_f64 v[33:34], v[37:38], v[31:32], v[53:54]
	v_fma_f64 v[19:20], v[41:42], v[43:44], v[19:20]
	v_add_f64_e32 v[2:3], v[2:3], v[25:26]
	v_fma_f64 v[21:22], v[35:36], v[31:32], -v[21:22]
	v_add_f64_e32 v[15:16], v[15:16], v[23:24]
	v_fma_f64 v[17:18], v[39:40], v[43:44], -v[17:18]
	s_delay_alu instid0(VALU_DEP_4) | instskip(NEXT) | instid1(VALU_DEP_3)
	v_add_f64_e32 v[2:3], v[2:3], v[33:34]
	v_add_f64_e32 v[15:16], v[15:16], v[21:22]
	s_delay_alu instid0(VALU_DEP_2) | instskip(NEXT) | instid1(VALU_DEP_2)
	v_add_f64_e32 v[2:3], v[2:3], v[19:20]
	v_add_f64_e32 v[15:16], v[15:16], v[17:18]
	s_delay_alu instid0(VALU_DEP_2) | instskip(SKIP_1) | instid1(VALU_DEP_2)
	v_mul_f64_e32 v[17:18], s[24:25], v[2:3]
	v_mul_f64_e32 v[2:3], s[26:27], v[2:3]
	v_fma_f64 v[17:18], s[26:27], v[15:16], v[17:18]
	s_delay_alu instid0(VALU_DEP_2)
	v_fma_f64 v[15:16], s[24:25], v[15:16], -v[2:3]
	s_wait_alu 0xfffe
	v_add_co_u32 v2, vcc_lo, v12, s12
	s_wait_alu 0xfffd
	v_add_co_ci_u32_e64 v3, null, s13, v13, vcc_lo
	global_store_b128 v[2:3], v[15:18], off
	s_branch .LBB137_2
.LBB137_19:
	s_endpgm
	.section	.rodata,"a",@progbits
	.p2align	6, 0x0
	.amdhsa_kernel _ZL23rocblas_trmm_lTx_kernelILi16ELb1E19rocblas_complex_numIdES1_KS1_S1_Ev13rocblas_fill_17rocblas_diagonal_iiT2_lPT3_llS7_llPT4_lli
		.amdhsa_group_segment_fixed_size 8192
		.amdhsa_private_segment_fixed_size 0
		.amdhsa_kernarg_size 116
		.amdhsa_user_sgpr_count 2
		.amdhsa_user_sgpr_dispatch_ptr 0
		.amdhsa_user_sgpr_queue_ptr 0
		.amdhsa_user_sgpr_kernarg_segment_ptr 1
		.amdhsa_user_sgpr_dispatch_id 0
		.amdhsa_user_sgpr_private_segment_size 0
		.amdhsa_wavefront_size32 1
		.amdhsa_uses_dynamic_stack 0
		.amdhsa_enable_private_segment 0
		.amdhsa_system_sgpr_workgroup_id_x 1
		.amdhsa_system_sgpr_workgroup_id_y 0
		.amdhsa_system_sgpr_workgroup_id_z 1
		.amdhsa_system_sgpr_workgroup_info 0
		.amdhsa_system_vgpr_workitem_id 1
		.amdhsa_next_free_vgpr 55
		.amdhsa_next_free_sgpr 34
		.amdhsa_reserve_vcc 1
		.amdhsa_float_round_mode_32 0
		.amdhsa_float_round_mode_16_64 0
		.amdhsa_float_denorm_mode_32 3
		.amdhsa_float_denorm_mode_16_64 3
		.amdhsa_fp16_overflow 0
		.amdhsa_workgroup_processor_mode 1
		.amdhsa_memory_ordered 1
		.amdhsa_forward_progress 1
		.amdhsa_inst_pref_size 16
		.amdhsa_round_robin_scheduling 0
		.amdhsa_exception_fp_ieee_invalid_op 0
		.amdhsa_exception_fp_denorm_src 0
		.amdhsa_exception_fp_ieee_div_zero 0
		.amdhsa_exception_fp_ieee_overflow 0
		.amdhsa_exception_fp_ieee_underflow 0
		.amdhsa_exception_fp_ieee_inexact 0
		.amdhsa_exception_int_div_zero 0
	.end_amdhsa_kernel
	.section	.text._ZL23rocblas_trmm_lTx_kernelILi16ELb1E19rocblas_complex_numIdES1_KS1_S1_Ev13rocblas_fill_17rocblas_diagonal_iiT2_lPT3_llS7_llPT4_lli,"axG",@progbits,_ZL23rocblas_trmm_lTx_kernelILi16ELb1E19rocblas_complex_numIdES1_KS1_S1_Ev13rocblas_fill_17rocblas_diagonal_iiT2_lPT3_llS7_llPT4_lli,comdat
.Lfunc_end137:
	.size	_ZL23rocblas_trmm_lTx_kernelILi16ELb1E19rocblas_complex_numIdES1_KS1_S1_Ev13rocblas_fill_17rocblas_diagonal_iiT2_lPT3_llS7_llPT4_lli, .Lfunc_end137-_ZL23rocblas_trmm_lTx_kernelILi16ELb1E19rocblas_complex_numIdES1_KS1_S1_Ev13rocblas_fill_17rocblas_diagonal_iiT2_lPT3_llS7_llPT4_lli
                                        ; -- End function
	.set _ZL23rocblas_trmm_lTx_kernelILi16ELb1E19rocblas_complex_numIdES1_KS1_S1_Ev13rocblas_fill_17rocblas_diagonal_iiT2_lPT3_llS7_llPT4_lli.num_vgpr, 55
	.set _ZL23rocblas_trmm_lTx_kernelILi16ELb1E19rocblas_complex_numIdES1_KS1_S1_Ev13rocblas_fill_17rocblas_diagonal_iiT2_lPT3_llS7_llPT4_lli.num_agpr, 0
	.set _ZL23rocblas_trmm_lTx_kernelILi16ELb1E19rocblas_complex_numIdES1_KS1_S1_Ev13rocblas_fill_17rocblas_diagonal_iiT2_lPT3_llS7_llPT4_lli.numbered_sgpr, 34
	.set _ZL23rocblas_trmm_lTx_kernelILi16ELb1E19rocblas_complex_numIdES1_KS1_S1_Ev13rocblas_fill_17rocblas_diagonal_iiT2_lPT3_llS7_llPT4_lli.num_named_barrier, 0
	.set _ZL23rocblas_trmm_lTx_kernelILi16ELb1E19rocblas_complex_numIdES1_KS1_S1_Ev13rocblas_fill_17rocblas_diagonal_iiT2_lPT3_llS7_llPT4_lli.private_seg_size, 0
	.set _ZL23rocblas_trmm_lTx_kernelILi16ELb1E19rocblas_complex_numIdES1_KS1_S1_Ev13rocblas_fill_17rocblas_diagonal_iiT2_lPT3_llS7_llPT4_lli.uses_vcc, 1
	.set _ZL23rocblas_trmm_lTx_kernelILi16ELb1E19rocblas_complex_numIdES1_KS1_S1_Ev13rocblas_fill_17rocblas_diagonal_iiT2_lPT3_llS7_llPT4_lli.uses_flat_scratch, 0
	.set _ZL23rocblas_trmm_lTx_kernelILi16ELb1E19rocblas_complex_numIdES1_KS1_S1_Ev13rocblas_fill_17rocblas_diagonal_iiT2_lPT3_llS7_llPT4_lli.has_dyn_sized_stack, 0
	.set _ZL23rocblas_trmm_lTx_kernelILi16ELb1E19rocblas_complex_numIdES1_KS1_S1_Ev13rocblas_fill_17rocblas_diagonal_iiT2_lPT3_llS7_llPT4_lli.has_recursion, 0
	.set _ZL23rocblas_trmm_lTx_kernelILi16ELb1E19rocblas_complex_numIdES1_KS1_S1_Ev13rocblas_fill_17rocblas_diagonal_iiT2_lPT3_llS7_llPT4_lli.has_indirect_call, 0
	.section	.AMDGPU.csdata,"",@progbits
; Kernel info:
; codeLenInByte = 1944
; TotalNumSgprs: 36
; NumVgprs: 55
; ScratchSize: 0
; MemoryBound: 0
; FloatMode: 240
; IeeeMode: 1
; LDSByteSize: 8192 bytes/workgroup (compile time only)
; SGPRBlocks: 0
; VGPRBlocks: 6
; NumSGPRsForWavesPerEU: 36
; NumVGPRsForWavesPerEU: 55
; Occupancy: 16
; WaveLimiterHint : 1
; COMPUTE_PGM_RSRC2:SCRATCH_EN: 0
; COMPUTE_PGM_RSRC2:USER_SGPR: 2
; COMPUTE_PGM_RSRC2:TRAP_HANDLER: 0
; COMPUTE_PGM_RSRC2:TGID_X_EN: 1
; COMPUTE_PGM_RSRC2:TGID_Y_EN: 0
; COMPUTE_PGM_RSRC2:TGID_Z_EN: 1
; COMPUTE_PGM_RSRC2:TIDIG_COMP_CNT: 1
	.section	.text._ZL23rocblas_trmm_rNx_kernelILi16E19rocblas_complex_numIdEPKS1_S2_S1_Ev13rocblas_fill_17rocblas_diagonal_iiT1_lPT2_llS8_llPT3_lli,"axG",@progbits,_ZL23rocblas_trmm_rNx_kernelILi16E19rocblas_complex_numIdEPKS1_S2_S1_Ev13rocblas_fill_17rocblas_diagonal_iiT1_lPT2_llS8_llPT3_lli,comdat
	.globl	_ZL23rocblas_trmm_rNx_kernelILi16E19rocblas_complex_numIdEPKS1_S2_S1_Ev13rocblas_fill_17rocblas_diagonal_iiT1_lPT2_llS8_llPT3_lli ; -- Begin function _ZL23rocblas_trmm_rNx_kernelILi16E19rocblas_complex_numIdEPKS1_S2_S1_Ev13rocblas_fill_17rocblas_diagonal_iiT1_lPT2_llS8_llPT3_lli
	.p2align	8
	.type	_ZL23rocblas_trmm_rNx_kernelILi16E19rocblas_complex_numIdEPKS1_S2_S1_Ev13rocblas_fill_17rocblas_diagonal_iiT1_lPT2_llS8_llPT3_lli,@function
_ZL23rocblas_trmm_rNx_kernelILi16E19rocblas_complex_numIdEPKS1_S2_S1_Ev13rocblas_fill_17rocblas_diagonal_iiT1_lPT2_llS8_llPT3_lli: ; @_ZL23rocblas_trmm_rNx_kernelILi16E19rocblas_complex_numIdEPKS1_S2_S1_Ev13rocblas_fill_17rocblas_diagonal_iiT1_lPT2_llS8_llPT3_lli
; %bb.0:
	s_load_b32 s3, s[0:1], 0x68
	s_lshr_b32 s28, ttmp7, 16
	s_wait_kmcnt 0x0
	s_cmp_ge_u32 s28, s3
	s_cbranch_scc1 .LBB138_19
; %bb.1:
	s_clause 0x1
	s_load_b128 s[20:23], s[0:1], 0x0
	s_load_b512 s[4:19], s[0:1], 0x10
	v_bfe_u32 v17, v0, 10, 10
	s_clause 0x1
	s_load_b128 s[24:27], s[0:1], 0x50
	s_load_b64 s[30:31], s[0:1], 0x60
	v_dual_mov_b32 v0, 0 :: v_dual_and_b32 v1, 0x3ff, v0
	v_lshlrev_b32_e32 v3, 4, v17
	s_mov_b32 s29, 0
	s_delay_alu instid0(VALU_DEP_2) | instskip(NEXT) | instid1(VALU_DEP_2)
	v_mov_b32_e32 v2, v0
	v_add_lshl_u32 v8, v3, v1, 4
	s_delay_alu instid0(VALU_DEP_2) | instskip(NEXT) | instid1(VALU_DEP_2)
	v_lshlrev_b64_e32 v[2:3], 4, v[1:2]
	v_add_nc_u32_e32 v9, 0x1000, v8
	s_wait_kmcnt 0x0
	s_add_co_i32 s1, s22, -1
	v_mad_co_u64_u32 v[4:5], null, s10, v17, 0
	v_mad_co_u64_u32 v[6:7], null, s16, v17, 0
	s_ashr_i32 s0, s1, 31
	v_mad_co_u64_u32 v[14:15], null, s26, v17, 0
	s_lshr_b32 s2, s0, 28
	v_cmp_gt_i32_e32 vcc_lo, s23, v17
	s_add_co_i32 s1, s1, s2
	v_mad_co_u64_u32 v[10:11], null, s11, v17, v[5:6]
	s_ashr_i32 s2, s1, 4
	s_and_b32 s1, s1, -16
	v_mad_co_u64_u32 v[12:13], null, s17, v17, v[7:8]
	v_cmp_gt_i32_e64 s0, s23, v1
	s_sub_co_i32 s1, s22, s1
	v_mov_b32_e32 v5, v10
	s_cmp_ge_i32 ttmp9, s2
	v_mov_b32_e32 v11, v15
	s_cselect_b32 s1, s1, 16
	s_and_b32 s10, vcc_lo, s0
	v_lshlrev_b64_e32 v[4:5], 4, v[4:5]
	v_cmp_gt_i32_e64 s0, s1, v1
	v_mov_b32_e32 v7, v12
	s_lshl_b32 s16, ttmp9, 4
	v_mad_co_u64_u32 v[15:16], null, s27, v17, v[11:12]
	s_and_b32 s11, vcc_lo, s0
	v_add_co_u32 v10, vcc_lo, s8, v4
	s_wait_alu 0xfffe
	s_ashr_i32 s17, s16, 31
	v_add_co_ci_u32_e64 v11, null, s9, v5, vcc_lo
	v_lshlrev_b64_e32 v[4:5], 4, v[6:7]
	s_wait_alu 0xfffe
	s_lshl_b64 s[16:17], s[16:17], 4
	v_add_co_u32 v10, vcc_lo, v10, v2
	s_wait_alu 0xfffe
	s_add_nc_u64 s[14:15], s[14:15], s[16:17]
	s_wait_alu 0xfffd
	v_add_co_ci_u32_e64 v11, null, v11, v3, vcc_lo
	v_add_co_u32 v4, vcc_lo, s14, v4
	s_wait_alu 0xfffd
	v_add_co_ci_u32_e64 v5, null, s15, v5, vcc_lo
	v_cmp_eq_u32_e32 vcc_lo, v17, v1
	s_delay_alu instid0(VALU_DEP_3) | instskip(SKIP_1) | instid1(VALU_DEP_3)
	v_add_co_u32 v12, s0, v4, v2
	s_wait_alu 0xf1ff
	v_add_co_ci_u32_e64 v13, null, v5, v3, s0
	v_lshlrev_b64_e32 v[4:5], 4, v[14:15]
	s_cmp_eq_u32 s21, 0x84
	s_add_nc_u64 s[16:17], s[24:25], s[16:17]
	s_cselect_b32 s1, -1, 0
	v_cmp_lt_u32_e64 s0, v1, v17
	s_wait_alu 0xfffe
	s_and_b32 s8, vcc_lo, s1
	v_cmp_gt_u32_e64 s1, v1, v17
	v_lshl_add_u32 v14, v1, 4, 0x1000
	v_add_co_u32 v1, vcc_lo, s16, v4
	s_wait_alu 0xfffd
	v_add_co_ci_u32_e64 v4, null, s17, v5, vcc_lo
	v_lshlrev_b32_e32 v15, 8, v17
	s_delay_alu instid0(VALU_DEP_3) | instskip(SKIP_1) | instid1(VALU_DEP_3)
	v_add_co_u32 v16, vcc_lo, v1, v2
	s_wait_alu 0xfffd
	v_add_co_ci_u32_e64 v17, null, v4, v3, vcc_lo
	v_mov_b32_e32 v1, 0x3ff00000
	s_cmp_lg_u32 s20, 0x79
	s_cselect_b32 s9, -1, 0
	s_branch .LBB138_4
.LBB138_2:                              ;   in Loop: Header=BB138_4 Depth=1
	s_or_b32 exec_lo, exec_lo, s2
.LBB138_3:                              ;   in Loop: Header=BB138_4 Depth=1
	s_add_co_i32 s28, s28, 0x10000
	s_delay_alu instid0(SALU_CYCLE_1)
	s_cmp_lt_u32 s28, s3
	s_cbranch_scc0 .LBB138_19
.LBB138_4:                              ; =>This Inner Loop Header: Depth=1
	s_mul_u64 s[14:15], s[6:7], s[28:29]
	s_wait_alu 0xfffe
	s_lshl_b64 s[14:15], s[14:15], 4
	s_wait_alu 0xfffe
	s_add_nc_u64 s[14:15], s[4:5], s[14:15]
	global_load_b128 v[4:7], v0, s[14:15]
	s_wait_loadcnt 0x0
	v_cmp_neq_f64_e32 vcc_lo, 0, v[4:5]
	v_cmp_neq_f64_e64 s2, 0, v[6:7]
	s_or_b32 s2, vcc_lo, s2
	s_delay_alu instid0(SALU_CYCLE_1)
	s_and_not1_b32 vcc_lo, exec_lo, s2
	s_wait_alu 0xfffe
	s_cbranch_vccnz .LBB138_3
; %bb.5:                                ;   in Loop: Header=BB138_4 Depth=1
	s_mov_b32 s20, s29
	s_mov_b32 s21, s29
	;; [unrolled: 1-line block ×4, first 2 shown]
	s_wait_alu 0xfffe
	v_dual_mov_b32 v18, s20 :: v_dual_mov_b32 v19, s21
	v_dual_mov_b32 v20, s22 :: v_dual_mov_b32 v21, s23
	ds_store_b128 v8, v[18:21]
	ds_store_b128 v9, v[18:21]
	s_and_saveexec_b32 s2, s10
	s_cbranch_execnz .LBB138_10
; %bb.6:                                ;   in Loop: Header=BB138_4 Depth=1
	s_or_b32 exec_lo, exec_lo, s2
	s_and_saveexec_b32 s2, s11
	s_cbranch_execnz .LBB138_11
.LBB138_7:                              ;   in Loop: Header=BB138_4 Depth=1
	s_or_b32 exec_lo, exec_lo, s2
	s_and_saveexec_b32 s2, s8
	s_cbranch_execnz .LBB138_12
.LBB138_8:                              ;   in Loop: Header=BB138_4 Depth=1
	s_or_b32 exec_lo, exec_lo, s2
	s_delay_alu instid0(SALU_CYCLE_1)
	s_and_b32 vcc_lo, exec_lo, s9
	s_wait_alu 0xfffe
	s_cbranch_vccz .LBB138_13
.LBB138_9:                              ;   in Loop: Header=BB138_4 Depth=1
	s_and_b32 s2, s0, exec_lo
	s_cbranch_execz .LBB138_14
	s_branch .LBB138_15
.LBB138_10:                             ;   in Loop: Header=BB138_4 Depth=1
	s_mul_u64 s[14:15], s[12:13], s[28:29]
	s_wait_alu 0xfffe
	s_lshl_b64 s[14:15], s[14:15], 4
	s_wait_alu 0xfffe
	v_add_co_u32 v2, vcc_lo, v10, s14
	s_wait_alu 0xfffd
	v_add_co_ci_u32_e64 v3, null, s15, v11, vcc_lo
	global_load_b128 v[18:21], v[2:3], off
	s_wait_loadcnt 0x0
	ds_store_2addr_b64 v8, v[18:19], v[20:21] offset1:1
	s_or_b32 exec_lo, exec_lo, s2
	s_and_saveexec_b32 s2, s11
	s_cbranch_execz .LBB138_7
.LBB138_11:                             ;   in Loop: Header=BB138_4 Depth=1
	s_mul_u64 s[14:15], s[18:19], s[28:29]
	s_wait_alu 0xfffe
	s_lshl_b64 s[14:15], s[14:15], 4
	s_wait_alu 0xfffe
	v_add_co_u32 v2, vcc_lo, v12, s14
	s_wait_alu 0xfffd
	v_add_co_ci_u32_e64 v3, null, s15, v13, vcc_lo
	global_load_b128 v[18:21], v[2:3], off
	s_wait_loadcnt 0x0
	ds_store_2addr_b64 v9, v[18:19], v[20:21] offset1:1
	s_or_b32 exec_lo, exec_lo, s2
	s_and_saveexec_b32 s2, s8
	s_cbranch_execz .LBB138_8
.LBB138_12:                             ;   in Loop: Header=BB138_4 Depth=1
	v_dual_mov_b32 v2, v0 :: v_dual_mov_b32 v3, v0
	ds_store_b128 v8, v[0:3]
	s_or_b32 exec_lo, exec_lo, s2
	s_delay_alu instid0(SALU_CYCLE_1)
	s_and_b32 vcc_lo, exec_lo, s9
	s_wait_alu 0xfffe
	s_cbranch_vccnz .LBB138_9
.LBB138_13:                             ;   in Loop: Header=BB138_4 Depth=1
	s_mov_b32 s2, 0
.LBB138_14:                             ;   in Loop: Header=BB138_4 Depth=1
	s_delay_alu instid0(SALU_CYCLE_1)
	s_and_not1_b32 s2, s2, exec_lo
	s_and_b32 s14, s1, exec_lo
	s_wait_alu 0xfffe
	s_or_b32 s2, s2, s14
.LBB138_15:                             ;   in Loop: Header=BB138_4 Depth=1
	s_delay_alu instid0(SALU_CYCLE_1)
	s_and_saveexec_b32 s14, s2
; %bb.16:                               ;   in Loop: Header=BB138_4 Depth=1
	v_dual_mov_b32 v18, v0 :: v_dual_mov_b32 v19, v0
	v_dual_mov_b32 v20, v0 :: v_dual_mov_b32 v21, v0
	ds_store_b128 v8, v[18:21]
; %bb.17:                               ;   in Loop: Header=BB138_4 Depth=1
	s_wait_alu 0xfffe
	s_or_b32 exec_lo, exec_lo, s14
	s_wait_dscnt 0x0
	s_barrier_signal -1
	s_barrier_wait -1
	global_inv scope:SCOPE_SE
	s_and_saveexec_b32 s2, s11
	s_cbranch_execz .LBB138_2
; %bb.18:                               ;   in Loop: Header=BB138_4 Depth=1
	ds_load_b128 v[18:21], v14
	ds_load_b128 v[22:25], v15
	ds_load_b128 v[26:29], v15 offset:16
	ds_load_b128 v[30:33], v14 offset:256
	;; [unrolled: 1-line block ×6, first 2 shown]
	s_mul_u64 s[14:15], s[30:31], s[28:29]
	s_wait_alu 0xfffe
	s_lshl_b64 s[14:15], s[14:15], 4
	s_wait_dscnt 0x6
	v_mul_f64_e32 v[2:3], v[22:23], v[20:21]
	v_mul_f64_e32 v[20:21], v[24:25], v[20:21]
	s_wait_dscnt 0x4
	v_mul_f64_e32 v[50:51], v[26:27], v[32:33]
	v_mul_f64_e32 v[32:33], v[28:29], v[32:33]
	s_delay_alu instid0(VALU_DEP_4) | instskip(SKIP_2) | instid1(VALU_DEP_4)
	v_fma_f64 v[2:3], v[24:25], v[18:19], v[2:3]
	s_wait_dscnt 0x2
	v_mul_f64_e32 v[24:25], v[38:39], v[36:37]
	v_fma_f64 v[28:29], v[28:29], v[30:31], v[50:51]
	v_fma_f64 v[18:19], v[22:23], v[18:19], -v[20:21]
	s_wait_dscnt 0x0
	v_mul_f64_e32 v[50:51], v[42:43], v[48:49]
	v_mul_f64_e32 v[36:37], v[40:41], v[36:37]
	v_fma_f64 v[52:53], v[26:27], v[30:31], -v[32:33]
	v_mul_f64_e32 v[48:49], v[44:45], v[48:49]
	v_add_f64_e32 v[2:3], 0, v[2:3]
	v_fma_f64 v[40:41], v[40:41], v[34:35], v[24:25]
	v_add_f64_e32 v[54:55], 0, v[18:19]
	v_fma_f64 v[44:45], v[44:45], v[46:47], v[50:51]
	v_fma_f64 v[34:35], v[38:39], v[34:35], -v[36:37]
	v_add_f64_e32 v[2:3], v[2:3], v[28:29]
	ds_load_b128 v[18:21], v14 offset:1024
	ds_load_b128 v[22:25], v15 offset:64
	ds_load_b128 v[26:29], v15 offset:80
	ds_load_b128 v[30:33], v14 offset:1280
	v_add_f64_e32 v[36:37], v[54:55], v[52:53]
	v_fma_f64 v[52:53], v[42:43], v[46:47], -v[48:49]
	s_wait_dscnt 0x2
	v_mul_f64_e32 v[56:57], v[22:23], v[20:21]
	v_mul_f64_e32 v[20:21], v[24:25], v[20:21]
	s_wait_dscnt 0x0
	v_mul_f64_e32 v[50:51], v[26:27], v[32:33]
	v_mul_f64_e32 v[32:33], v[28:29], v[32:33]
	v_add_f64_e32 v[2:3], v[2:3], v[40:41]
	v_add_f64_e32 v[54:55], v[36:37], v[34:35]
	v_fma_f64 v[24:25], v[24:25], v[18:19], v[56:57]
	v_fma_f64 v[18:19], v[22:23], v[18:19], -v[20:21]
	v_fma_f64 v[28:29], v[28:29], v[30:31], v[50:51]
	v_add_f64_e32 v[2:3], v[2:3], v[44:45]
	ds_load_b128 v[34:37], v14 offset:1536
	ds_load_b128 v[38:41], v15 offset:96
	ds_load_b128 v[42:45], v15 offset:112
	ds_load_b128 v[46:49], v14 offset:1792
	v_add_f64_e32 v[20:21], v[54:55], v[52:53]
	v_fma_f64 v[52:53], v[26:27], v[30:31], -v[32:33]
	s_wait_dscnt 0x2
	v_mul_f64_e32 v[56:57], v[38:39], v[36:37]
	v_mul_f64_e32 v[36:37], v[40:41], v[36:37]
	s_wait_dscnt 0x0
	v_mul_f64_e32 v[50:51], v[42:43], v[48:49]
	v_mul_f64_e32 v[48:49], v[44:45], v[48:49]
	v_add_f64_e32 v[2:3], v[2:3], v[24:25]
	v_add_f64_e32 v[54:55], v[20:21], v[18:19]
	v_fma_f64 v[40:41], v[40:41], v[34:35], v[56:57]
	v_fma_f64 v[34:35], v[38:39], v[34:35], -v[36:37]
	v_fma_f64 v[44:45], v[44:45], v[46:47], v[50:51]
	;; [unrolled: 18-line block ×5, first 2 shown]
	v_fma_f64 v[26:27], v[26:27], v[30:31], -v[32:33]
	v_add_f64_e32 v[2:3], v[2:3], v[44:45]
	ds_load_b128 v[34:37], v14 offset:3584
	ds_load_b128 v[38:41], v15 offset:224
	;; [unrolled: 1-line block ×4, first 2 shown]
	v_add_f64_e32 v[20:21], v[54:55], v[52:53]
	s_wait_dscnt 0x2
	v_mul_f64_e32 v[56:57], v[38:39], v[36:37]
	s_wait_dscnt 0x0
	v_mul_f64_e32 v[22:23], v[42:43], v[48:49]
	v_add_f64_e32 v[2:3], v[2:3], v[24:25]
	v_mul_f64_e32 v[24:25], v[40:41], v[36:37]
	v_add_f64_e32 v[18:19], v[20:21], v[18:19]
	v_mul_f64_e32 v[20:21], v[44:45], v[48:49]
	v_fma_f64 v[36:37], v[40:41], v[34:35], v[56:57]
	v_fma_f64 v[22:23], v[44:45], v[46:47], v[22:23]
	v_add_f64_e32 v[2:3], v[2:3], v[28:29]
	v_fma_f64 v[24:25], v[38:39], v[34:35], -v[24:25]
	v_add_f64_e32 v[18:19], v[18:19], v[26:27]
	v_fma_f64 v[20:21], v[42:43], v[46:47], -v[20:21]
	s_delay_alu instid0(VALU_DEP_4) | instskip(NEXT) | instid1(VALU_DEP_3)
	v_add_f64_e32 v[2:3], v[2:3], v[36:37]
	v_add_f64_e32 v[18:19], v[18:19], v[24:25]
	s_delay_alu instid0(VALU_DEP_2) | instskip(NEXT) | instid1(VALU_DEP_2)
	v_add_f64_e32 v[2:3], v[2:3], v[22:23]
	v_add_f64_e32 v[18:19], v[18:19], v[20:21]
	s_delay_alu instid0(VALU_DEP_2) | instskip(SKIP_1) | instid1(VALU_DEP_2)
	v_mul_f64_e32 v[20:21], v[4:5], v[2:3]
	v_mul_f64_e32 v[2:3], v[6:7], v[2:3]
	v_fma_f64 v[6:7], v[6:7], v[18:19], v[20:21]
	s_delay_alu instid0(VALU_DEP_2)
	v_fma_f64 v[4:5], v[4:5], v[18:19], -v[2:3]
	s_wait_alu 0xfffe
	v_add_co_u32 v2, vcc_lo, v16, s14
	s_wait_alu 0xfffd
	v_add_co_ci_u32_e64 v3, null, s15, v17, vcc_lo
	global_store_b128 v[2:3], v[4:7], off
	s_branch .LBB138_2
.LBB138_19:
	s_endpgm
	.section	.rodata,"a",@progbits
	.p2align	6, 0x0
	.amdhsa_kernel _ZL23rocblas_trmm_rNx_kernelILi16E19rocblas_complex_numIdEPKS1_S2_S1_Ev13rocblas_fill_17rocblas_diagonal_iiT1_lPT2_llS8_llPT3_lli
		.amdhsa_group_segment_fixed_size 8192
		.amdhsa_private_segment_fixed_size 0
		.amdhsa_kernarg_size 108
		.amdhsa_user_sgpr_count 2
		.amdhsa_user_sgpr_dispatch_ptr 0
		.amdhsa_user_sgpr_queue_ptr 0
		.amdhsa_user_sgpr_kernarg_segment_ptr 1
		.amdhsa_user_sgpr_dispatch_id 0
		.amdhsa_user_sgpr_private_segment_size 0
		.amdhsa_wavefront_size32 1
		.amdhsa_uses_dynamic_stack 0
		.amdhsa_enable_private_segment 0
		.amdhsa_system_sgpr_workgroup_id_x 1
		.amdhsa_system_sgpr_workgroup_id_y 0
		.amdhsa_system_sgpr_workgroup_id_z 1
		.amdhsa_system_sgpr_workgroup_info 0
		.amdhsa_system_vgpr_workitem_id 1
		.amdhsa_next_free_vgpr 58
		.amdhsa_next_free_sgpr 32
		.amdhsa_reserve_vcc 1
		.amdhsa_float_round_mode_32 0
		.amdhsa_float_round_mode_16_64 0
		.amdhsa_float_denorm_mode_32 3
		.amdhsa_float_denorm_mode_16_64 3
		.amdhsa_fp16_overflow 0
		.amdhsa_workgroup_processor_mode 1
		.amdhsa_memory_ordered 1
		.amdhsa_forward_progress 1
		.amdhsa_inst_pref_size 15
		.amdhsa_round_robin_scheduling 0
		.amdhsa_exception_fp_ieee_invalid_op 0
		.amdhsa_exception_fp_denorm_src 0
		.amdhsa_exception_fp_ieee_div_zero 0
		.amdhsa_exception_fp_ieee_overflow 0
		.amdhsa_exception_fp_ieee_underflow 0
		.amdhsa_exception_fp_ieee_inexact 0
		.amdhsa_exception_int_div_zero 0
	.end_amdhsa_kernel
	.section	.text._ZL23rocblas_trmm_rNx_kernelILi16E19rocblas_complex_numIdEPKS1_S2_S1_Ev13rocblas_fill_17rocblas_diagonal_iiT1_lPT2_llS8_llPT3_lli,"axG",@progbits,_ZL23rocblas_trmm_rNx_kernelILi16E19rocblas_complex_numIdEPKS1_S2_S1_Ev13rocblas_fill_17rocblas_diagonal_iiT1_lPT2_llS8_llPT3_lli,comdat
.Lfunc_end138:
	.size	_ZL23rocblas_trmm_rNx_kernelILi16E19rocblas_complex_numIdEPKS1_S2_S1_Ev13rocblas_fill_17rocblas_diagonal_iiT1_lPT2_llS8_llPT3_lli, .Lfunc_end138-_ZL23rocblas_trmm_rNx_kernelILi16E19rocblas_complex_numIdEPKS1_S2_S1_Ev13rocblas_fill_17rocblas_diagonal_iiT1_lPT2_llS8_llPT3_lli
                                        ; -- End function
	.set _ZL23rocblas_trmm_rNx_kernelILi16E19rocblas_complex_numIdEPKS1_S2_S1_Ev13rocblas_fill_17rocblas_diagonal_iiT1_lPT2_llS8_llPT3_lli.num_vgpr, 58
	.set _ZL23rocblas_trmm_rNx_kernelILi16E19rocblas_complex_numIdEPKS1_S2_S1_Ev13rocblas_fill_17rocblas_diagonal_iiT1_lPT2_llS8_llPT3_lli.num_agpr, 0
	.set _ZL23rocblas_trmm_rNx_kernelILi16E19rocblas_complex_numIdEPKS1_S2_S1_Ev13rocblas_fill_17rocblas_diagonal_iiT1_lPT2_llS8_llPT3_lli.numbered_sgpr, 32
	.set _ZL23rocblas_trmm_rNx_kernelILi16E19rocblas_complex_numIdEPKS1_S2_S1_Ev13rocblas_fill_17rocblas_diagonal_iiT1_lPT2_llS8_llPT3_lli.num_named_barrier, 0
	.set _ZL23rocblas_trmm_rNx_kernelILi16E19rocblas_complex_numIdEPKS1_S2_S1_Ev13rocblas_fill_17rocblas_diagonal_iiT1_lPT2_llS8_llPT3_lli.private_seg_size, 0
	.set _ZL23rocblas_trmm_rNx_kernelILi16E19rocblas_complex_numIdEPKS1_S2_S1_Ev13rocblas_fill_17rocblas_diagonal_iiT1_lPT2_llS8_llPT3_lli.uses_vcc, 1
	.set _ZL23rocblas_trmm_rNx_kernelILi16E19rocblas_complex_numIdEPKS1_S2_S1_Ev13rocblas_fill_17rocblas_diagonal_iiT1_lPT2_llS8_llPT3_lli.uses_flat_scratch, 0
	.set _ZL23rocblas_trmm_rNx_kernelILi16E19rocblas_complex_numIdEPKS1_S2_S1_Ev13rocblas_fill_17rocblas_diagonal_iiT1_lPT2_llS8_llPT3_lli.has_dyn_sized_stack, 0
	.set _ZL23rocblas_trmm_rNx_kernelILi16E19rocblas_complex_numIdEPKS1_S2_S1_Ev13rocblas_fill_17rocblas_diagonal_iiT1_lPT2_llS8_llPT3_lli.has_recursion, 0
	.set _ZL23rocblas_trmm_rNx_kernelILi16E19rocblas_complex_numIdEPKS1_S2_S1_Ev13rocblas_fill_17rocblas_diagonal_iiT1_lPT2_llS8_llPT3_lli.has_indirect_call, 0
	.section	.AMDGPU.csdata,"",@progbits
; Kernel info:
; codeLenInByte = 1916
; TotalNumSgprs: 34
; NumVgprs: 58
; ScratchSize: 0
; MemoryBound: 0
; FloatMode: 240
; IeeeMode: 1
; LDSByteSize: 8192 bytes/workgroup (compile time only)
; SGPRBlocks: 0
; VGPRBlocks: 7
; NumSGPRsForWavesPerEU: 34
; NumVGPRsForWavesPerEU: 58
; Occupancy: 16
; WaveLimiterHint : 0
; COMPUTE_PGM_RSRC2:SCRATCH_EN: 0
; COMPUTE_PGM_RSRC2:USER_SGPR: 2
; COMPUTE_PGM_RSRC2:TRAP_HANDLER: 0
; COMPUTE_PGM_RSRC2:TGID_X_EN: 1
; COMPUTE_PGM_RSRC2:TGID_Y_EN: 0
; COMPUTE_PGM_RSRC2:TGID_Z_EN: 1
; COMPUTE_PGM_RSRC2:TIDIG_COMP_CNT: 1
	.section	.text._ZL23rocblas_trmm_rNx_kernelILi16E19rocblas_complex_numIdES1_KS1_S1_Ev13rocblas_fill_17rocblas_diagonal_iiT1_lPT2_llS7_llPT3_lli,"axG",@progbits,_ZL23rocblas_trmm_rNx_kernelILi16E19rocblas_complex_numIdES1_KS1_S1_Ev13rocblas_fill_17rocblas_diagonal_iiT1_lPT2_llS7_llPT3_lli,comdat
	.globl	_ZL23rocblas_trmm_rNx_kernelILi16E19rocblas_complex_numIdES1_KS1_S1_Ev13rocblas_fill_17rocblas_diagonal_iiT1_lPT2_llS7_llPT3_lli ; -- Begin function _ZL23rocblas_trmm_rNx_kernelILi16E19rocblas_complex_numIdES1_KS1_S1_Ev13rocblas_fill_17rocblas_diagonal_iiT1_lPT2_llS7_llPT3_lli
	.p2align	8
	.type	_ZL23rocblas_trmm_rNx_kernelILi16E19rocblas_complex_numIdES1_KS1_S1_Ev13rocblas_fill_17rocblas_diagonal_iiT1_lPT2_llS7_llPT3_lli,@function
_ZL23rocblas_trmm_rNx_kernelILi16E19rocblas_complex_numIdES1_KS1_S1_Ev13rocblas_fill_17rocblas_diagonal_iiT1_lPT2_llS7_llPT3_lli: ; @_ZL23rocblas_trmm_rNx_kernelILi16E19rocblas_complex_numIdES1_KS1_S1_Ev13rocblas_fill_17rocblas_diagonal_iiT1_lPT2_llS7_llPT3_lli
; %bb.0:
	s_load_b32 s33, s[0:1], 0x70
	s_lshr_b32 s28, ttmp7, 16
	s_wait_kmcnt 0x0
	s_cmp_ge_u32 s28, s33
	s_cbranch_scc1 .LBB139_19
; %bb.1:
	s_clause 0x1
	s_load_b256 s[20:27], s[0:1], 0x0
	s_load_b512 s[4:19], s[0:1], 0x28
	v_bfe_u32 v16, v0, 10, 10
	s_load_b64 s[30:31], s[0:1], 0x68
	v_dual_mov_b32 v0, 0 :: v_dual_and_b32 v1, 0x3ff, v0
	s_mov_b32 s29, 0
	s_delay_alu instid0(VALU_DEP_2) | instskip(NEXT) | instid1(VALU_DEP_2)
	v_lshlrev_b32_e32 v3, 4, v16
	v_cmp_eq_u32_e32 vcc_lo, v16, v1
	s_delay_alu instid0(VALU_DEP_3) | instskip(NEXT) | instid1(VALU_DEP_3)
	v_mov_b32_e32 v2, v0
	v_add_lshl_u32 v4, v3, v1, 4
	s_delay_alu instid0(VALU_DEP_2) | instskip(NEXT) | instid1(VALU_DEP_2)
	v_lshlrev_b64_e32 v[2:3], 4, v[1:2]
	v_add_nc_u32_e32 v5, 0x1000, v4
	s_wait_kmcnt 0x0
	v_cmp_neq_f64_e64 s2, s[24:25], 0
	v_cmp_neq_f64_e64 s3, s[26:27], 0
	v_mad_co_u64_u32 v[6:7], null, s6, v16, 0
	v_mad_co_u64_u32 v[8:9], null, s12, v16, 0
	;; [unrolled: 1-line block ×3, first 2 shown]
	s_add_co_i32 s1, s22, -1
	v_cmp_gt_i32_e64 s0, s23, v16
	s_ashr_i32 s6, s1, 31
	v_mad_co_u64_u32 v[12:13], null, s7, v16, v[7:8]
	v_mad_co_u64_u32 v[13:14], null, s13, v16, v[9:10]
	s_wait_alu 0xfffe
	s_lshr_b32 s6, s6, 28
	s_wait_alu 0xfffe
	s_add_co_i32 s6, s1, s6
	v_cmp_gt_i32_e64 s1, s23, v1
	s_delay_alu instid0(VALU_DEP_3)
	v_mov_b32_e32 v7, v12
	s_wait_alu 0xfffe
	s_and_b32 s7, s6, -16
	v_mad_co_u64_u32 v[14:15], null, s19, v16, v[11:12]
	s_ashr_i32 s12, s6, 4
	v_lshlrev_b64_e32 v[6:7], 4, v[6:7]
	v_mov_b32_e32 v9, v13
	s_wait_alu 0xfffe
	s_sub_co_i32 s7, s22, s7
	v_mov_b32_e32 v11, v14
	s_delay_alu instid0(VALU_DEP_2) | instskip(NEXT) | instid1(VALU_DEP_2)
	v_lshlrev_b64_e32 v[8:9], 4, v[8:9]
	v_lshlrev_b64_e32 v[11:12], 4, v[10:11]
	v_lshl_add_u32 v10, v1, 4, 0x1000
	s_or_b32 s6, s2, s3
	s_cmp_ge_i32 ttmp9, s12
	v_add_co_u32 v6, s2, s4, v6
	s_wait_alu 0xfffe
	s_cselect_b32 s3, s7, 16
	s_lshl_b32 s12, ttmp9, 4
	v_add_co_ci_u32_e64 v7, null, s5, v7, s2
	s_wait_alu 0xfffe
	s_ashr_i32 s13, s12, 31
	v_cmp_gt_i32_e64 s2, s3, v1
	s_wait_alu 0xfffe
	s_lshl_b64 s[4:5], s[12:13], 4
	v_add_co_u32 v6, s3, v6, v2
	s_wait_alu 0xfffe
	s_add_nc_u64 s[10:11], s[10:11], s[4:5]
	v_add_co_ci_u32_e64 v7, null, v7, v3, s3
	s_and_b32 s3, s0, s1
	s_and_b32 s2, s0, s2
	v_add_co_u32 v8, s0, s10, v8
	s_cmp_eq_u32 s21, 0x84
	v_add_co_ci_u32_e64 v9, null, s11, v9, s0
	s_cselect_b32 s1, -1, 0
	s_add_nc_u64 s[12:13], s[16:17], s[4:5]
	s_wait_alu 0xfffe
	s_and_b32 s4, vcc_lo, s1
	v_add_co_u32 v8, vcc_lo, v8, v2
	s_delay_alu instid0(VALU_DEP_1)
	v_add_co_ci_u32_e64 v9, null, v9, v3, vcc_lo
	v_cmp_lt_u32_e64 s0, v1, v16
	v_cmp_gt_u32_e64 s1, v1, v16
	v_add_co_u32 v1, vcc_lo, s12, v11
	s_wait_alu 0xfffd
	v_add_co_ci_u32_e64 v13, null, s13, v12, vcc_lo
	v_lshlrev_b32_e32 v11, 8, v16
	s_delay_alu instid0(VALU_DEP_3) | instskip(SKIP_1) | instid1(VALU_DEP_3)
	v_add_co_u32 v12, vcc_lo, v1, v2
	s_wait_alu 0xfffd
	v_add_co_ci_u32_e64 v13, null, v13, v3, vcc_lo
	v_mov_b32_e32 v1, 0x3ff00000
	s_cmp_lg_u32 s20, 0x79
	s_cselect_b32 s5, -1, 0
	s_branch .LBB139_4
.LBB139_2:                              ;   in Loop: Header=BB139_4 Depth=1
	s_wait_alu 0xfffe
	s_or_b32 exec_lo, exec_lo, s7
.LBB139_3:                              ;   in Loop: Header=BB139_4 Depth=1
	s_add_co_i32 s28, s28, 0x10000
	s_delay_alu instid0(SALU_CYCLE_1)
	s_cmp_lt_u32 s28, s33
	s_cbranch_scc0 .LBB139_19
.LBB139_4:                              ; =>This Inner Loop Header: Depth=1
	s_and_not1_b32 vcc_lo, exec_lo, s6
	s_wait_alu 0xfffe
	s_cbranch_vccnz .LBB139_3
; %bb.5:                                ;   in Loop: Header=BB139_4 Depth=1
	s_mov_b32 s16, s29
	s_mov_b32 s17, s29
	s_mov_b32 s18, s29
	s_mov_b32 s19, s29
	s_wait_alu 0xfffe
	v_dual_mov_b32 v14, s16 :: v_dual_mov_b32 v15, s17
	v_dual_mov_b32 v16, s18 :: v_dual_mov_b32 v17, s19
	ds_store_b128 v4, v[14:17]
	ds_store_b128 v5, v[14:17]
	s_and_saveexec_b32 s7, s3
	s_cbranch_execnz .LBB139_10
; %bb.6:                                ;   in Loop: Header=BB139_4 Depth=1
	s_wait_alu 0xfffe
	s_or_b32 exec_lo, exec_lo, s7
	s_and_saveexec_b32 s7, s2
	s_cbranch_execnz .LBB139_11
.LBB139_7:                              ;   in Loop: Header=BB139_4 Depth=1
	s_wait_alu 0xfffe
	s_or_b32 exec_lo, exec_lo, s7
	s_and_saveexec_b32 s7, s4
	s_cbranch_execnz .LBB139_12
.LBB139_8:                              ;   in Loop: Header=BB139_4 Depth=1
	s_wait_alu 0xfffe
	s_or_b32 exec_lo, exec_lo, s7
	s_delay_alu instid0(SALU_CYCLE_1)
	s_and_b32 vcc_lo, exec_lo, s5
	s_wait_alu 0xfffe
	s_cbranch_vccz .LBB139_13
.LBB139_9:                              ;   in Loop: Header=BB139_4 Depth=1
	s_and_b32 s7, s0, exec_lo
	s_cbranch_execz .LBB139_14
	s_branch .LBB139_15
.LBB139_10:                             ;   in Loop: Header=BB139_4 Depth=1
	s_mul_u64 s[10:11], s[8:9], s[28:29]
	s_wait_alu 0xfffe
	s_lshl_b64 s[10:11], s[10:11], 4
	s_wait_alu 0xfffe
	v_add_co_u32 v2, vcc_lo, v6, s10
	s_wait_alu 0xfffd
	v_add_co_ci_u32_e64 v3, null, s11, v7, vcc_lo
	global_load_b128 v[14:17], v[2:3], off
	s_wait_loadcnt 0x0
	ds_store_2addr_b64 v4, v[14:15], v[16:17] offset1:1
	s_or_b32 exec_lo, exec_lo, s7
	s_and_saveexec_b32 s7, s2
	s_cbranch_execz .LBB139_7
.LBB139_11:                             ;   in Loop: Header=BB139_4 Depth=1
	s_mul_u64 s[10:11], s[14:15], s[28:29]
	s_wait_alu 0xfffe
	s_lshl_b64 s[10:11], s[10:11], 4
	s_wait_alu 0xfffe
	v_add_co_u32 v2, vcc_lo, v8, s10
	s_wait_alu 0xfffd
	v_add_co_ci_u32_e64 v3, null, s11, v9, vcc_lo
	global_load_b128 v[14:17], v[2:3], off
	s_wait_loadcnt 0x0
	ds_store_2addr_b64 v5, v[14:15], v[16:17] offset1:1
	s_or_b32 exec_lo, exec_lo, s7
	s_and_saveexec_b32 s7, s4
	s_cbranch_execz .LBB139_8
.LBB139_12:                             ;   in Loop: Header=BB139_4 Depth=1
	v_dual_mov_b32 v2, v0 :: v_dual_mov_b32 v3, v0
	ds_store_b128 v4, v[0:3]
	s_wait_alu 0xfffe
	s_or_b32 exec_lo, exec_lo, s7
	s_delay_alu instid0(SALU_CYCLE_1)
	s_and_b32 vcc_lo, exec_lo, s5
	s_wait_alu 0xfffe
	s_cbranch_vccnz .LBB139_9
.LBB139_13:                             ;   in Loop: Header=BB139_4 Depth=1
	s_mov_b32 s7, 0
.LBB139_14:                             ;   in Loop: Header=BB139_4 Depth=1
	s_wait_alu 0xfffe
	s_and_not1_b32 s7, s7, exec_lo
	s_and_b32 s10, s1, exec_lo
	s_wait_alu 0xfffe
	s_or_b32 s7, s7, s10
.LBB139_15:                             ;   in Loop: Header=BB139_4 Depth=1
	s_wait_alu 0xfffe
	s_and_saveexec_b32 s10, s7
; %bb.16:                               ;   in Loop: Header=BB139_4 Depth=1
	v_dual_mov_b32 v14, v0 :: v_dual_mov_b32 v15, v0
	v_dual_mov_b32 v16, v0 :: v_dual_mov_b32 v17, v0
	ds_store_b128 v4, v[14:17]
; %bb.17:                               ;   in Loop: Header=BB139_4 Depth=1
	s_wait_alu 0xfffe
	s_or_b32 exec_lo, exec_lo, s10
	s_wait_dscnt 0x0
	s_barrier_signal -1
	s_barrier_wait -1
	global_inv scope:SCOPE_SE
	s_and_saveexec_b32 s7, s2
	s_cbranch_execz .LBB139_2
; %bb.18:                               ;   in Loop: Header=BB139_4 Depth=1
	ds_load_b128 v[14:17], v10
	ds_load_b128 v[18:21], v11
	ds_load_b128 v[22:25], v11 offset:16
	ds_load_b128 v[26:29], v10 offset:256
	ds_load_b128 v[30:33], v10 offset:512
	ds_load_b128 v[34:37], v11 offset:32
	ds_load_b128 v[38:41], v11 offset:48
	ds_load_b128 v[42:45], v10 offset:768
	s_mul_u64 s[10:11], s[30:31], s[28:29]
	s_wait_alu 0xfffe
	s_lshl_b64 s[10:11], s[10:11], 4
	s_wait_dscnt 0x6
	v_mul_f64_e32 v[2:3], v[18:19], v[16:17]
	v_mul_f64_e32 v[16:17], v[20:21], v[16:17]
	s_wait_dscnt 0x4
	v_mul_f64_e32 v[46:47], v[22:23], v[28:29]
	v_mul_f64_e32 v[28:29], v[24:25], v[28:29]
	s_delay_alu instid0(VALU_DEP_4) | instskip(SKIP_2) | instid1(VALU_DEP_4)
	v_fma_f64 v[2:3], v[20:21], v[14:15], v[2:3]
	s_wait_dscnt 0x2
	v_mul_f64_e32 v[20:21], v[34:35], v[32:33]
	v_fma_f64 v[24:25], v[24:25], v[26:27], v[46:47]
	v_fma_f64 v[14:15], v[18:19], v[14:15], -v[16:17]
	s_wait_dscnt 0x0
	v_mul_f64_e32 v[46:47], v[38:39], v[44:45]
	v_mul_f64_e32 v[32:33], v[36:37], v[32:33]
	v_fma_f64 v[48:49], v[22:23], v[26:27], -v[28:29]
	v_mul_f64_e32 v[44:45], v[40:41], v[44:45]
	v_add_f64_e32 v[2:3], 0, v[2:3]
	v_fma_f64 v[36:37], v[36:37], v[30:31], v[20:21]
	v_add_f64_e32 v[50:51], 0, v[14:15]
	v_fma_f64 v[40:41], v[40:41], v[42:43], v[46:47]
	v_fma_f64 v[30:31], v[34:35], v[30:31], -v[32:33]
	v_add_f64_e32 v[2:3], v[2:3], v[24:25]
	ds_load_b128 v[14:17], v10 offset:1024
	ds_load_b128 v[18:21], v11 offset:64
	ds_load_b128 v[22:25], v11 offset:80
	ds_load_b128 v[26:29], v10 offset:1280
	v_add_f64_e32 v[32:33], v[50:51], v[48:49]
	v_fma_f64 v[48:49], v[38:39], v[42:43], -v[44:45]
	s_wait_dscnt 0x2
	v_mul_f64_e32 v[52:53], v[18:19], v[16:17]
	v_mul_f64_e32 v[16:17], v[20:21], v[16:17]
	s_wait_dscnt 0x0
	v_mul_f64_e32 v[46:47], v[22:23], v[28:29]
	v_mul_f64_e32 v[28:29], v[24:25], v[28:29]
	v_add_f64_e32 v[2:3], v[2:3], v[36:37]
	v_add_f64_e32 v[50:51], v[32:33], v[30:31]
	v_fma_f64 v[20:21], v[20:21], v[14:15], v[52:53]
	v_fma_f64 v[14:15], v[18:19], v[14:15], -v[16:17]
	v_fma_f64 v[24:25], v[24:25], v[26:27], v[46:47]
	v_add_f64_e32 v[2:3], v[2:3], v[40:41]
	ds_load_b128 v[30:33], v10 offset:1536
	ds_load_b128 v[34:37], v11 offset:96
	ds_load_b128 v[38:41], v11 offset:112
	ds_load_b128 v[42:45], v10 offset:1792
	v_add_f64_e32 v[16:17], v[50:51], v[48:49]
	v_fma_f64 v[48:49], v[22:23], v[26:27], -v[28:29]
	s_wait_dscnt 0x2
	v_mul_f64_e32 v[52:53], v[34:35], v[32:33]
	v_mul_f64_e32 v[32:33], v[36:37], v[32:33]
	s_wait_dscnt 0x0
	v_mul_f64_e32 v[46:47], v[38:39], v[44:45]
	v_mul_f64_e32 v[44:45], v[40:41], v[44:45]
	v_add_f64_e32 v[2:3], v[2:3], v[20:21]
	v_add_f64_e32 v[50:51], v[16:17], v[14:15]
	v_fma_f64 v[36:37], v[36:37], v[30:31], v[52:53]
	v_fma_f64 v[30:31], v[34:35], v[30:31], -v[32:33]
	v_fma_f64 v[40:41], v[40:41], v[42:43], v[46:47]
	;; [unrolled: 18-line block ×5, first 2 shown]
	v_fma_f64 v[22:23], v[22:23], v[26:27], -v[28:29]
	v_add_f64_e32 v[2:3], v[2:3], v[40:41]
	ds_load_b128 v[30:33], v10 offset:3584
	ds_load_b128 v[34:37], v11 offset:224
	;; [unrolled: 1-line block ×4, first 2 shown]
	v_add_f64_e32 v[16:17], v[50:51], v[48:49]
	s_wait_dscnt 0x2
	v_mul_f64_e32 v[52:53], v[34:35], v[32:33]
	s_wait_dscnt 0x0
	v_mul_f64_e32 v[18:19], v[38:39], v[44:45]
	v_add_f64_e32 v[2:3], v[2:3], v[20:21]
	v_mul_f64_e32 v[20:21], v[36:37], v[32:33]
	v_add_f64_e32 v[14:15], v[16:17], v[14:15]
	v_mul_f64_e32 v[16:17], v[40:41], v[44:45]
	v_fma_f64 v[32:33], v[36:37], v[30:31], v[52:53]
	v_fma_f64 v[18:19], v[40:41], v[42:43], v[18:19]
	v_add_f64_e32 v[2:3], v[2:3], v[24:25]
	v_fma_f64 v[20:21], v[34:35], v[30:31], -v[20:21]
	v_add_f64_e32 v[14:15], v[14:15], v[22:23]
	v_fma_f64 v[16:17], v[38:39], v[42:43], -v[16:17]
	s_delay_alu instid0(VALU_DEP_4) | instskip(NEXT) | instid1(VALU_DEP_3)
	v_add_f64_e32 v[2:3], v[2:3], v[32:33]
	v_add_f64_e32 v[14:15], v[14:15], v[20:21]
	s_delay_alu instid0(VALU_DEP_2) | instskip(NEXT) | instid1(VALU_DEP_2)
	v_add_f64_e32 v[2:3], v[2:3], v[18:19]
	v_add_f64_e32 v[14:15], v[14:15], v[16:17]
	s_delay_alu instid0(VALU_DEP_2) | instskip(SKIP_1) | instid1(VALU_DEP_2)
	v_mul_f64_e32 v[16:17], s[24:25], v[2:3]
	v_mul_f64_e32 v[2:3], s[26:27], v[2:3]
	v_fma_f64 v[16:17], s[26:27], v[14:15], v[16:17]
	s_delay_alu instid0(VALU_DEP_2)
	v_fma_f64 v[14:15], s[24:25], v[14:15], -v[2:3]
	s_wait_alu 0xfffe
	v_add_co_u32 v2, vcc_lo, v12, s10
	s_wait_alu 0xfffd
	v_add_co_ci_u32_e64 v3, null, s11, v13, vcc_lo
	global_store_b128 v[2:3], v[14:17], off
	s_branch .LBB139_2
.LBB139_19:
	s_endpgm
	.section	.rodata,"a",@progbits
	.p2align	6, 0x0
	.amdhsa_kernel _ZL23rocblas_trmm_rNx_kernelILi16E19rocblas_complex_numIdES1_KS1_S1_Ev13rocblas_fill_17rocblas_diagonal_iiT1_lPT2_llS7_llPT3_lli
		.amdhsa_group_segment_fixed_size 8192
		.amdhsa_private_segment_fixed_size 0
		.amdhsa_kernarg_size 116
		.amdhsa_user_sgpr_count 2
		.amdhsa_user_sgpr_dispatch_ptr 0
		.amdhsa_user_sgpr_queue_ptr 0
		.amdhsa_user_sgpr_kernarg_segment_ptr 1
		.amdhsa_user_sgpr_dispatch_id 0
		.amdhsa_user_sgpr_private_segment_size 0
		.amdhsa_wavefront_size32 1
		.amdhsa_uses_dynamic_stack 0
		.amdhsa_enable_private_segment 0
		.amdhsa_system_sgpr_workgroup_id_x 1
		.amdhsa_system_sgpr_workgroup_id_y 0
		.amdhsa_system_sgpr_workgroup_id_z 1
		.amdhsa_system_sgpr_workgroup_info 0
		.amdhsa_system_vgpr_workitem_id 1
		.amdhsa_next_free_vgpr 54
		.amdhsa_next_free_sgpr 34
		.amdhsa_reserve_vcc 1
		.amdhsa_float_round_mode_32 0
		.amdhsa_float_round_mode_16_64 0
		.amdhsa_float_denorm_mode_32 3
		.amdhsa_float_denorm_mode_16_64 3
		.amdhsa_fp16_overflow 0
		.amdhsa_workgroup_processor_mode 1
		.amdhsa_memory_ordered 1
		.amdhsa_forward_progress 1
		.amdhsa_inst_pref_size 15
		.amdhsa_round_robin_scheduling 0
		.amdhsa_exception_fp_ieee_invalid_op 0
		.amdhsa_exception_fp_denorm_src 0
		.amdhsa_exception_fp_ieee_div_zero 0
		.amdhsa_exception_fp_ieee_overflow 0
		.amdhsa_exception_fp_ieee_underflow 0
		.amdhsa_exception_fp_ieee_inexact 0
		.amdhsa_exception_int_div_zero 0
	.end_amdhsa_kernel
	.section	.text._ZL23rocblas_trmm_rNx_kernelILi16E19rocblas_complex_numIdES1_KS1_S1_Ev13rocblas_fill_17rocblas_diagonal_iiT1_lPT2_llS7_llPT3_lli,"axG",@progbits,_ZL23rocblas_trmm_rNx_kernelILi16E19rocblas_complex_numIdES1_KS1_S1_Ev13rocblas_fill_17rocblas_diagonal_iiT1_lPT2_llS7_llPT3_lli,comdat
.Lfunc_end139:
	.size	_ZL23rocblas_trmm_rNx_kernelILi16E19rocblas_complex_numIdES1_KS1_S1_Ev13rocblas_fill_17rocblas_diagonal_iiT1_lPT2_llS7_llPT3_lli, .Lfunc_end139-_ZL23rocblas_trmm_rNx_kernelILi16E19rocblas_complex_numIdES1_KS1_S1_Ev13rocblas_fill_17rocblas_diagonal_iiT1_lPT2_llS7_llPT3_lli
                                        ; -- End function
	.set _ZL23rocblas_trmm_rNx_kernelILi16E19rocblas_complex_numIdES1_KS1_S1_Ev13rocblas_fill_17rocblas_diagonal_iiT1_lPT2_llS7_llPT3_lli.num_vgpr, 54
	.set _ZL23rocblas_trmm_rNx_kernelILi16E19rocblas_complex_numIdES1_KS1_S1_Ev13rocblas_fill_17rocblas_diagonal_iiT1_lPT2_llS7_llPT3_lli.num_agpr, 0
	.set _ZL23rocblas_trmm_rNx_kernelILi16E19rocblas_complex_numIdES1_KS1_S1_Ev13rocblas_fill_17rocblas_diagonal_iiT1_lPT2_llS7_llPT3_lli.numbered_sgpr, 34
	.set _ZL23rocblas_trmm_rNx_kernelILi16E19rocblas_complex_numIdES1_KS1_S1_Ev13rocblas_fill_17rocblas_diagonal_iiT1_lPT2_llS7_llPT3_lli.num_named_barrier, 0
	.set _ZL23rocblas_trmm_rNx_kernelILi16E19rocblas_complex_numIdES1_KS1_S1_Ev13rocblas_fill_17rocblas_diagonal_iiT1_lPT2_llS7_llPT3_lli.private_seg_size, 0
	.set _ZL23rocblas_trmm_rNx_kernelILi16E19rocblas_complex_numIdES1_KS1_S1_Ev13rocblas_fill_17rocblas_diagonal_iiT1_lPT2_llS7_llPT3_lli.uses_vcc, 1
	.set _ZL23rocblas_trmm_rNx_kernelILi16E19rocblas_complex_numIdES1_KS1_S1_Ev13rocblas_fill_17rocblas_diagonal_iiT1_lPT2_llS7_llPT3_lli.uses_flat_scratch, 0
	.set _ZL23rocblas_trmm_rNx_kernelILi16E19rocblas_complex_numIdES1_KS1_S1_Ev13rocblas_fill_17rocblas_diagonal_iiT1_lPT2_llS7_llPT3_lli.has_dyn_sized_stack, 0
	.set _ZL23rocblas_trmm_rNx_kernelILi16E19rocblas_complex_numIdES1_KS1_S1_Ev13rocblas_fill_17rocblas_diagonal_iiT1_lPT2_llS7_llPT3_lli.has_recursion, 0
	.set _ZL23rocblas_trmm_rNx_kernelILi16E19rocblas_complex_numIdES1_KS1_S1_Ev13rocblas_fill_17rocblas_diagonal_iiT1_lPT2_llS7_llPT3_lli.has_indirect_call, 0
	.section	.AMDGPU.csdata,"",@progbits
; Kernel info:
; codeLenInByte = 1912
; TotalNumSgprs: 36
; NumVgprs: 54
; ScratchSize: 0
; MemoryBound: 0
; FloatMode: 240
; IeeeMode: 1
; LDSByteSize: 8192 bytes/workgroup (compile time only)
; SGPRBlocks: 0
; VGPRBlocks: 6
; NumSGPRsForWavesPerEU: 36
; NumVGPRsForWavesPerEU: 54
; Occupancy: 16
; WaveLimiterHint : 1
; COMPUTE_PGM_RSRC2:SCRATCH_EN: 0
; COMPUTE_PGM_RSRC2:USER_SGPR: 2
; COMPUTE_PGM_RSRC2:TRAP_HANDLER: 0
; COMPUTE_PGM_RSRC2:TGID_X_EN: 1
; COMPUTE_PGM_RSRC2:TGID_Y_EN: 0
; COMPUTE_PGM_RSRC2:TGID_Z_EN: 1
; COMPUTE_PGM_RSRC2:TIDIG_COMP_CNT: 1
	.section	.text._ZL23rocblas_trmm_rTx_kernelILi16ELb0E19rocblas_complex_numIdEPKS1_S2_S1_Ev13rocblas_fill_17rocblas_diagonal_iiT2_lPT3_llS8_llPT4_lli,"axG",@progbits,_ZL23rocblas_trmm_rTx_kernelILi16ELb0E19rocblas_complex_numIdEPKS1_S2_S1_Ev13rocblas_fill_17rocblas_diagonal_iiT2_lPT3_llS8_llPT4_lli,comdat
	.globl	_ZL23rocblas_trmm_rTx_kernelILi16ELb0E19rocblas_complex_numIdEPKS1_S2_S1_Ev13rocblas_fill_17rocblas_diagonal_iiT2_lPT3_llS8_llPT4_lli ; -- Begin function _ZL23rocblas_trmm_rTx_kernelILi16ELb0E19rocblas_complex_numIdEPKS1_S2_S1_Ev13rocblas_fill_17rocblas_diagonal_iiT2_lPT3_llS8_llPT4_lli
	.p2align	8
	.type	_ZL23rocblas_trmm_rTx_kernelILi16ELb0E19rocblas_complex_numIdEPKS1_S2_S1_Ev13rocblas_fill_17rocblas_diagonal_iiT2_lPT3_llS8_llPT4_lli,@function
_ZL23rocblas_trmm_rTx_kernelILi16ELb0E19rocblas_complex_numIdEPKS1_S2_S1_Ev13rocblas_fill_17rocblas_diagonal_iiT2_lPT3_llS8_llPT4_lli: ; @_ZL23rocblas_trmm_rTx_kernelILi16ELb0E19rocblas_complex_numIdEPKS1_S2_S1_Ev13rocblas_fill_17rocblas_diagonal_iiT2_lPT3_llS8_llPT4_lli
; %bb.0:
	s_load_b32 s3, s[0:1], 0x68
	s_lshr_b32 s28, ttmp7, 16
	s_wait_kmcnt 0x0
	s_cmp_ge_u32 s28, s3
	s_cbranch_scc1 .LBB140_19
; %bb.1:
	s_clause 0x1
	s_load_b128 s[20:23], s[0:1], 0x0
	s_load_b512 s[4:19], s[0:1], 0x10
	v_bfe_u32 v18, v0, 10, 10
	s_clause 0x1
	s_load_b128 s[24:27], s[0:1], 0x50
	s_load_b64 s[30:31], s[0:1], 0x60
	v_dual_mov_b32 v0, 0 :: v_dual_and_b32 v1, 0x3ff, v0
	s_mov_b32 s29, 0
	s_wait_kmcnt 0x0
	s_add_co_i32 s1, s22, -1
	v_mad_co_u64_u32 v[4:5], null, s10, v18, 0
	v_mad_co_u64_u32 v[6:7], null, s16, v18, 0
	s_ashr_i32 s0, s1, 31
	v_mad_co_u64_u32 v[15:16], null, s26, v18, 0
	s_lshr_b32 s2, s0, 28
	v_cmp_gt_i32_e32 vcc_lo, s23, v18
	s_add_co_i32 s1, s1, s2
	v_mad_co_u64_u32 v[11:12], null, s11, v18, v[5:6]
	v_lshlrev_b32_e32 v8, 4, v18
	s_ashr_i32 s2, s1, 4
	s_and_b32 s1, s1, -16
	v_cmp_gt_i32_e64 s0, s23, v1
	s_sub_co_i32 s1, s22, s1
	s_cmp_ge_i32 ttmp9, s2
	v_mov_b32_e32 v5, v11
	v_mad_co_u64_u32 v[13:14], null, s17, v18, v[7:8]
	s_cselect_b32 s1, s1, 16
	v_mov_b32_e32 v2, v0
	v_lshlrev_b64_e32 v[4:5], 4, v[4:5]
	s_and_b32 s10, vcc_lo, s0
	v_cmp_gt_i32_e64 s0, s1, v1
	v_dual_mov_b32 v12, v16 :: v_dual_mov_b32 v7, v13
	v_lshlrev_b64_e32 v[2:3], 4, v[1:2]
	s_lshl_b32 s16, ttmp9, 4
	s_and_b32 s11, vcc_lo, s0
	v_add_co_u32 v11, vcc_lo, s8, v4
	v_mad_co_u64_u32 v[16:17], null, s27, v18, v[12:13]
	s_wait_alu 0xfffe
	s_ashr_i32 s17, s16, 31
	v_add_co_ci_u32_e64 v12, null, s9, v5, vcc_lo
	v_lshlrev_b64_e32 v[4:5], 4, v[6:7]
	s_wait_alu 0xfffe
	s_lshl_b64 s[16:17], s[16:17], 4
	v_add_co_u32 v11, vcc_lo, v11, v2
	s_wait_alu 0xfffe
	s_add_nc_u64 s[14:15], s[14:15], s[16:17]
	s_wait_alu 0xfffd
	v_add_co_ci_u32_e64 v12, null, v12, v3, vcc_lo
	v_add_co_u32 v4, vcc_lo, s14, v4
	s_wait_alu 0xfffd
	v_add_co_ci_u32_e64 v5, null, s15, v5, vcc_lo
	v_cmp_eq_u32_e32 vcc_lo, v18, v1
	s_delay_alu instid0(VALU_DEP_3) | instskip(SKIP_1) | instid1(VALU_DEP_3)
	v_add_co_u32 v13, s0, v4, v2
	s_wait_alu 0xf1ff
	v_add_co_ci_u32_e64 v14, null, v5, v3, s0
	v_lshlrev_b64_e32 v[4:5], 4, v[15:16]
	s_cmp_eq_u32 s21, 0x84
	s_add_nc_u64 s[16:17], s[24:25], s[16:17]
	s_cselect_b32 s0, -1, 0
	v_add_lshl_u32 v9, v8, v1, 4
	s_wait_alu 0xfffe
	s_and_b32 s8, vcc_lo, s0
	v_add_co_u32 v4, vcc_lo, s16, v4
	s_wait_alu 0xfffd
	v_add_co_ci_u32_e64 v5, null, s17, v5, vcc_lo
	v_add_nc_u32_e32 v10, 0x1000, v9
	s_delay_alu instid0(VALU_DEP_3)
	v_add_co_u32 v16, vcc_lo, v4, v2
	v_cmp_lt_u32_e64 s0, v1, v18
	v_cmp_gt_u32_e64 s1, v1, v18
	v_lshl_add_u32 v15, v1, 4, 0x1000
	s_wait_alu 0xfffd
	v_add_co_ci_u32_e64 v17, null, v5, v3, vcc_lo
	v_mov_b32_e32 v1, 0x3ff00000
	s_cmp_lg_u32 s20, 0x79
	s_cselect_b32 s9, -1, 0
	s_branch .LBB140_4
.LBB140_2:                              ;   in Loop: Header=BB140_4 Depth=1
	s_or_b32 exec_lo, exec_lo, s2
.LBB140_3:                              ;   in Loop: Header=BB140_4 Depth=1
	s_add_co_i32 s28, s28, 0x10000
	s_delay_alu instid0(SALU_CYCLE_1)
	s_cmp_lt_u32 s28, s3
	s_cbranch_scc0 .LBB140_19
.LBB140_4:                              ; =>This Inner Loop Header: Depth=1
	s_mul_u64 s[14:15], s[6:7], s[28:29]
	s_wait_alu 0xfffe
	s_lshl_b64 s[14:15], s[14:15], 4
	s_wait_alu 0xfffe
	s_add_nc_u64 s[14:15], s[4:5], s[14:15]
	global_load_b128 v[4:7], v0, s[14:15]
	s_wait_loadcnt 0x0
	v_cmp_neq_f64_e32 vcc_lo, 0, v[4:5]
	v_cmp_neq_f64_e64 s2, 0, v[6:7]
	s_or_b32 s2, vcc_lo, s2
	s_delay_alu instid0(SALU_CYCLE_1)
	s_and_not1_b32 vcc_lo, exec_lo, s2
	s_wait_alu 0xfffe
	s_cbranch_vccnz .LBB140_3
; %bb.5:                                ;   in Loop: Header=BB140_4 Depth=1
	s_mov_b32 s20, s29
	s_mov_b32 s21, s29
	;; [unrolled: 1-line block ×4, first 2 shown]
	s_wait_alu 0xfffe
	v_dual_mov_b32 v18, s20 :: v_dual_mov_b32 v19, s21
	v_dual_mov_b32 v20, s22 :: v_dual_mov_b32 v21, s23
	ds_store_b128 v9, v[18:21]
	ds_store_b128 v10, v[18:21]
	s_and_saveexec_b32 s2, s10
	s_cbranch_execnz .LBB140_10
; %bb.6:                                ;   in Loop: Header=BB140_4 Depth=1
	s_or_b32 exec_lo, exec_lo, s2
	s_and_saveexec_b32 s2, s11
	s_cbranch_execnz .LBB140_11
.LBB140_7:                              ;   in Loop: Header=BB140_4 Depth=1
	s_or_b32 exec_lo, exec_lo, s2
	s_and_saveexec_b32 s2, s8
	s_cbranch_execnz .LBB140_12
.LBB140_8:                              ;   in Loop: Header=BB140_4 Depth=1
	s_or_b32 exec_lo, exec_lo, s2
	s_delay_alu instid0(SALU_CYCLE_1)
	s_and_b32 vcc_lo, exec_lo, s9
	s_wait_alu 0xfffe
	s_cbranch_vccz .LBB140_13
.LBB140_9:                              ;   in Loop: Header=BB140_4 Depth=1
	s_and_b32 s2, s0, exec_lo
	s_cbranch_execz .LBB140_14
	s_branch .LBB140_15
.LBB140_10:                             ;   in Loop: Header=BB140_4 Depth=1
	s_mul_u64 s[14:15], s[12:13], s[28:29]
	s_wait_alu 0xfffe
	s_lshl_b64 s[14:15], s[14:15], 4
	s_wait_alu 0xfffe
	v_add_co_u32 v2, vcc_lo, v11, s14
	s_wait_alu 0xfffd
	v_add_co_ci_u32_e64 v3, null, s15, v12, vcc_lo
	global_load_b128 v[18:21], v[2:3], off
	s_wait_loadcnt 0x0
	ds_store_2addr_b64 v9, v[18:19], v[20:21] offset1:1
	s_or_b32 exec_lo, exec_lo, s2
	s_and_saveexec_b32 s2, s11
	s_cbranch_execz .LBB140_7
.LBB140_11:                             ;   in Loop: Header=BB140_4 Depth=1
	s_mul_u64 s[14:15], s[18:19], s[28:29]
	s_wait_alu 0xfffe
	s_lshl_b64 s[14:15], s[14:15], 4
	s_wait_alu 0xfffe
	v_add_co_u32 v2, vcc_lo, v13, s14
	s_wait_alu 0xfffd
	v_add_co_ci_u32_e64 v3, null, s15, v14, vcc_lo
	global_load_b128 v[18:21], v[2:3], off
	s_wait_loadcnt 0x0
	ds_store_2addr_b64 v10, v[18:19], v[20:21] offset1:1
	s_or_b32 exec_lo, exec_lo, s2
	s_and_saveexec_b32 s2, s8
	s_cbranch_execz .LBB140_8
.LBB140_12:                             ;   in Loop: Header=BB140_4 Depth=1
	v_dual_mov_b32 v2, v0 :: v_dual_mov_b32 v3, v0
	ds_store_b128 v9, v[0:3]
	s_or_b32 exec_lo, exec_lo, s2
	s_delay_alu instid0(SALU_CYCLE_1)
	s_and_b32 vcc_lo, exec_lo, s9
	s_wait_alu 0xfffe
	s_cbranch_vccnz .LBB140_9
.LBB140_13:                             ;   in Loop: Header=BB140_4 Depth=1
	s_mov_b32 s2, 0
.LBB140_14:                             ;   in Loop: Header=BB140_4 Depth=1
	s_delay_alu instid0(SALU_CYCLE_1)
	s_and_not1_b32 s2, s2, exec_lo
	s_and_b32 s14, s1, exec_lo
	s_wait_alu 0xfffe
	s_or_b32 s2, s2, s14
.LBB140_15:                             ;   in Loop: Header=BB140_4 Depth=1
	s_delay_alu instid0(SALU_CYCLE_1)
	s_and_saveexec_b32 s14, s2
; %bb.16:                               ;   in Loop: Header=BB140_4 Depth=1
	v_dual_mov_b32 v18, v0 :: v_dual_mov_b32 v19, v0
	v_dual_mov_b32 v20, v0 :: v_dual_mov_b32 v21, v0
	ds_store_b128 v9, v[18:21]
; %bb.17:                               ;   in Loop: Header=BB140_4 Depth=1
	s_wait_alu 0xfffe
	s_or_b32 exec_lo, exec_lo, s14
	s_wait_dscnt 0x0
	s_barrier_signal -1
	s_barrier_wait -1
	global_inv scope:SCOPE_SE
	s_and_saveexec_b32 s2, s11
	s_cbranch_execz .LBB140_2
; %bb.18:                               ;   in Loop: Header=BB140_4 Depth=1
	ds_load_b128 v[18:21], v15
	ds_load_b128 v[22:25], v8
	ds_load_b128 v[26:29], v8 offset:256
	ds_load_b128 v[30:33], v15 offset:256
	ds_load_b128 v[34:37], v15 offset:512
	ds_load_b128 v[38:41], v8 offset:512
	ds_load_b128 v[42:45], v8 offset:768
	ds_load_b128 v[46:49], v15 offset:768
	s_mul_u64 s[14:15], s[30:31], s[28:29]
	s_wait_alu 0xfffe
	s_lshl_b64 s[14:15], s[14:15], 4
	s_wait_dscnt 0x6
	v_mul_f64_e32 v[2:3], v[22:23], v[20:21]
	v_mul_f64_e32 v[20:21], v[24:25], v[20:21]
	s_wait_dscnt 0x4
	v_mul_f64_e32 v[50:51], v[26:27], v[32:33]
	v_mul_f64_e32 v[32:33], v[28:29], v[32:33]
	s_delay_alu instid0(VALU_DEP_4) | instskip(SKIP_2) | instid1(VALU_DEP_4)
	v_fma_f64 v[2:3], v[24:25], v[18:19], v[2:3]
	s_wait_dscnt 0x2
	v_mul_f64_e32 v[24:25], v[38:39], v[36:37]
	v_fma_f64 v[28:29], v[28:29], v[30:31], v[50:51]
	v_fma_f64 v[18:19], v[22:23], v[18:19], -v[20:21]
	s_wait_dscnt 0x0
	v_mul_f64_e32 v[50:51], v[42:43], v[48:49]
	v_mul_f64_e32 v[36:37], v[40:41], v[36:37]
	v_fma_f64 v[52:53], v[26:27], v[30:31], -v[32:33]
	v_mul_f64_e32 v[48:49], v[44:45], v[48:49]
	v_add_f64_e32 v[2:3], 0, v[2:3]
	v_fma_f64 v[40:41], v[40:41], v[34:35], v[24:25]
	v_add_f64_e32 v[54:55], 0, v[18:19]
	v_fma_f64 v[44:45], v[44:45], v[46:47], v[50:51]
	v_fma_f64 v[34:35], v[38:39], v[34:35], -v[36:37]
	v_add_f64_e32 v[2:3], v[2:3], v[28:29]
	ds_load_b128 v[18:21], v15 offset:1024
	ds_load_b128 v[22:25], v8 offset:1024
	ds_load_b128 v[26:29], v8 offset:1280
	ds_load_b128 v[30:33], v15 offset:1280
	v_add_f64_e32 v[36:37], v[54:55], v[52:53]
	v_fma_f64 v[52:53], v[42:43], v[46:47], -v[48:49]
	s_wait_dscnt 0x2
	v_mul_f64_e32 v[56:57], v[22:23], v[20:21]
	v_mul_f64_e32 v[20:21], v[24:25], v[20:21]
	s_wait_dscnt 0x0
	v_mul_f64_e32 v[50:51], v[26:27], v[32:33]
	v_mul_f64_e32 v[32:33], v[28:29], v[32:33]
	v_add_f64_e32 v[2:3], v[2:3], v[40:41]
	v_add_f64_e32 v[54:55], v[36:37], v[34:35]
	v_fma_f64 v[24:25], v[24:25], v[18:19], v[56:57]
	v_fma_f64 v[18:19], v[22:23], v[18:19], -v[20:21]
	v_fma_f64 v[28:29], v[28:29], v[30:31], v[50:51]
	v_add_f64_e32 v[2:3], v[2:3], v[44:45]
	ds_load_b128 v[34:37], v15 offset:1536
	ds_load_b128 v[38:41], v8 offset:1536
	ds_load_b128 v[42:45], v8 offset:1792
	ds_load_b128 v[46:49], v15 offset:1792
	v_add_f64_e32 v[20:21], v[54:55], v[52:53]
	v_fma_f64 v[52:53], v[26:27], v[30:31], -v[32:33]
	s_wait_dscnt 0x2
	v_mul_f64_e32 v[56:57], v[38:39], v[36:37]
	v_mul_f64_e32 v[36:37], v[40:41], v[36:37]
	s_wait_dscnt 0x0
	v_mul_f64_e32 v[50:51], v[42:43], v[48:49]
	v_mul_f64_e32 v[48:49], v[44:45], v[48:49]
	v_add_f64_e32 v[2:3], v[2:3], v[24:25]
	v_add_f64_e32 v[54:55], v[20:21], v[18:19]
	v_fma_f64 v[40:41], v[40:41], v[34:35], v[56:57]
	v_fma_f64 v[34:35], v[38:39], v[34:35], -v[36:37]
	v_fma_f64 v[44:45], v[44:45], v[46:47], v[50:51]
	;; [unrolled: 18-line block ×5, first 2 shown]
	v_fma_f64 v[26:27], v[26:27], v[30:31], -v[32:33]
	v_add_f64_e32 v[2:3], v[2:3], v[44:45]
	ds_load_b128 v[34:37], v15 offset:3584
	ds_load_b128 v[38:41], v8 offset:3584
	;; [unrolled: 1-line block ×4, first 2 shown]
	v_add_f64_e32 v[20:21], v[54:55], v[52:53]
	s_wait_dscnt 0x2
	v_mul_f64_e32 v[56:57], v[38:39], v[36:37]
	s_wait_dscnt 0x0
	v_mul_f64_e32 v[22:23], v[42:43], v[48:49]
	v_add_f64_e32 v[2:3], v[2:3], v[24:25]
	v_mul_f64_e32 v[24:25], v[40:41], v[36:37]
	v_add_f64_e32 v[18:19], v[20:21], v[18:19]
	v_mul_f64_e32 v[20:21], v[44:45], v[48:49]
	v_fma_f64 v[36:37], v[40:41], v[34:35], v[56:57]
	v_fma_f64 v[22:23], v[44:45], v[46:47], v[22:23]
	v_add_f64_e32 v[2:3], v[2:3], v[28:29]
	v_fma_f64 v[24:25], v[38:39], v[34:35], -v[24:25]
	v_add_f64_e32 v[18:19], v[18:19], v[26:27]
	v_fma_f64 v[20:21], v[42:43], v[46:47], -v[20:21]
	s_delay_alu instid0(VALU_DEP_4) | instskip(NEXT) | instid1(VALU_DEP_3)
	v_add_f64_e32 v[2:3], v[2:3], v[36:37]
	v_add_f64_e32 v[18:19], v[18:19], v[24:25]
	s_delay_alu instid0(VALU_DEP_2) | instskip(NEXT) | instid1(VALU_DEP_2)
	v_add_f64_e32 v[2:3], v[2:3], v[22:23]
	v_add_f64_e32 v[18:19], v[18:19], v[20:21]
	s_delay_alu instid0(VALU_DEP_2) | instskip(SKIP_1) | instid1(VALU_DEP_2)
	v_mul_f64_e32 v[20:21], v[4:5], v[2:3]
	v_mul_f64_e32 v[2:3], v[6:7], v[2:3]
	v_fma_f64 v[6:7], v[6:7], v[18:19], v[20:21]
	s_delay_alu instid0(VALU_DEP_2)
	v_fma_f64 v[4:5], v[4:5], v[18:19], -v[2:3]
	s_wait_alu 0xfffe
	v_add_co_u32 v2, vcc_lo, v16, s14
	s_wait_alu 0xfffd
	v_add_co_ci_u32_e64 v3, null, s15, v17, vcc_lo
	global_store_b128 v[2:3], v[4:7], off
	s_branch .LBB140_2
.LBB140_19:
	s_endpgm
	.section	.rodata,"a",@progbits
	.p2align	6, 0x0
	.amdhsa_kernel _ZL23rocblas_trmm_rTx_kernelILi16ELb0E19rocblas_complex_numIdEPKS1_S2_S1_Ev13rocblas_fill_17rocblas_diagonal_iiT2_lPT3_llS8_llPT4_lli
		.amdhsa_group_segment_fixed_size 8192
		.amdhsa_private_segment_fixed_size 0
		.amdhsa_kernarg_size 108
		.amdhsa_user_sgpr_count 2
		.amdhsa_user_sgpr_dispatch_ptr 0
		.amdhsa_user_sgpr_queue_ptr 0
		.amdhsa_user_sgpr_kernarg_segment_ptr 1
		.amdhsa_user_sgpr_dispatch_id 0
		.amdhsa_user_sgpr_private_segment_size 0
		.amdhsa_wavefront_size32 1
		.amdhsa_uses_dynamic_stack 0
		.amdhsa_enable_private_segment 0
		.amdhsa_system_sgpr_workgroup_id_x 1
		.amdhsa_system_sgpr_workgroup_id_y 0
		.amdhsa_system_sgpr_workgroup_id_z 1
		.amdhsa_system_sgpr_workgroup_info 0
		.amdhsa_system_vgpr_workitem_id 1
		.amdhsa_next_free_vgpr 58
		.amdhsa_next_free_sgpr 32
		.amdhsa_reserve_vcc 1
		.amdhsa_float_round_mode_32 0
		.amdhsa_float_round_mode_16_64 0
		.amdhsa_float_denorm_mode_32 3
		.amdhsa_float_denorm_mode_16_64 3
		.amdhsa_fp16_overflow 0
		.amdhsa_workgroup_processor_mode 1
		.amdhsa_memory_ordered 1
		.amdhsa_forward_progress 1
		.amdhsa_inst_pref_size 15
		.amdhsa_round_robin_scheduling 0
		.amdhsa_exception_fp_ieee_invalid_op 0
		.amdhsa_exception_fp_denorm_src 0
		.amdhsa_exception_fp_ieee_div_zero 0
		.amdhsa_exception_fp_ieee_overflow 0
		.amdhsa_exception_fp_ieee_underflow 0
		.amdhsa_exception_fp_ieee_inexact 0
		.amdhsa_exception_int_div_zero 0
	.end_amdhsa_kernel
	.section	.text._ZL23rocblas_trmm_rTx_kernelILi16ELb0E19rocblas_complex_numIdEPKS1_S2_S1_Ev13rocblas_fill_17rocblas_diagonal_iiT2_lPT3_llS8_llPT4_lli,"axG",@progbits,_ZL23rocblas_trmm_rTx_kernelILi16ELb0E19rocblas_complex_numIdEPKS1_S2_S1_Ev13rocblas_fill_17rocblas_diagonal_iiT2_lPT3_llS8_llPT4_lli,comdat
.Lfunc_end140:
	.size	_ZL23rocblas_trmm_rTx_kernelILi16ELb0E19rocblas_complex_numIdEPKS1_S2_S1_Ev13rocblas_fill_17rocblas_diagonal_iiT2_lPT3_llS8_llPT4_lli, .Lfunc_end140-_ZL23rocblas_trmm_rTx_kernelILi16ELb0E19rocblas_complex_numIdEPKS1_S2_S1_Ev13rocblas_fill_17rocblas_diagonal_iiT2_lPT3_llS8_llPT4_lli
                                        ; -- End function
	.set _ZL23rocblas_trmm_rTx_kernelILi16ELb0E19rocblas_complex_numIdEPKS1_S2_S1_Ev13rocblas_fill_17rocblas_diagonal_iiT2_lPT3_llS8_llPT4_lli.num_vgpr, 58
	.set _ZL23rocblas_trmm_rTx_kernelILi16ELb0E19rocblas_complex_numIdEPKS1_S2_S1_Ev13rocblas_fill_17rocblas_diagonal_iiT2_lPT3_llS8_llPT4_lli.num_agpr, 0
	.set _ZL23rocblas_trmm_rTx_kernelILi16ELb0E19rocblas_complex_numIdEPKS1_S2_S1_Ev13rocblas_fill_17rocblas_diagonal_iiT2_lPT3_llS8_llPT4_lli.numbered_sgpr, 32
	.set _ZL23rocblas_trmm_rTx_kernelILi16ELb0E19rocblas_complex_numIdEPKS1_S2_S1_Ev13rocblas_fill_17rocblas_diagonal_iiT2_lPT3_llS8_llPT4_lli.num_named_barrier, 0
	.set _ZL23rocblas_trmm_rTx_kernelILi16ELb0E19rocblas_complex_numIdEPKS1_S2_S1_Ev13rocblas_fill_17rocblas_diagonal_iiT2_lPT3_llS8_llPT4_lli.private_seg_size, 0
	.set _ZL23rocblas_trmm_rTx_kernelILi16ELb0E19rocblas_complex_numIdEPKS1_S2_S1_Ev13rocblas_fill_17rocblas_diagonal_iiT2_lPT3_llS8_llPT4_lli.uses_vcc, 1
	.set _ZL23rocblas_trmm_rTx_kernelILi16ELb0E19rocblas_complex_numIdEPKS1_S2_S1_Ev13rocblas_fill_17rocblas_diagonal_iiT2_lPT3_llS8_llPT4_lli.uses_flat_scratch, 0
	.set _ZL23rocblas_trmm_rTx_kernelILi16ELb0E19rocblas_complex_numIdEPKS1_S2_S1_Ev13rocblas_fill_17rocblas_diagonal_iiT2_lPT3_llS8_llPT4_lli.has_dyn_sized_stack, 0
	.set _ZL23rocblas_trmm_rTx_kernelILi16ELb0E19rocblas_complex_numIdEPKS1_S2_S1_Ev13rocblas_fill_17rocblas_diagonal_iiT2_lPT3_llS8_llPT4_lli.has_recursion, 0
	.set _ZL23rocblas_trmm_rTx_kernelILi16ELb0E19rocblas_complex_numIdEPKS1_S2_S1_Ev13rocblas_fill_17rocblas_diagonal_iiT2_lPT3_llS8_llPT4_lli.has_indirect_call, 0
	.section	.AMDGPU.csdata,"",@progbits
; Kernel info:
; codeLenInByte = 1904
; TotalNumSgprs: 34
; NumVgprs: 58
; ScratchSize: 0
; MemoryBound: 0
; FloatMode: 240
; IeeeMode: 1
; LDSByteSize: 8192 bytes/workgroup (compile time only)
; SGPRBlocks: 0
; VGPRBlocks: 7
; NumSGPRsForWavesPerEU: 34
; NumVGPRsForWavesPerEU: 58
; Occupancy: 16
; WaveLimiterHint : 0
; COMPUTE_PGM_RSRC2:SCRATCH_EN: 0
; COMPUTE_PGM_RSRC2:USER_SGPR: 2
; COMPUTE_PGM_RSRC2:TRAP_HANDLER: 0
; COMPUTE_PGM_RSRC2:TGID_X_EN: 1
; COMPUTE_PGM_RSRC2:TGID_Y_EN: 0
; COMPUTE_PGM_RSRC2:TGID_Z_EN: 1
; COMPUTE_PGM_RSRC2:TIDIG_COMP_CNT: 1
	.section	.text._ZL23rocblas_trmm_rTx_kernelILi16ELb0E19rocblas_complex_numIdES1_KS1_S1_Ev13rocblas_fill_17rocblas_diagonal_iiT2_lPT3_llS7_llPT4_lli,"axG",@progbits,_ZL23rocblas_trmm_rTx_kernelILi16ELb0E19rocblas_complex_numIdES1_KS1_S1_Ev13rocblas_fill_17rocblas_diagonal_iiT2_lPT3_llS7_llPT4_lli,comdat
	.globl	_ZL23rocblas_trmm_rTx_kernelILi16ELb0E19rocblas_complex_numIdES1_KS1_S1_Ev13rocblas_fill_17rocblas_diagonal_iiT2_lPT3_llS7_llPT4_lli ; -- Begin function _ZL23rocblas_trmm_rTx_kernelILi16ELb0E19rocblas_complex_numIdES1_KS1_S1_Ev13rocblas_fill_17rocblas_diagonal_iiT2_lPT3_llS7_llPT4_lli
	.p2align	8
	.type	_ZL23rocblas_trmm_rTx_kernelILi16ELb0E19rocblas_complex_numIdES1_KS1_S1_Ev13rocblas_fill_17rocblas_diagonal_iiT2_lPT3_llS7_llPT4_lli,@function
_ZL23rocblas_trmm_rTx_kernelILi16ELb0E19rocblas_complex_numIdES1_KS1_S1_Ev13rocblas_fill_17rocblas_diagonal_iiT2_lPT3_llS7_llPT4_lli: ; @_ZL23rocblas_trmm_rTx_kernelILi16ELb0E19rocblas_complex_numIdES1_KS1_S1_Ev13rocblas_fill_17rocblas_diagonal_iiT2_lPT3_llS7_llPT4_lli
; %bb.0:
	s_load_b32 s33, s[0:1], 0x70
	s_lshr_b32 s28, ttmp7, 16
	s_wait_kmcnt 0x0
	s_cmp_ge_u32 s28, s33
	s_cbranch_scc1 .LBB141_19
; %bb.1:
	s_clause 0x1
	s_load_b256 s[20:27], s[0:1], 0x0
	s_load_b512 s[4:19], s[0:1], 0x28
	v_bfe_u32 v17, v0, 10, 10
	s_load_b64 s[30:31], s[0:1], 0x68
	v_dual_mov_b32 v0, 0 :: v_dual_and_b32 v1, 0x3ff, v0
	s_mov_b32 s29, 0
	s_delay_alu instid0(VALU_DEP_2) | instskip(NEXT) | instid1(VALU_DEP_2)
	v_lshlrev_b32_e32 v4, 4, v17
	v_cmp_eq_u32_e32 vcc_lo, v17, v1
	s_delay_alu instid0(VALU_DEP_3) | instskip(NEXT) | instid1(VALU_DEP_3)
	v_mov_b32_e32 v2, v0
	v_add_lshl_u32 v5, v4, v1, 4
	s_delay_alu instid0(VALU_DEP_2) | instskip(NEXT) | instid1(VALU_DEP_2)
	v_lshlrev_b64_e32 v[2:3], 4, v[1:2]
	v_add_nc_u32_e32 v6, 0x1000, v5
	s_wait_kmcnt 0x0
	v_cmp_neq_f64_e64 s2, s[24:25], 0
	v_cmp_neq_f64_e64 s3, s[26:27], 0
	v_mad_co_u64_u32 v[7:8], null, s6, v17, 0
	v_mad_co_u64_u32 v[9:10], null, s12, v17, 0
	;; [unrolled: 1-line block ×3, first 2 shown]
	s_add_co_i32 s1, s22, -1
	v_cmp_gt_i32_e64 s0, s23, v17
	s_ashr_i32 s6, s1, 31
	v_mad_co_u64_u32 v[13:14], null, s7, v17, v[8:9]
	v_mad_co_u64_u32 v[14:15], null, s13, v17, v[10:11]
	s_wait_alu 0xfffe
	s_lshr_b32 s6, s6, 28
	s_wait_alu 0xfffe
	s_add_co_i32 s6, s1, s6
	v_cmp_gt_i32_e64 s1, s23, v1
	s_delay_alu instid0(VALU_DEP_3)
	v_mov_b32_e32 v8, v13
	s_wait_alu 0xfffe
	s_and_b32 s7, s6, -16
	v_mad_co_u64_u32 v[15:16], null, s19, v17, v[12:13]
	s_ashr_i32 s12, s6, 4
	v_lshlrev_b64_e32 v[7:8], 4, v[7:8]
	v_mov_b32_e32 v10, v14
	s_wait_alu 0xfffe
	s_sub_co_i32 s7, s22, s7
	v_mov_b32_e32 v12, v15
	s_delay_alu instid0(VALU_DEP_2) | instskip(NEXT) | instid1(VALU_DEP_2)
	v_lshlrev_b64_e32 v[9:10], 4, v[9:10]
	v_lshlrev_b64_e32 v[11:12], 4, v[11:12]
	s_or_b32 s6, s2, s3
	s_cmp_ge_i32 ttmp9, s12
	v_add_co_u32 v7, s2, s4, v7
	s_wait_alu 0xfffe
	s_cselect_b32 s3, s7, 16
	s_lshl_b32 s12, ttmp9, 4
	v_add_co_ci_u32_e64 v8, null, s5, v8, s2
	s_wait_alu 0xfffe
	s_ashr_i32 s13, s12, 31
	v_cmp_gt_i32_e64 s2, s3, v1
	s_wait_alu 0xfffe
	s_lshl_b64 s[4:5], s[12:13], 4
	v_add_co_u32 v7, s3, v7, v2
	s_wait_alu 0xfffe
	s_add_nc_u64 s[10:11], s[10:11], s[4:5]
	v_add_co_ci_u32_e64 v8, null, v8, v3, s3
	s_and_b32 s3, s0, s1
	s_and_b32 s2, s0, s2
	v_add_co_u32 v9, s0, s10, v9
	s_cmp_eq_u32 s21, 0x84
	v_add_co_ci_u32_e64 v10, null, s11, v10, s0
	s_cselect_b32 s1, -1, 0
	s_add_nc_u64 s[12:13], s[16:17], s[4:5]
	s_wait_alu 0xfffe
	s_and_b32 s4, vcc_lo, s1
	v_add_co_u32 v9, vcc_lo, v9, v2
	s_delay_alu instid0(VALU_DEP_1) | instskip(SKIP_4) | instid1(VALU_DEP_3)
	v_add_co_ci_u32_e64 v10, null, v10, v3, vcc_lo
	v_add_co_u32 v13, vcc_lo, s12, v11
	s_wait_alu 0xfffd
	v_add_co_ci_u32_e64 v14, null, s13, v12, vcc_lo
	v_cmp_lt_u32_e64 s0, v1, v17
	v_add_co_u32 v12, vcc_lo, v13, v2
	v_cmp_gt_u32_e64 s1, v1, v17
	v_lshl_add_u32 v11, v1, 4, 0x1000
	s_wait_alu 0xfffd
	v_add_co_ci_u32_e64 v13, null, v14, v3, vcc_lo
	v_mov_b32_e32 v1, 0x3ff00000
	s_cmp_lg_u32 s20, 0x79
	s_cselect_b32 s5, -1, 0
	s_branch .LBB141_4
.LBB141_2:                              ;   in Loop: Header=BB141_4 Depth=1
	s_wait_alu 0xfffe
	s_or_b32 exec_lo, exec_lo, s7
.LBB141_3:                              ;   in Loop: Header=BB141_4 Depth=1
	s_add_co_i32 s28, s28, 0x10000
	s_delay_alu instid0(SALU_CYCLE_1)
	s_cmp_lt_u32 s28, s33
	s_cbranch_scc0 .LBB141_19
.LBB141_4:                              ; =>This Inner Loop Header: Depth=1
	s_and_not1_b32 vcc_lo, exec_lo, s6
	s_wait_alu 0xfffe
	s_cbranch_vccnz .LBB141_3
; %bb.5:                                ;   in Loop: Header=BB141_4 Depth=1
	s_mov_b32 s16, s29
	s_mov_b32 s17, s29
	;; [unrolled: 1-line block ×4, first 2 shown]
	s_wait_alu 0xfffe
	v_dual_mov_b32 v14, s16 :: v_dual_mov_b32 v15, s17
	v_dual_mov_b32 v16, s18 :: v_dual_mov_b32 v17, s19
	ds_store_b128 v5, v[14:17]
	ds_store_b128 v6, v[14:17]
	s_and_saveexec_b32 s7, s3
	s_cbranch_execnz .LBB141_10
; %bb.6:                                ;   in Loop: Header=BB141_4 Depth=1
	s_wait_alu 0xfffe
	s_or_b32 exec_lo, exec_lo, s7
	s_and_saveexec_b32 s7, s2
	s_cbranch_execnz .LBB141_11
.LBB141_7:                              ;   in Loop: Header=BB141_4 Depth=1
	s_wait_alu 0xfffe
	s_or_b32 exec_lo, exec_lo, s7
	s_and_saveexec_b32 s7, s4
	s_cbranch_execnz .LBB141_12
.LBB141_8:                              ;   in Loop: Header=BB141_4 Depth=1
	s_wait_alu 0xfffe
	s_or_b32 exec_lo, exec_lo, s7
	s_delay_alu instid0(SALU_CYCLE_1)
	s_and_b32 vcc_lo, exec_lo, s5
	s_wait_alu 0xfffe
	s_cbranch_vccz .LBB141_13
.LBB141_9:                              ;   in Loop: Header=BB141_4 Depth=1
	s_and_b32 s7, s0, exec_lo
	s_cbranch_execz .LBB141_14
	s_branch .LBB141_15
.LBB141_10:                             ;   in Loop: Header=BB141_4 Depth=1
	s_mul_u64 s[10:11], s[8:9], s[28:29]
	s_wait_alu 0xfffe
	s_lshl_b64 s[10:11], s[10:11], 4
	s_wait_alu 0xfffe
	v_add_co_u32 v2, vcc_lo, v7, s10
	s_wait_alu 0xfffd
	v_add_co_ci_u32_e64 v3, null, s11, v8, vcc_lo
	global_load_b128 v[14:17], v[2:3], off
	s_wait_loadcnt 0x0
	ds_store_2addr_b64 v5, v[14:15], v[16:17] offset1:1
	s_or_b32 exec_lo, exec_lo, s7
	s_and_saveexec_b32 s7, s2
	s_cbranch_execz .LBB141_7
.LBB141_11:                             ;   in Loop: Header=BB141_4 Depth=1
	s_mul_u64 s[10:11], s[14:15], s[28:29]
	s_wait_alu 0xfffe
	s_lshl_b64 s[10:11], s[10:11], 4
	s_wait_alu 0xfffe
	v_add_co_u32 v2, vcc_lo, v9, s10
	s_wait_alu 0xfffd
	v_add_co_ci_u32_e64 v3, null, s11, v10, vcc_lo
	global_load_b128 v[14:17], v[2:3], off
	s_wait_loadcnt 0x0
	ds_store_2addr_b64 v6, v[14:15], v[16:17] offset1:1
	s_or_b32 exec_lo, exec_lo, s7
	s_and_saveexec_b32 s7, s4
	s_cbranch_execz .LBB141_8
.LBB141_12:                             ;   in Loop: Header=BB141_4 Depth=1
	v_dual_mov_b32 v2, v0 :: v_dual_mov_b32 v3, v0
	ds_store_b128 v5, v[0:3]
	s_wait_alu 0xfffe
	s_or_b32 exec_lo, exec_lo, s7
	s_delay_alu instid0(SALU_CYCLE_1)
	s_and_b32 vcc_lo, exec_lo, s5
	s_wait_alu 0xfffe
	s_cbranch_vccnz .LBB141_9
.LBB141_13:                             ;   in Loop: Header=BB141_4 Depth=1
	s_mov_b32 s7, 0
.LBB141_14:                             ;   in Loop: Header=BB141_4 Depth=1
	s_wait_alu 0xfffe
	s_and_not1_b32 s7, s7, exec_lo
	s_and_b32 s10, s1, exec_lo
	s_wait_alu 0xfffe
	s_or_b32 s7, s7, s10
.LBB141_15:                             ;   in Loop: Header=BB141_4 Depth=1
	s_wait_alu 0xfffe
	s_and_saveexec_b32 s10, s7
; %bb.16:                               ;   in Loop: Header=BB141_4 Depth=1
	v_dual_mov_b32 v14, v0 :: v_dual_mov_b32 v15, v0
	v_dual_mov_b32 v16, v0 :: v_dual_mov_b32 v17, v0
	ds_store_b128 v5, v[14:17]
; %bb.17:                               ;   in Loop: Header=BB141_4 Depth=1
	s_wait_alu 0xfffe
	s_or_b32 exec_lo, exec_lo, s10
	s_wait_dscnt 0x0
	s_barrier_signal -1
	s_barrier_wait -1
	global_inv scope:SCOPE_SE
	s_and_saveexec_b32 s7, s2
	s_cbranch_execz .LBB141_2
; %bb.18:                               ;   in Loop: Header=BB141_4 Depth=1
	ds_load_b128 v[14:17], v11
	ds_load_b128 v[18:21], v4
	ds_load_b128 v[22:25], v4 offset:256
	ds_load_b128 v[26:29], v11 offset:256
	;; [unrolled: 1-line block ×6, first 2 shown]
	s_mul_u64 s[10:11], s[30:31], s[28:29]
	s_wait_alu 0xfffe
	s_lshl_b64 s[10:11], s[10:11], 4
	s_wait_dscnt 0x6
	v_mul_f64_e32 v[2:3], v[18:19], v[16:17]
	v_mul_f64_e32 v[16:17], v[20:21], v[16:17]
	s_wait_dscnt 0x4
	v_mul_f64_e32 v[46:47], v[22:23], v[28:29]
	v_mul_f64_e32 v[28:29], v[24:25], v[28:29]
	s_delay_alu instid0(VALU_DEP_4) | instskip(SKIP_2) | instid1(VALU_DEP_4)
	v_fma_f64 v[2:3], v[20:21], v[14:15], v[2:3]
	s_wait_dscnt 0x2
	v_mul_f64_e32 v[20:21], v[34:35], v[32:33]
	v_fma_f64 v[24:25], v[24:25], v[26:27], v[46:47]
	v_fma_f64 v[14:15], v[18:19], v[14:15], -v[16:17]
	s_wait_dscnt 0x0
	v_mul_f64_e32 v[46:47], v[38:39], v[44:45]
	v_mul_f64_e32 v[32:33], v[36:37], v[32:33]
	v_fma_f64 v[48:49], v[22:23], v[26:27], -v[28:29]
	v_mul_f64_e32 v[44:45], v[40:41], v[44:45]
	v_add_f64_e32 v[2:3], 0, v[2:3]
	v_fma_f64 v[36:37], v[36:37], v[30:31], v[20:21]
	v_add_f64_e32 v[50:51], 0, v[14:15]
	v_fma_f64 v[40:41], v[40:41], v[42:43], v[46:47]
	v_fma_f64 v[30:31], v[34:35], v[30:31], -v[32:33]
	v_add_f64_e32 v[2:3], v[2:3], v[24:25]
	ds_load_b128 v[14:17], v11 offset:1024
	ds_load_b128 v[18:21], v4 offset:1024
	ds_load_b128 v[22:25], v4 offset:1280
	ds_load_b128 v[26:29], v11 offset:1280
	v_add_f64_e32 v[32:33], v[50:51], v[48:49]
	v_fma_f64 v[48:49], v[38:39], v[42:43], -v[44:45]
	s_wait_dscnt 0x2
	v_mul_f64_e32 v[52:53], v[18:19], v[16:17]
	v_mul_f64_e32 v[16:17], v[20:21], v[16:17]
	s_wait_dscnt 0x0
	v_mul_f64_e32 v[46:47], v[22:23], v[28:29]
	v_mul_f64_e32 v[28:29], v[24:25], v[28:29]
	v_add_f64_e32 v[2:3], v[2:3], v[36:37]
	v_add_f64_e32 v[50:51], v[32:33], v[30:31]
	v_fma_f64 v[20:21], v[20:21], v[14:15], v[52:53]
	v_fma_f64 v[14:15], v[18:19], v[14:15], -v[16:17]
	v_fma_f64 v[24:25], v[24:25], v[26:27], v[46:47]
	v_add_f64_e32 v[2:3], v[2:3], v[40:41]
	ds_load_b128 v[30:33], v11 offset:1536
	ds_load_b128 v[34:37], v4 offset:1536
	ds_load_b128 v[38:41], v4 offset:1792
	ds_load_b128 v[42:45], v11 offset:1792
	v_add_f64_e32 v[16:17], v[50:51], v[48:49]
	v_fma_f64 v[48:49], v[22:23], v[26:27], -v[28:29]
	s_wait_dscnt 0x2
	v_mul_f64_e32 v[52:53], v[34:35], v[32:33]
	v_mul_f64_e32 v[32:33], v[36:37], v[32:33]
	s_wait_dscnt 0x0
	v_mul_f64_e32 v[46:47], v[38:39], v[44:45]
	v_mul_f64_e32 v[44:45], v[40:41], v[44:45]
	v_add_f64_e32 v[2:3], v[2:3], v[20:21]
	v_add_f64_e32 v[50:51], v[16:17], v[14:15]
	v_fma_f64 v[36:37], v[36:37], v[30:31], v[52:53]
	v_fma_f64 v[30:31], v[34:35], v[30:31], -v[32:33]
	v_fma_f64 v[40:41], v[40:41], v[42:43], v[46:47]
	;; [unrolled: 18-line block ×5, first 2 shown]
	v_fma_f64 v[22:23], v[22:23], v[26:27], -v[28:29]
	v_add_f64_e32 v[2:3], v[2:3], v[40:41]
	ds_load_b128 v[30:33], v11 offset:3584
	ds_load_b128 v[34:37], v4 offset:3584
	;; [unrolled: 1-line block ×4, first 2 shown]
	v_add_f64_e32 v[16:17], v[50:51], v[48:49]
	s_wait_dscnt 0x2
	v_mul_f64_e32 v[52:53], v[34:35], v[32:33]
	s_wait_dscnt 0x0
	v_mul_f64_e32 v[18:19], v[38:39], v[44:45]
	v_add_f64_e32 v[2:3], v[2:3], v[20:21]
	v_mul_f64_e32 v[20:21], v[36:37], v[32:33]
	v_add_f64_e32 v[14:15], v[16:17], v[14:15]
	v_mul_f64_e32 v[16:17], v[40:41], v[44:45]
	v_fma_f64 v[32:33], v[36:37], v[30:31], v[52:53]
	v_fma_f64 v[18:19], v[40:41], v[42:43], v[18:19]
	v_add_f64_e32 v[2:3], v[2:3], v[24:25]
	v_fma_f64 v[20:21], v[34:35], v[30:31], -v[20:21]
	v_add_f64_e32 v[14:15], v[14:15], v[22:23]
	v_fma_f64 v[16:17], v[38:39], v[42:43], -v[16:17]
	s_delay_alu instid0(VALU_DEP_4) | instskip(NEXT) | instid1(VALU_DEP_3)
	v_add_f64_e32 v[2:3], v[2:3], v[32:33]
	v_add_f64_e32 v[14:15], v[14:15], v[20:21]
	s_delay_alu instid0(VALU_DEP_2) | instskip(NEXT) | instid1(VALU_DEP_2)
	v_add_f64_e32 v[2:3], v[2:3], v[18:19]
	v_add_f64_e32 v[14:15], v[14:15], v[16:17]
	s_delay_alu instid0(VALU_DEP_2) | instskip(SKIP_1) | instid1(VALU_DEP_2)
	v_mul_f64_e32 v[16:17], s[24:25], v[2:3]
	v_mul_f64_e32 v[2:3], s[26:27], v[2:3]
	v_fma_f64 v[16:17], s[26:27], v[14:15], v[16:17]
	s_delay_alu instid0(VALU_DEP_2)
	v_fma_f64 v[14:15], s[24:25], v[14:15], -v[2:3]
	s_wait_alu 0xfffe
	v_add_co_u32 v2, vcc_lo, v12, s10
	s_wait_alu 0xfffd
	v_add_co_ci_u32_e64 v3, null, s11, v13, vcc_lo
	global_store_b128 v[2:3], v[14:17], off
	s_branch .LBB141_2
.LBB141_19:
	s_endpgm
	.section	.rodata,"a",@progbits
	.p2align	6, 0x0
	.amdhsa_kernel _ZL23rocblas_trmm_rTx_kernelILi16ELb0E19rocblas_complex_numIdES1_KS1_S1_Ev13rocblas_fill_17rocblas_diagonal_iiT2_lPT3_llS7_llPT4_lli
		.amdhsa_group_segment_fixed_size 8192
		.amdhsa_private_segment_fixed_size 0
		.amdhsa_kernarg_size 116
		.amdhsa_user_sgpr_count 2
		.amdhsa_user_sgpr_dispatch_ptr 0
		.amdhsa_user_sgpr_queue_ptr 0
		.amdhsa_user_sgpr_kernarg_segment_ptr 1
		.amdhsa_user_sgpr_dispatch_id 0
		.amdhsa_user_sgpr_private_segment_size 0
		.amdhsa_wavefront_size32 1
		.amdhsa_uses_dynamic_stack 0
		.amdhsa_enable_private_segment 0
		.amdhsa_system_sgpr_workgroup_id_x 1
		.amdhsa_system_sgpr_workgroup_id_y 0
		.amdhsa_system_sgpr_workgroup_id_z 1
		.amdhsa_system_sgpr_workgroup_info 0
		.amdhsa_system_vgpr_workitem_id 1
		.amdhsa_next_free_vgpr 54
		.amdhsa_next_free_sgpr 34
		.amdhsa_reserve_vcc 1
		.amdhsa_float_round_mode_32 0
		.amdhsa_float_round_mode_16_64 0
		.amdhsa_float_denorm_mode_32 3
		.amdhsa_float_denorm_mode_16_64 3
		.amdhsa_fp16_overflow 0
		.amdhsa_workgroup_processor_mode 1
		.amdhsa_memory_ordered 1
		.amdhsa_forward_progress 1
		.amdhsa_inst_pref_size 15
		.amdhsa_round_robin_scheduling 0
		.amdhsa_exception_fp_ieee_invalid_op 0
		.amdhsa_exception_fp_denorm_src 0
		.amdhsa_exception_fp_ieee_div_zero 0
		.amdhsa_exception_fp_ieee_overflow 0
		.amdhsa_exception_fp_ieee_underflow 0
		.amdhsa_exception_fp_ieee_inexact 0
		.amdhsa_exception_int_div_zero 0
	.end_amdhsa_kernel
	.section	.text._ZL23rocblas_trmm_rTx_kernelILi16ELb0E19rocblas_complex_numIdES1_KS1_S1_Ev13rocblas_fill_17rocblas_diagonal_iiT2_lPT3_llS7_llPT4_lli,"axG",@progbits,_ZL23rocblas_trmm_rTx_kernelILi16ELb0E19rocblas_complex_numIdES1_KS1_S1_Ev13rocblas_fill_17rocblas_diagonal_iiT2_lPT3_llS7_llPT4_lli,comdat
.Lfunc_end141:
	.size	_ZL23rocblas_trmm_rTx_kernelILi16ELb0E19rocblas_complex_numIdES1_KS1_S1_Ev13rocblas_fill_17rocblas_diagonal_iiT2_lPT3_llS7_llPT4_lli, .Lfunc_end141-_ZL23rocblas_trmm_rTx_kernelILi16ELb0E19rocblas_complex_numIdES1_KS1_S1_Ev13rocblas_fill_17rocblas_diagonal_iiT2_lPT3_llS7_llPT4_lli
                                        ; -- End function
	.set _ZL23rocblas_trmm_rTx_kernelILi16ELb0E19rocblas_complex_numIdES1_KS1_S1_Ev13rocblas_fill_17rocblas_diagonal_iiT2_lPT3_llS7_llPT4_lli.num_vgpr, 54
	.set _ZL23rocblas_trmm_rTx_kernelILi16ELb0E19rocblas_complex_numIdES1_KS1_S1_Ev13rocblas_fill_17rocblas_diagonal_iiT2_lPT3_llS7_llPT4_lli.num_agpr, 0
	.set _ZL23rocblas_trmm_rTx_kernelILi16ELb0E19rocblas_complex_numIdES1_KS1_S1_Ev13rocblas_fill_17rocblas_diagonal_iiT2_lPT3_llS7_llPT4_lli.numbered_sgpr, 34
	.set _ZL23rocblas_trmm_rTx_kernelILi16ELb0E19rocblas_complex_numIdES1_KS1_S1_Ev13rocblas_fill_17rocblas_diagonal_iiT2_lPT3_llS7_llPT4_lli.num_named_barrier, 0
	.set _ZL23rocblas_trmm_rTx_kernelILi16ELb0E19rocblas_complex_numIdES1_KS1_S1_Ev13rocblas_fill_17rocblas_diagonal_iiT2_lPT3_llS7_llPT4_lli.private_seg_size, 0
	.set _ZL23rocblas_trmm_rTx_kernelILi16ELb0E19rocblas_complex_numIdES1_KS1_S1_Ev13rocblas_fill_17rocblas_diagonal_iiT2_lPT3_llS7_llPT4_lli.uses_vcc, 1
	.set _ZL23rocblas_trmm_rTx_kernelILi16ELb0E19rocblas_complex_numIdES1_KS1_S1_Ev13rocblas_fill_17rocblas_diagonal_iiT2_lPT3_llS7_llPT4_lli.uses_flat_scratch, 0
	.set _ZL23rocblas_trmm_rTx_kernelILi16ELb0E19rocblas_complex_numIdES1_KS1_S1_Ev13rocblas_fill_17rocblas_diagonal_iiT2_lPT3_llS7_llPT4_lli.has_dyn_sized_stack, 0
	.set _ZL23rocblas_trmm_rTx_kernelILi16ELb0E19rocblas_complex_numIdES1_KS1_S1_Ev13rocblas_fill_17rocblas_diagonal_iiT2_lPT3_llS7_llPT4_lli.has_recursion, 0
	.set _ZL23rocblas_trmm_rTx_kernelILi16ELb0E19rocblas_complex_numIdES1_KS1_S1_Ev13rocblas_fill_17rocblas_diagonal_iiT2_lPT3_llS7_llPT4_lli.has_indirect_call, 0
	.section	.AMDGPU.csdata,"",@progbits
; Kernel info:
; codeLenInByte = 1904
; TotalNumSgprs: 36
; NumVgprs: 54
; ScratchSize: 0
; MemoryBound: 0
; FloatMode: 240
; IeeeMode: 1
; LDSByteSize: 8192 bytes/workgroup (compile time only)
; SGPRBlocks: 0
; VGPRBlocks: 6
; NumSGPRsForWavesPerEU: 36
; NumVGPRsForWavesPerEU: 54
; Occupancy: 16
; WaveLimiterHint : 1
; COMPUTE_PGM_RSRC2:SCRATCH_EN: 0
; COMPUTE_PGM_RSRC2:USER_SGPR: 2
; COMPUTE_PGM_RSRC2:TRAP_HANDLER: 0
; COMPUTE_PGM_RSRC2:TGID_X_EN: 1
; COMPUTE_PGM_RSRC2:TGID_Y_EN: 0
; COMPUTE_PGM_RSRC2:TGID_Z_EN: 1
; COMPUTE_PGM_RSRC2:TIDIG_COMP_CNT: 1
	.section	.text._ZL23rocblas_trmm_rTx_kernelILi16ELb1E19rocblas_complex_numIdEPKS1_S2_S1_Ev13rocblas_fill_17rocblas_diagonal_iiT2_lPT3_llS8_llPT4_lli,"axG",@progbits,_ZL23rocblas_trmm_rTx_kernelILi16ELb1E19rocblas_complex_numIdEPKS1_S2_S1_Ev13rocblas_fill_17rocblas_diagonal_iiT2_lPT3_llS8_llPT4_lli,comdat
	.globl	_ZL23rocblas_trmm_rTx_kernelILi16ELb1E19rocblas_complex_numIdEPKS1_S2_S1_Ev13rocblas_fill_17rocblas_diagonal_iiT2_lPT3_llS8_llPT4_lli ; -- Begin function _ZL23rocblas_trmm_rTx_kernelILi16ELb1E19rocblas_complex_numIdEPKS1_S2_S1_Ev13rocblas_fill_17rocblas_diagonal_iiT2_lPT3_llS8_llPT4_lli
	.p2align	8
	.type	_ZL23rocblas_trmm_rTx_kernelILi16ELb1E19rocblas_complex_numIdEPKS1_S2_S1_Ev13rocblas_fill_17rocblas_diagonal_iiT2_lPT3_llS8_llPT4_lli,@function
_ZL23rocblas_trmm_rTx_kernelILi16ELb1E19rocblas_complex_numIdEPKS1_S2_S1_Ev13rocblas_fill_17rocblas_diagonal_iiT2_lPT3_llS8_llPT4_lli: ; @_ZL23rocblas_trmm_rTx_kernelILi16ELb1E19rocblas_complex_numIdEPKS1_S2_S1_Ev13rocblas_fill_17rocblas_diagonal_iiT2_lPT3_llS8_llPT4_lli
; %bb.0:
	s_load_b32 s3, s[0:1], 0x68
	s_lshr_b32 s28, ttmp7, 16
	s_wait_kmcnt 0x0
	s_cmp_ge_u32 s28, s3
	s_cbranch_scc1 .LBB142_19
; %bb.1:
	s_clause 0x1
	s_load_b128 s[20:23], s[0:1], 0x0
	s_load_b512 s[4:19], s[0:1], 0x10
	v_bfe_u32 v18, v0, 10, 10
	s_clause 0x1
	s_load_b128 s[24:27], s[0:1], 0x50
	s_load_b64 s[30:31], s[0:1], 0x60
	v_dual_mov_b32 v0, 0 :: v_dual_and_b32 v1, 0x3ff, v0
	s_mov_b32 s29, 0
	s_wait_kmcnt 0x0
	s_add_co_i32 s1, s22, -1
	v_mad_co_u64_u32 v[4:5], null, s10, v18, 0
	v_mad_co_u64_u32 v[6:7], null, s16, v18, 0
	s_ashr_i32 s0, s1, 31
	v_mad_co_u64_u32 v[15:16], null, s26, v18, 0
	s_lshr_b32 s2, s0, 28
	v_cmp_gt_i32_e32 vcc_lo, s23, v18
	s_add_co_i32 s1, s1, s2
	v_mad_co_u64_u32 v[11:12], null, s11, v18, v[5:6]
	v_lshlrev_b32_e32 v8, 4, v18
	s_ashr_i32 s2, s1, 4
	s_and_b32 s1, s1, -16
	v_cmp_gt_i32_e64 s0, s23, v1
	s_sub_co_i32 s1, s22, s1
	s_cmp_ge_i32 ttmp9, s2
	v_mov_b32_e32 v5, v11
	v_mad_co_u64_u32 v[13:14], null, s17, v18, v[7:8]
	s_cselect_b32 s1, s1, 16
	v_mov_b32_e32 v2, v0
	v_lshlrev_b64_e32 v[4:5], 4, v[4:5]
	s_and_b32 s10, vcc_lo, s0
	v_cmp_gt_i32_e64 s0, s1, v1
	v_dual_mov_b32 v12, v16 :: v_dual_mov_b32 v7, v13
	v_lshlrev_b64_e32 v[2:3], 4, v[1:2]
	s_lshl_b32 s16, ttmp9, 4
	s_and_b32 s11, vcc_lo, s0
	v_add_co_u32 v11, vcc_lo, s8, v4
	v_mad_co_u64_u32 v[16:17], null, s27, v18, v[12:13]
	s_wait_alu 0xfffe
	s_ashr_i32 s17, s16, 31
	v_add_co_ci_u32_e64 v12, null, s9, v5, vcc_lo
	v_lshlrev_b64_e32 v[4:5], 4, v[6:7]
	s_wait_alu 0xfffe
	s_lshl_b64 s[16:17], s[16:17], 4
	v_add_co_u32 v11, vcc_lo, v11, v2
	s_wait_alu 0xfffe
	s_add_nc_u64 s[14:15], s[14:15], s[16:17]
	s_wait_alu 0xfffd
	v_add_co_ci_u32_e64 v12, null, v12, v3, vcc_lo
	v_add_co_u32 v4, vcc_lo, s14, v4
	s_wait_alu 0xfffd
	v_add_co_ci_u32_e64 v5, null, s15, v5, vcc_lo
	v_cmp_eq_u32_e32 vcc_lo, v18, v1
	s_delay_alu instid0(VALU_DEP_3) | instskip(SKIP_1) | instid1(VALU_DEP_3)
	v_add_co_u32 v13, s0, v4, v2
	s_wait_alu 0xf1ff
	v_add_co_ci_u32_e64 v14, null, v5, v3, s0
	v_lshlrev_b64_e32 v[4:5], 4, v[15:16]
	s_cmp_eq_u32 s21, 0x84
	s_add_nc_u64 s[16:17], s[24:25], s[16:17]
	s_cselect_b32 s0, -1, 0
	v_add_lshl_u32 v9, v8, v1, 4
	s_wait_alu 0xfffe
	s_and_b32 s8, vcc_lo, s0
	v_add_co_u32 v4, vcc_lo, s16, v4
	s_wait_alu 0xfffd
	v_add_co_ci_u32_e64 v5, null, s17, v5, vcc_lo
	v_add_nc_u32_e32 v10, 0x1000, v9
	s_delay_alu instid0(VALU_DEP_3)
	v_add_co_u32 v16, vcc_lo, v4, v2
	v_cmp_lt_u32_e64 s0, v1, v18
	v_cmp_gt_u32_e64 s1, v1, v18
	v_lshl_add_u32 v15, v1, 4, 0x1000
	s_wait_alu 0xfffd
	v_add_co_ci_u32_e64 v17, null, v5, v3, vcc_lo
	v_mov_b32_e32 v1, 0x3ff00000
	s_cmp_lg_u32 s20, 0x79
	s_cselect_b32 s9, -1, 0
	s_branch .LBB142_4
.LBB142_2:                              ;   in Loop: Header=BB142_4 Depth=1
	s_or_b32 exec_lo, exec_lo, s2
.LBB142_3:                              ;   in Loop: Header=BB142_4 Depth=1
	s_add_co_i32 s28, s28, 0x10000
	s_delay_alu instid0(SALU_CYCLE_1)
	s_cmp_lt_u32 s28, s3
	s_cbranch_scc0 .LBB142_19
.LBB142_4:                              ; =>This Inner Loop Header: Depth=1
	s_mul_u64 s[14:15], s[6:7], s[28:29]
	s_wait_alu 0xfffe
	s_lshl_b64 s[14:15], s[14:15], 4
	s_wait_alu 0xfffe
	s_add_nc_u64 s[14:15], s[4:5], s[14:15]
	global_load_b128 v[4:7], v0, s[14:15]
	s_wait_loadcnt 0x0
	v_cmp_neq_f64_e32 vcc_lo, 0, v[4:5]
	v_cmp_neq_f64_e64 s2, 0, v[6:7]
	s_or_b32 s2, vcc_lo, s2
	s_delay_alu instid0(SALU_CYCLE_1)
	s_and_not1_b32 vcc_lo, exec_lo, s2
	s_wait_alu 0xfffe
	s_cbranch_vccnz .LBB142_3
; %bb.5:                                ;   in Loop: Header=BB142_4 Depth=1
	s_mov_b32 s20, s29
	s_mov_b32 s21, s29
	;; [unrolled: 1-line block ×4, first 2 shown]
	s_wait_alu 0xfffe
	v_dual_mov_b32 v18, s20 :: v_dual_mov_b32 v19, s21
	v_dual_mov_b32 v20, s22 :: v_dual_mov_b32 v21, s23
	ds_store_b128 v9, v[18:21]
	ds_store_b128 v10, v[18:21]
	s_and_saveexec_b32 s2, s10
	s_cbranch_execnz .LBB142_10
; %bb.6:                                ;   in Loop: Header=BB142_4 Depth=1
	s_or_b32 exec_lo, exec_lo, s2
	s_and_saveexec_b32 s2, s11
	s_cbranch_execnz .LBB142_11
.LBB142_7:                              ;   in Loop: Header=BB142_4 Depth=1
	s_or_b32 exec_lo, exec_lo, s2
	s_and_saveexec_b32 s2, s8
	s_cbranch_execnz .LBB142_12
.LBB142_8:                              ;   in Loop: Header=BB142_4 Depth=1
	s_or_b32 exec_lo, exec_lo, s2
	s_delay_alu instid0(SALU_CYCLE_1)
	s_and_b32 vcc_lo, exec_lo, s9
	s_wait_alu 0xfffe
	s_cbranch_vccz .LBB142_13
.LBB142_9:                              ;   in Loop: Header=BB142_4 Depth=1
	s_and_b32 s2, s0, exec_lo
	s_cbranch_execz .LBB142_14
	s_branch .LBB142_15
.LBB142_10:                             ;   in Loop: Header=BB142_4 Depth=1
	s_mul_u64 s[14:15], s[12:13], s[28:29]
	s_wait_alu 0xfffe
	s_lshl_b64 s[14:15], s[14:15], 4
	s_wait_alu 0xfffe
	v_add_co_u32 v2, vcc_lo, v11, s14
	s_wait_alu 0xfffd
	v_add_co_ci_u32_e64 v3, null, s15, v12, vcc_lo
	global_load_b128 v[18:21], v[2:3], off
	s_wait_loadcnt 0x0
	v_xor_b32_e32 v21, 0x80000000, v21
	ds_store_b128 v9, v[18:21]
	s_or_b32 exec_lo, exec_lo, s2
	s_and_saveexec_b32 s2, s11
	s_cbranch_execz .LBB142_7
.LBB142_11:                             ;   in Loop: Header=BB142_4 Depth=1
	s_mul_u64 s[14:15], s[18:19], s[28:29]
	s_wait_alu 0xfffe
	s_lshl_b64 s[14:15], s[14:15], 4
	s_wait_alu 0xfffe
	v_add_co_u32 v2, vcc_lo, v13, s14
	s_wait_alu 0xfffd
	v_add_co_ci_u32_e64 v3, null, s15, v14, vcc_lo
	global_load_b128 v[18:21], v[2:3], off
	s_wait_loadcnt 0x0
	ds_store_2addr_b64 v10, v[18:19], v[20:21] offset1:1
	s_or_b32 exec_lo, exec_lo, s2
	s_and_saveexec_b32 s2, s8
	s_cbranch_execz .LBB142_8
.LBB142_12:                             ;   in Loop: Header=BB142_4 Depth=1
	v_dual_mov_b32 v2, v0 :: v_dual_mov_b32 v3, v0
	ds_store_b128 v9, v[0:3]
	s_or_b32 exec_lo, exec_lo, s2
	s_delay_alu instid0(SALU_CYCLE_1)
	s_and_b32 vcc_lo, exec_lo, s9
	s_wait_alu 0xfffe
	s_cbranch_vccnz .LBB142_9
.LBB142_13:                             ;   in Loop: Header=BB142_4 Depth=1
	s_mov_b32 s2, 0
.LBB142_14:                             ;   in Loop: Header=BB142_4 Depth=1
	s_delay_alu instid0(SALU_CYCLE_1)
	s_and_not1_b32 s2, s2, exec_lo
	s_and_b32 s14, s1, exec_lo
	s_wait_alu 0xfffe
	s_or_b32 s2, s2, s14
.LBB142_15:                             ;   in Loop: Header=BB142_4 Depth=1
	s_delay_alu instid0(SALU_CYCLE_1)
	s_and_saveexec_b32 s14, s2
; %bb.16:                               ;   in Loop: Header=BB142_4 Depth=1
	v_dual_mov_b32 v18, v0 :: v_dual_mov_b32 v19, v0
	v_dual_mov_b32 v20, v0 :: v_dual_mov_b32 v21, v0
	ds_store_b128 v9, v[18:21]
; %bb.17:                               ;   in Loop: Header=BB142_4 Depth=1
	s_wait_alu 0xfffe
	s_or_b32 exec_lo, exec_lo, s14
	s_wait_dscnt 0x0
	s_barrier_signal -1
	s_barrier_wait -1
	global_inv scope:SCOPE_SE
	s_and_saveexec_b32 s2, s11
	s_cbranch_execz .LBB142_2
; %bb.18:                               ;   in Loop: Header=BB142_4 Depth=1
	ds_load_b128 v[18:21], v15
	ds_load_b128 v[22:25], v8
	ds_load_b128 v[26:29], v8 offset:256
	ds_load_b128 v[30:33], v15 offset:256
	;; [unrolled: 1-line block ×6, first 2 shown]
	s_mul_u64 s[14:15], s[30:31], s[28:29]
	s_wait_alu 0xfffe
	s_lshl_b64 s[14:15], s[14:15], 4
	s_wait_dscnt 0x6
	v_mul_f64_e32 v[2:3], v[22:23], v[20:21]
	v_mul_f64_e32 v[20:21], v[24:25], v[20:21]
	s_wait_dscnt 0x4
	v_mul_f64_e32 v[50:51], v[26:27], v[32:33]
	v_mul_f64_e32 v[32:33], v[28:29], v[32:33]
	s_delay_alu instid0(VALU_DEP_4) | instskip(SKIP_2) | instid1(VALU_DEP_4)
	v_fma_f64 v[2:3], v[24:25], v[18:19], v[2:3]
	s_wait_dscnt 0x2
	v_mul_f64_e32 v[24:25], v[38:39], v[36:37]
	v_fma_f64 v[28:29], v[28:29], v[30:31], v[50:51]
	v_fma_f64 v[18:19], v[22:23], v[18:19], -v[20:21]
	s_wait_dscnt 0x0
	v_mul_f64_e32 v[50:51], v[42:43], v[48:49]
	v_mul_f64_e32 v[36:37], v[40:41], v[36:37]
	v_fma_f64 v[52:53], v[26:27], v[30:31], -v[32:33]
	v_mul_f64_e32 v[48:49], v[44:45], v[48:49]
	v_add_f64_e32 v[2:3], 0, v[2:3]
	v_fma_f64 v[40:41], v[40:41], v[34:35], v[24:25]
	v_add_f64_e32 v[54:55], 0, v[18:19]
	v_fma_f64 v[44:45], v[44:45], v[46:47], v[50:51]
	v_fma_f64 v[34:35], v[38:39], v[34:35], -v[36:37]
	v_add_f64_e32 v[2:3], v[2:3], v[28:29]
	ds_load_b128 v[18:21], v15 offset:1024
	ds_load_b128 v[22:25], v8 offset:1024
	ds_load_b128 v[26:29], v8 offset:1280
	ds_load_b128 v[30:33], v15 offset:1280
	v_add_f64_e32 v[36:37], v[54:55], v[52:53]
	v_fma_f64 v[52:53], v[42:43], v[46:47], -v[48:49]
	s_wait_dscnt 0x2
	v_mul_f64_e32 v[56:57], v[22:23], v[20:21]
	v_mul_f64_e32 v[20:21], v[24:25], v[20:21]
	s_wait_dscnt 0x0
	v_mul_f64_e32 v[50:51], v[26:27], v[32:33]
	v_mul_f64_e32 v[32:33], v[28:29], v[32:33]
	v_add_f64_e32 v[2:3], v[2:3], v[40:41]
	v_add_f64_e32 v[54:55], v[36:37], v[34:35]
	v_fma_f64 v[24:25], v[24:25], v[18:19], v[56:57]
	v_fma_f64 v[18:19], v[22:23], v[18:19], -v[20:21]
	v_fma_f64 v[28:29], v[28:29], v[30:31], v[50:51]
	v_add_f64_e32 v[2:3], v[2:3], v[44:45]
	ds_load_b128 v[34:37], v15 offset:1536
	ds_load_b128 v[38:41], v8 offset:1536
	ds_load_b128 v[42:45], v8 offset:1792
	ds_load_b128 v[46:49], v15 offset:1792
	v_add_f64_e32 v[20:21], v[54:55], v[52:53]
	v_fma_f64 v[52:53], v[26:27], v[30:31], -v[32:33]
	s_wait_dscnt 0x2
	v_mul_f64_e32 v[56:57], v[38:39], v[36:37]
	v_mul_f64_e32 v[36:37], v[40:41], v[36:37]
	s_wait_dscnt 0x0
	v_mul_f64_e32 v[50:51], v[42:43], v[48:49]
	v_mul_f64_e32 v[48:49], v[44:45], v[48:49]
	v_add_f64_e32 v[2:3], v[2:3], v[24:25]
	v_add_f64_e32 v[54:55], v[20:21], v[18:19]
	v_fma_f64 v[40:41], v[40:41], v[34:35], v[56:57]
	v_fma_f64 v[34:35], v[38:39], v[34:35], -v[36:37]
	v_fma_f64 v[44:45], v[44:45], v[46:47], v[50:51]
	;; [unrolled: 18-line block ×5, first 2 shown]
	v_fma_f64 v[26:27], v[26:27], v[30:31], -v[32:33]
	v_add_f64_e32 v[2:3], v[2:3], v[44:45]
	ds_load_b128 v[34:37], v15 offset:3584
	ds_load_b128 v[38:41], v8 offset:3584
	;; [unrolled: 1-line block ×4, first 2 shown]
	v_add_f64_e32 v[20:21], v[54:55], v[52:53]
	s_wait_dscnt 0x2
	v_mul_f64_e32 v[56:57], v[38:39], v[36:37]
	s_wait_dscnt 0x0
	v_mul_f64_e32 v[22:23], v[42:43], v[48:49]
	v_add_f64_e32 v[2:3], v[2:3], v[24:25]
	v_mul_f64_e32 v[24:25], v[40:41], v[36:37]
	v_add_f64_e32 v[18:19], v[20:21], v[18:19]
	v_mul_f64_e32 v[20:21], v[44:45], v[48:49]
	v_fma_f64 v[36:37], v[40:41], v[34:35], v[56:57]
	v_fma_f64 v[22:23], v[44:45], v[46:47], v[22:23]
	v_add_f64_e32 v[2:3], v[2:3], v[28:29]
	v_fma_f64 v[24:25], v[38:39], v[34:35], -v[24:25]
	v_add_f64_e32 v[18:19], v[18:19], v[26:27]
	v_fma_f64 v[20:21], v[42:43], v[46:47], -v[20:21]
	s_delay_alu instid0(VALU_DEP_4) | instskip(NEXT) | instid1(VALU_DEP_3)
	v_add_f64_e32 v[2:3], v[2:3], v[36:37]
	v_add_f64_e32 v[18:19], v[18:19], v[24:25]
	s_delay_alu instid0(VALU_DEP_2) | instskip(NEXT) | instid1(VALU_DEP_2)
	v_add_f64_e32 v[2:3], v[2:3], v[22:23]
	v_add_f64_e32 v[18:19], v[18:19], v[20:21]
	s_delay_alu instid0(VALU_DEP_2) | instskip(SKIP_1) | instid1(VALU_DEP_2)
	v_mul_f64_e32 v[20:21], v[4:5], v[2:3]
	v_mul_f64_e32 v[2:3], v[6:7], v[2:3]
	v_fma_f64 v[6:7], v[6:7], v[18:19], v[20:21]
	s_delay_alu instid0(VALU_DEP_2)
	v_fma_f64 v[4:5], v[4:5], v[18:19], -v[2:3]
	s_wait_alu 0xfffe
	v_add_co_u32 v2, vcc_lo, v16, s14
	s_wait_alu 0xfffd
	v_add_co_ci_u32_e64 v3, null, s15, v17, vcc_lo
	global_store_b128 v[2:3], v[4:7], off
	s_branch .LBB142_2
.LBB142_19:
	s_endpgm
	.section	.rodata,"a",@progbits
	.p2align	6, 0x0
	.amdhsa_kernel _ZL23rocblas_trmm_rTx_kernelILi16ELb1E19rocblas_complex_numIdEPKS1_S2_S1_Ev13rocblas_fill_17rocblas_diagonal_iiT2_lPT3_llS8_llPT4_lli
		.amdhsa_group_segment_fixed_size 8192
		.amdhsa_private_segment_fixed_size 0
		.amdhsa_kernarg_size 108
		.amdhsa_user_sgpr_count 2
		.amdhsa_user_sgpr_dispatch_ptr 0
		.amdhsa_user_sgpr_queue_ptr 0
		.amdhsa_user_sgpr_kernarg_segment_ptr 1
		.amdhsa_user_sgpr_dispatch_id 0
		.amdhsa_user_sgpr_private_segment_size 0
		.amdhsa_wavefront_size32 1
		.amdhsa_uses_dynamic_stack 0
		.amdhsa_enable_private_segment 0
		.amdhsa_system_sgpr_workgroup_id_x 1
		.amdhsa_system_sgpr_workgroup_id_y 0
		.amdhsa_system_sgpr_workgroup_id_z 1
		.amdhsa_system_sgpr_workgroup_info 0
		.amdhsa_system_vgpr_workitem_id 1
		.amdhsa_next_free_vgpr 58
		.amdhsa_next_free_sgpr 32
		.amdhsa_reserve_vcc 1
		.amdhsa_float_round_mode_32 0
		.amdhsa_float_round_mode_16_64 0
		.amdhsa_float_denorm_mode_32 3
		.amdhsa_float_denorm_mode_16_64 3
		.amdhsa_fp16_overflow 0
		.amdhsa_workgroup_processor_mode 1
		.amdhsa_memory_ordered 1
		.amdhsa_forward_progress 1
		.amdhsa_inst_pref_size 15
		.amdhsa_round_robin_scheduling 0
		.amdhsa_exception_fp_ieee_invalid_op 0
		.amdhsa_exception_fp_denorm_src 0
		.amdhsa_exception_fp_ieee_div_zero 0
		.amdhsa_exception_fp_ieee_overflow 0
		.amdhsa_exception_fp_ieee_underflow 0
		.amdhsa_exception_fp_ieee_inexact 0
		.amdhsa_exception_int_div_zero 0
	.end_amdhsa_kernel
	.section	.text._ZL23rocblas_trmm_rTx_kernelILi16ELb1E19rocblas_complex_numIdEPKS1_S2_S1_Ev13rocblas_fill_17rocblas_diagonal_iiT2_lPT3_llS8_llPT4_lli,"axG",@progbits,_ZL23rocblas_trmm_rTx_kernelILi16ELb1E19rocblas_complex_numIdEPKS1_S2_S1_Ev13rocblas_fill_17rocblas_diagonal_iiT2_lPT3_llS8_llPT4_lli,comdat
.Lfunc_end142:
	.size	_ZL23rocblas_trmm_rTx_kernelILi16ELb1E19rocblas_complex_numIdEPKS1_S2_S1_Ev13rocblas_fill_17rocblas_diagonal_iiT2_lPT3_llS8_llPT4_lli, .Lfunc_end142-_ZL23rocblas_trmm_rTx_kernelILi16ELb1E19rocblas_complex_numIdEPKS1_S2_S1_Ev13rocblas_fill_17rocblas_diagonal_iiT2_lPT3_llS8_llPT4_lli
                                        ; -- End function
	.set _ZL23rocblas_trmm_rTx_kernelILi16ELb1E19rocblas_complex_numIdEPKS1_S2_S1_Ev13rocblas_fill_17rocblas_diagonal_iiT2_lPT3_llS8_llPT4_lli.num_vgpr, 58
	.set _ZL23rocblas_trmm_rTx_kernelILi16ELb1E19rocblas_complex_numIdEPKS1_S2_S1_Ev13rocblas_fill_17rocblas_diagonal_iiT2_lPT3_llS8_llPT4_lli.num_agpr, 0
	.set _ZL23rocblas_trmm_rTx_kernelILi16ELb1E19rocblas_complex_numIdEPKS1_S2_S1_Ev13rocblas_fill_17rocblas_diagonal_iiT2_lPT3_llS8_llPT4_lli.numbered_sgpr, 32
	.set _ZL23rocblas_trmm_rTx_kernelILi16ELb1E19rocblas_complex_numIdEPKS1_S2_S1_Ev13rocblas_fill_17rocblas_diagonal_iiT2_lPT3_llS8_llPT4_lli.num_named_barrier, 0
	.set _ZL23rocblas_trmm_rTx_kernelILi16ELb1E19rocblas_complex_numIdEPKS1_S2_S1_Ev13rocblas_fill_17rocblas_diagonal_iiT2_lPT3_llS8_llPT4_lli.private_seg_size, 0
	.set _ZL23rocblas_trmm_rTx_kernelILi16ELb1E19rocblas_complex_numIdEPKS1_S2_S1_Ev13rocblas_fill_17rocblas_diagonal_iiT2_lPT3_llS8_llPT4_lli.uses_vcc, 1
	.set _ZL23rocblas_trmm_rTx_kernelILi16ELb1E19rocblas_complex_numIdEPKS1_S2_S1_Ev13rocblas_fill_17rocblas_diagonal_iiT2_lPT3_llS8_llPT4_lli.uses_flat_scratch, 0
	.set _ZL23rocblas_trmm_rTx_kernelILi16ELb1E19rocblas_complex_numIdEPKS1_S2_S1_Ev13rocblas_fill_17rocblas_diagonal_iiT2_lPT3_llS8_llPT4_lli.has_dyn_sized_stack, 0
	.set _ZL23rocblas_trmm_rTx_kernelILi16ELb1E19rocblas_complex_numIdEPKS1_S2_S1_Ev13rocblas_fill_17rocblas_diagonal_iiT2_lPT3_llS8_llPT4_lli.has_recursion, 0
	.set _ZL23rocblas_trmm_rTx_kernelILi16ELb1E19rocblas_complex_numIdEPKS1_S2_S1_Ev13rocblas_fill_17rocblas_diagonal_iiT2_lPT3_llS8_llPT4_lli.has_indirect_call, 0
	.section	.AMDGPU.csdata,"",@progbits
; Kernel info:
; codeLenInByte = 1912
; TotalNumSgprs: 34
; NumVgprs: 58
; ScratchSize: 0
; MemoryBound: 0
; FloatMode: 240
; IeeeMode: 1
; LDSByteSize: 8192 bytes/workgroup (compile time only)
; SGPRBlocks: 0
; VGPRBlocks: 7
; NumSGPRsForWavesPerEU: 34
; NumVGPRsForWavesPerEU: 58
; Occupancy: 16
; WaveLimiterHint : 0
; COMPUTE_PGM_RSRC2:SCRATCH_EN: 0
; COMPUTE_PGM_RSRC2:USER_SGPR: 2
; COMPUTE_PGM_RSRC2:TRAP_HANDLER: 0
; COMPUTE_PGM_RSRC2:TGID_X_EN: 1
; COMPUTE_PGM_RSRC2:TGID_Y_EN: 0
; COMPUTE_PGM_RSRC2:TGID_Z_EN: 1
; COMPUTE_PGM_RSRC2:TIDIG_COMP_CNT: 1
	.section	.text._ZL23rocblas_trmm_rTx_kernelILi16ELb1E19rocblas_complex_numIdES1_KS1_S1_Ev13rocblas_fill_17rocblas_diagonal_iiT2_lPT3_llS7_llPT4_lli,"axG",@progbits,_ZL23rocblas_trmm_rTx_kernelILi16ELb1E19rocblas_complex_numIdES1_KS1_S1_Ev13rocblas_fill_17rocblas_diagonal_iiT2_lPT3_llS7_llPT4_lli,comdat
	.globl	_ZL23rocblas_trmm_rTx_kernelILi16ELb1E19rocblas_complex_numIdES1_KS1_S1_Ev13rocblas_fill_17rocblas_diagonal_iiT2_lPT3_llS7_llPT4_lli ; -- Begin function _ZL23rocblas_trmm_rTx_kernelILi16ELb1E19rocblas_complex_numIdES1_KS1_S1_Ev13rocblas_fill_17rocblas_diagonal_iiT2_lPT3_llS7_llPT4_lli
	.p2align	8
	.type	_ZL23rocblas_trmm_rTx_kernelILi16ELb1E19rocblas_complex_numIdES1_KS1_S1_Ev13rocblas_fill_17rocblas_diagonal_iiT2_lPT3_llS7_llPT4_lli,@function
_ZL23rocblas_trmm_rTx_kernelILi16ELb1E19rocblas_complex_numIdES1_KS1_S1_Ev13rocblas_fill_17rocblas_diagonal_iiT2_lPT3_llS7_llPT4_lli: ; @_ZL23rocblas_trmm_rTx_kernelILi16ELb1E19rocblas_complex_numIdES1_KS1_S1_Ev13rocblas_fill_17rocblas_diagonal_iiT2_lPT3_llS7_llPT4_lli
; %bb.0:
	s_load_b32 s33, s[0:1], 0x70
	s_lshr_b32 s28, ttmp7, 16
	s_wait_kmcnt 0x0
	s_cmp_ge_u32 s28, s33
	s_cbranch_scc1 .LBB143_19
; %bb.1:
	s_clause 0x1
	s_load_b256 s[20:27], s[0:1], 0x0
	s_load_b512 s[4:19], s[0:1], 0x28
	v_bfe_u32 v17, v0, 10, 10
	s_load_b64 s[30:31], s[0:1], 0x68
	v_dual_mov_b32 v0, 0 :: v_dual_and_b32 v1, 0x3ff, v0
	s_mov_b32 s29, 0
	s_delay_alu instid0(VALU_DEP_2) | instskip(NEXT) | instid1(VALU_DEP_2)
	v_lshlrev_b32_e32 v4, 4, v17
	v_cmp_eq_u32_e32 vcc_lo, v17, v1
	s_delay_alu instid0(VALU_DEP_3) | instskip(NEXT) | instid1(VALU_DEP_3)
	v_mov_b32_e32 v2, v0
	v_add_lshl_u32 v5, v4, v1, 4
	s_delay_alu instid0(VALU_DEP_2) | instskip(NEXT) | instid1(VALU_DEP_2)
	v_lshlrev_b64_e32 v[2:3], 4, v[1:2]
	v_add_nc_u32_e32 v6, 0x1000, v5
	s_wait_kmcnt 0x0
	v_cmp_neq_f64_e64 s2, s[24:25], 0
	v_cmp_neq_f64_e64 s3, s[26:27], 0
	v_mad_co_u64_u32 v[7:8], null, s6, v17, 0
	v_mad_co_u64_u32 v[9:10], null, s12, v17, 0
	;; [unrolled: 1-line block ×3, first 2 shown]
	s_add_co_i32 s1, s22, -1
	v_cmp_gt_i32_e64 s0, s23, v17
	s_ashr_i32 s6, s1, 31
	v_mad_co_u64_u32 v[13:14], null, s7, v17, v[8:9]
	v_mad_co_u64_u32 v[14:15], null, s13, v17, v[10:11]
	s_wait_alu 0xfffe
	s_lshr_b32 s6, s6, 28
	s_wait_alu 0xfffe
	s_add_co_i32 s6, s1, s6
	v_cmp_gt_i32_e64 s1, s23, v1
	s_delay_alu instid0(VALU_DEP_3)
	v_mov_b32_e32 v8, v13
	s_wait_alu 0xfffe
	s_and_b32 s7, s6, -16
	v_mad_co_u64_u32 v[15:16], null, s19, v17, v[12:13]
	s_ashr_i32 s12, s6, 4
	v_lshlrev_b64_e32 v[7:8], 4, v[7:8]
	v_mov_b32_e32 v10, v14
	s_wait_alu 0xfffe
	s_sub_co_i32 s7, s22, s7
	v_mov_b32_e32 v12, v15
	s_delay_alu instid0(VALU_DEP_2) | instskip(NEXT) | instid1(VALU_DEP_2)
	v_lshlrev_b64_e32 v[9:10], 4, v[9:10]
	v_lshlrev_b64_e32 v[11:12], 4, v[11:12]
	s_or_b32 s6, s2, s3
	s_cmp_ge_i32 ttmp9, s12
	v_add_co_u32 v7, s2, s4, v7
	s_wait_alu 0xfffe
	s_cselect_b32 s3, s7, 16
	s_lshl_b32 s12, ttmp9, 4
	v_add_co_ci_u32_e64 v8, null, s5, v8, s2
	s_wait_alu 0xfffe
	s_ashr_i32 s13, s12, 31
	v_cmp_gt_i32_e64 s2, s3, v1
	s_wait_alu 0xfffe
	s_lshl_b64 s[4:5], s[12:13], 4
	v_add_co_u32 v7, s3, v7, v2
	s_wait_alu 0xfffe
	s_add_nc_u64 s[10:11], s[10:11], s[4:5]
	v_add_co_ci_u32_e64 v8, null, v8, v3, s3
	s_and_b32 s3, s0, s1
	s_and_b32 s2, s0, s2
	v_add_co_u32 v9, s0, s10, v9
	s_cmp_eq_u32 s21, 0x84
	v_add_co_ci_u32_e64 v10, null, s11, v10, s0
	s_cselect_b32 s1, -1, 0
	s_add_nc_u64 s[12:13], s[16:17], s[4:5]
	s_wait_alu 0xfffe
	s_and_b32 s4, vcc_lo, s1
	v_add_co_u32 v9, vcc_lo, v9, v2
	s_delay_alu instid0(VALU_DEP_1) | instskip(SKIP_4) | instid1(VALU_DEP_3)
	v_add_co_ci_u32_e64 v10, null, v10, v3, vcc_lo
	v_add_co_u32 v13, vcc_lo, s12, v11
	s_wait_alu 0xfffd
	v_add_co_ci_u32_e64 v14, null, s13, v12, vcc_lo
	v_cmp_lt_u32_e64 s0, v1, v17
	v_add_co_u32 v12, vcc_lo, v13, v2
	v_cmp_gt_u32_e64 s1, v1, v17
	v_lshl_add_u32 v11, v1, 4, 0x1000
	s_wait_alu 0xfffd
	v_add_co_ci_u32_e64 v13, null, v14, v3, vcc_lo
	v_mov_b32_e32 v1, 0x3ff00000
	s_cmp_lg_u32 s20, 0x79
	s_cselect_b32 s5, -1, 0
	s_branch .LBB143_4
.LBB143_2:                              ;   in Loop: Header=BB143_4 Depth=1
	s_wait_alu 0xfffe
	s_or_b32 exec_lo, exec_lo, s7
.LBB143_3:                              ;   in Loop: Header=BB143_4 Depth=1
	s_add_co_i32 s28, s28, 0x10000
	s_delay_alu instid0(SALU_CYCLE_1)
	s_cmp_lt_u32 s28, s33
	s_cbranch_scc0 .LBB143_19
.LBB143_4:                              ; =>This Inner Loop Header: Depth=1
	s_and_not1_b32 vcc_lo, exec_lo, s6
	s_wait_alu 0xfffe
	s_cbranch_vccnz .LBB143_3
; %bb.5:                                ;   in Loop: Header=BB143_4 Depth=1
	s_mov_b32 s16, s29
	s_mov_b32 s17, s29
	;; [unrolled: 1-line block ×4, first 2 shown]
	s_wait_alu 0xfffe
	v_dual_mov_b32 v14, s16 :: v_dual_mov_b32 v15, s17
	v_dual_mov_b32 v16, s18 :: v_dual_mov_b32 v17, s19
	ds_store_b128 v5, v[14:17]
	ds_store_b128 v6, v[14:17]
	s_and_saveexec_b32 s7, s3
	s_cbranch_execnz .LBB143_10
; %bb.6:                                ;   in Loop: Header=BB143_4 Depth=1
	s_wait_alu 0xfffe
	s_or_b32 exec_lo, exec_lo, s7
	s_and_saveexec_b32 s7, s2
	s_cbranch_execnz .LBB143_11
.LBB143_7:                              ;   in Loop: Header=BB143_4 Depth=1
	s_wait_alu 0xfffe
	s_or_b32 exec_lo, exec_lo, s7
	s_and_saveexec_b32 s7, s4
	s_cbranch_execnz .LBB143_12
.LBB143_8:                              ;   in Loop: Header=BB143_4 Depth=1
	s_wait_alu 0xfffe
	s_or_b32 exec_lo, exec_lo, s7
	s_delay_alu instid0(SALU_CYCLE_1)
	s_and_b32 vcc_lo, exec_lo, s5
	s_wait_alu 0xfffe
	s_cbranch_vccz .LBB143_13
.LBB143_9:                              ;   in Loop: Header=BB143_4 Depth=1
	s_and_b32 s7, s0, exec_lo
	s_cbranch_execz .LBB143_14
	s_branch .LBB143_15
.LBB143_10:                             ;   in Loop: Header=BB143_4 Depth=1
	s_mul_u64 s[10:11], s[8:9], s[28:29]
	s_wait_alu 0xfffe
	s_lshl_b64 s[10:11], s[10:11], 4
	s_wait_alu 0xfffe
	v_add_co_u32 v2, vcc_lo, v7, s10
	s_wait_alu 0xfffd
	v_add_co_ci_u32_e64 v3, null, s11, v8, vcc_lo
	global_load_b128 v[14:17], v[2:3], off
	s_wait_loadcnt 0x0
	v_xor_b32_e32 v17, 0x80000000, v17
	ds_store_b128 v5, v[14:17]
	s_or_b32 exec_lo, exec_lo, s7
	s_and_saveexec_b32 s7, s2
	s_cbranch_execz .LBB143_7
.LBB143_11:                             ;   in Loop: Header=BB143_4 Depth=1
	s_mul_u64 s[10:11], s[14:15], s[28:29]
	s_wait_alu 0xfffe
	s_lshl_b64 s[10:11], s[10:11], 4
	s_wait_alu 0xfffe
	v_add_co_u32 v2, vcc_lo, v9, s10
	s_wait_alu 0xfffd
	v_add_co_ci_u32_e64 v3, null, s11, v10, vcc_lo
	global_load_b128 v[14:17], v[2:3], off
	s_wait_loadcnt 0x0
	ds_store_2addr_b64 v6, v[14:15], v[16:17] offset1:1
	s_or_b32 exec_lo, exec_lo, s7
	s_and_saveexec_b32 s7, s4
	s_cbranch_execz .LBB143_8
.LBB143_12:                             ;   in Loop: Header=BB143_4 Depth=1
	v_dual_mov_b32 v2, v0 :: v_dual_mov_b32 v3, v0
	ds_store_b128 v5, v[0:3]
	s_wait_alu 0xfffe
	s_or_b32 exec_lo, exec_lo, s7
	s_delay_alu instid0(SALU_CYCLE_1)
	s_and_b32 vcc_lo, exec_lo, s5
	s_wait_alu 0xfffe
	s_cbranch_vccnz .LBB143_9
.LBB143_13:                             ;   in Loop: Header=BB143_4 Depth=1
	s_mov_b32 s7, 0
.LBB143_14:                             ;   in Loop: Header=BB143_4 Depth=1
	s_wait_alu 0xfffe
	s_and_not1_b32 s7, s7, exec_lo
	s_and_b32 s10, s1, exec_lo
	s_wait_alu 0xfffe
	s_or_b32 s7, s7, s10
.LBB143_15:                             ;   in Loop: Header=BB143_4 Depth=1
	s_wait_alu 0xfffe
	s_and_saveexec_b32 s10, s7
; %bb.16:                               ;   in Loop: Header=BB143_4 Depth=1
	v_dual_mov_b32 v14, v0 :: v_dual_mov_b32 v15, v0
	v_dual_mov_b32 v16, v0 :: v_dual_mov_b32 v17, v0
	ds_store_b128 v5, v[14:17]
; %bb.17:                               ;   in Loop: Header=BB143_4 Depth=1
	s_wait_alu 0xfffe
	s_or_b32 exec_lo, exec_lo, s10
	s_wait_dscnt 0x0
	s_barrier_signal -1
	s_barrier_wait -1
	global_inv scope:SCOPE_SE
	s_and_saveexec_b32 s7, s2
	s_cbranch_execz .LBB143_2
; %bb.18:                               ;   in Loop: Header=BB143_4 Depth=1
	ds_load_b128 v[14:17], v11
	ds_load_b128 v[18:21], v4
	ds_load_b128 v[22:25], v4 offset:256
	ds_load_b128 v[26:29], v11 offset:256
	;; [unrolled: 1-line block ×6, first 2 shown]
	s_mul_u64 s[10:11], s[30:31], s[28:29]
	s_wait_alu 0xfffe
	s_lshl_b64 s[10:11], s[10:11], 4
	s_wait_dscnt 0x6
	v_mul_f64_e32 v[2:3], v[18:19], v[16:17]
	v_mul_f64_e32 v[16:17], v[20:21], v[16:17]
	s_wait_dscnt 0x4
	v_mul_f64_e32 v[46:47], v[22:23], v[28:29]
	v_mul_f64_e32 v[28:29], v[24:25], v[28:29]
	s_delay_alu instid0(VALU_DEP_4) | instskip(SKIP_2) | instid1(VALU_DEP_4)
	v_fma_f64 v[2:3], v[20:21], v[14:15], v[2:3]
	s_wait_dscnt 0x2
	v_mul_f64_e32 v[20:21], v[34:35], v[32:33]
	v_fma_f64 v[24:25], v[24:25], v[26:27], v[46:47]
	v_fma_f64 v[14:15], v[18:19], v[14:15], -v[16:17]
	s_wait_dscnt 0x0
	v_mul_f64_e32 v[46:47], v[38:39], v[44:45]
	v_mul_f64_e32 v[32:33], v[36:37], v[32:33]
	v_fma_f64 v[48:49], v[22:23], v[26:27], -v[28:29]
	v_mul_f64_e32 v[44:45], v[40:41], v[44:45]
	v_add_f64_e32 v[2:3], 0, v[2:3]
	v_fma_f64 v[36:37], v[36:37], v[30:31], v[20:21]
	v_add_f64_e32 v[50:51], 0, v[14:15]
	v_fma_f64 v[40:41], v[40:41], v[42:43], v[46:47]
	v_fma_f64 v[30:31], v[34:35], v[30:31], -v[32:33]
	v_add_f64_e32 v[2:3], v[2:3], v[24:25]
	ds_load_b128 v[14:17], v11 offset:1024
	ds_load_b128 v[18:21], v4 offset:1024
	ds_load_b128 v[22:25], v4 offset:1280
	ds_load_b128 v[26:29], v11 offset:1280
	v_add_f64_e32 v[32:33], v[50:51], v[48:49]
	v_fma_f64 v[48:49], v[38:39], v[42:43], -v[44:45]
	s_wait_dscnt 0x2
	v_mul_f64_e32 v[52:53], v[18:19], v[16:17]
	v_mul_f64_e32 v[16:17], v[20:21], v[16:17]
	s_wait_dscnt 0x0
	v_mul_f64_e32 v[46:47], v[22:23], v[28:29]
	v_mul_f64_e32 v[28:29], v[24:25], v[28:29]
	v_add_f64_e32 v[2:3], v[2:3], v[36:37]
	v_add_f64_e32 v[50:51], v[32:33], v[30:31]
	v_fma_f64 v[20:21], v[20:21], v[14:15], v[52:53]
	v_fma_f64 v[14:15], v[18:19], v[14:15], -v[16:17]
	v_fma_f64 v[24:25], v[24:25], v[26:27], v[46:47]
	v_add_f64_e32 v[2:3], v[2:3], v[40:41]
	ds_load_b128 v[30:33], v11 offset:1536
	ds_load_b128 v[34:37], v4 offset:1536
	ds_load_b128 v[38:41], v4 offset:1792
	ds_load_b128 v[42:45], v11 offset:1792
	v_add_f64_e32 v[16:17], v[50:51], v[48:49]
	v_fma_f64 v[48:49], v[22:23], v[26:27], -v[28:29]
	s_wait_dscnt 0x2
	v_mul_f64_e32 v[52:53], v[34:35], v[32:33]
	v_mul_f64_e32 v[32:33], v[36:37], v[32:33]
	s_wait_dscnt 0x0
	v_mul_f64_e32 v[46:47], v[38:39], v[44:45]
	v_mul_f64_e32 v[44:45], v[40:41], v[44:45]
	v_add_f64_e32 v[2:3], v[2:3], v[20:21]
	v_add_f64_e32 v[50:51], v[16:17], v[14:15]
	v_fma_f64 v[36:37], v[36:37], v[30:31], v[52:53]
	v_fma_f64 v[30:31], v[34:35], v[30:31], -v[32:33]
	v_fma_f64 v[40:41], v[40:41], v[42:43], v[46:47]
	;; [unrolled: 18-line block ×5, first 2 shown]
	v_fma_f64 v[22:23], v[22:23], v[26:27], -v[28:29]
	v_add_f64_e32 v[2:3], v[2:3], v[40:41]
	ds_load_b128 v[30:33], v11 offset:3584
	ds_load_b128 v[34:37], v4 offset:3584
	;; [unrolled: 1-line block ×4, first 2 shown]
	v_add_f64_e32 v[16:17], v[50:51], v[48:49]
	s_wait_dscnt 0x2
	v_mul_f64_e32 v[52:53], v[34:35], v[32:33]
	s_wait_dscnt 0x0
	v_mul_f64_e32 v[18:19], v[38:39], v[44:45]
	v_add_f64_e32 v[2:3], v[2:3], v[20:21]
	v_mul_f64_e32 v[20:21], v[36:37], v[32:33]
	v_add_f64_e32 v[14:15], v[16:17], v[14:15]
	v_mul_f64_e32 v[16:17], v[40:41], v[44:45]
	v_fma_f64 v[32:33], v[36:37], v[30:31], v[52:53]
	v_fma_f64 v[18:19], v[40:41], v[42:43], v[18:19]
	v_add_f64_e32 v[2:3], v[2:3], v[24:25]
	v_fma_f64 v[20:21], v[34:35], v[30:31], -v[20:21]
	v_add_f64_e32 v[14:15], v[14:15], v[22:23]
	v_fma_f64 v[16:17], v[38:39], v[42:43], -v[16:17]
	s_delay_alu instid0(VALU_DEP_4) | instskip(NEXT) | instid1(VALU_DEP_3)
	v_add_f64_e32 v[2:3], v[2:3], v[32:33]
	v_add_f64_e32 v[14:15], v[14:15], v[20:21]
	s_delay_alu instid0(VALU_DEP_2) | instskip(NEXT) | instid1(VALU_DEP_2)
	v_add_f64_e32 v[2:3], v[2:3], v[18:19]
	v_add_f64_e32 v[14:15], v[14:15], v[16:17]
	s_delay_alu instid0(VALU_DEP_2) | instskip(SKIP_1) | instid1(VALU_DEP_2)
	v_mul_f64_e32 v[16:17], s[24:25], v[2:3]
	v_mul_f64_e32 v[2:3], s[26:27], v[2:3]
	v_fma_f64 v[16:17], s[26:27], v[14:15], v[16:17]
	s_delay_alu instid0(VALU_DEP_2)
	v_fma_f64 v[14:15], s[24:25], v[14:15], -v[2:3]
	s_wait_alu 0xfffe
	v_add_co_u32 v2, vcc_lo, v12, s10
	s_wait_alu 0xfffd
	v_add_co_ci_u32_e64 v3, null, s11, v13, vcc_lo
	global_store_b128 v[2:3], v[14:17], off
	s_branch .LBB143_2
.LBB143_19:
	s_endpgm
	.section	.rodata,"a",@progbits
	.p2align	6, 0x0
	.amdhsa_kernel _ZL23rocblas_trmm_rTx_kernelILi16ELb1E19rocblas_complex_numIdES1_KS1_S1_Ev13rocblas_fill_17rocblas_diagonal_iiT2_lPT3_llS7_llPT4_lli
		.amdhsa_group_segment_fixed_size 8192
		.amdhsa_private_segment_fixed_size 0
		.amdhsa_kernarg_size 116
		.amdhsa_user_sgpr_count 2
		.amdhsa_user_sgpr_dispatch_ptr 0
		.amdhsa_user_sgpr_queue_ptr 0
		.amdhsa_user_sgpr_kernarg_segment_ptr 1
		.amdhsa_user_sgpr_dispatch_id 0
		.amdhsa_user_sgpr_private_segment_size 0
		.amdhsa_wavefront_size32 1
		.amdhsa_uses_dynamic_stack 0
		.amdhsa_enable_private_segment 0
		.amdhsa_system_sgpr_workgroup_id_x 1
		.amdhsa_system_sgpr_workgroup_id_y 0
		.amdhsa_system_sgpr_workgroup_id_z 1
		.amdhsa_system_sgpr_workgroup_info 0
		.amdhsa_system_vgpr_workitem_id 1
		.amdhsa_next_free_vgpr 54
		.amdhsa_next_free_sgpr 34
		.amdhsa_reserve_vcc 1
		.amdhsa_float_round_mode_32 0
		.amdhsa_float_round_mode_16_64 0
		.amdhsa_float_denorm_mode_32 3
		.amdhsa_float_denorm_mode_16_64 3
		.amdhsa_fp16_overflow 0
		.amdhsa_workgroup_processor_mode 1
		.amdhsa_memory_ordered 1
		.amdhsa_forward_progress 1
		.amdhsa_inst_pref_size 15
		.amdhsa_round_robin_scheduling 0
		.amdhsa_exception_fp_ieee_invalid_op 0
		.amdhsa_exception_fp_denorm_src 0
		.amdhsa_exception_fp_ieee_div_zero 0
		.amdhsa_exception_fp_ieee_overflow 0
		.amdhsa_exception_fp_ieee_underflow 0
		.amdhsa_exception_fp_ieee_inexact 0
		.amdhsa_exception_int_div_zero 0
	.end_amdhsa_kernel
	.section	.text._ZL23rocblas_trmm_rTx_kernelILi16ELb1E19rocblas_complex_numIdES1_KS1_S1_Ev13rocblas_fill_17rocblas_diagonal_iiT2_lPT3_llS7_llPT4_lli,"axG",@progbits,_ZL23rocblas_trmm_rTx_kernelILi16ELb1E19rocblas_complex_numIdES1_KS1_S1_Ev13rocblas_fill_17rocblas_diagonal_iiT2_lPT3_llS7_llPT4_lli,comdat
.Lfunc_end143:
	.size	_ZL23rocblas_trmm_rTx_kernelILi16ELb1E19rocblas_complex_numIdES1_KS1_S1_Ev13rocblas_fill_17rocblas_diagonal_iiT2_lPT3_llS7_llPT4_lli, .Lfunc_end143-_ZL23rocblas_trmm_rTx_kernelILi16ELb1E19rocblas_complex_numIdES1_KS1_S1_Ev13rocblas_fill_17rocblas_diagonal_iiT2_lPT3_llS7_llPT4_lli
                                        ; -- End function
	.set _ZL23rocblas_trmm_rTx_kernelILi16ELb1E19rocblas_complex_numIdES1_KS1_S1_Ev13rocblas_fill_17rocblas_diagonal_iiT2_lPT3_llS7_llPT4_lli.num_vgpr, 54
	.set _ZL23rocblas_trmm_rTx_kernelILi16ELb1E19rocblas_complex_numIdES1_KS1_S1_Ev13rocblas_fill_17rocblas_diagonal_iiT2_lPT3_llS7_llPT4_lli.num_agpr, 0
	.set _ZL23rocblas_trmm_rTx_kernelILi16ELb1E19rocblas_complex_numIdES1_KS1_S1_Ev13rocblas_fill_17rocblas_diagonal_iiT2_lPT3_llS7_llPT4_lli.numbered_sgpr, 34
	.set _ZL23rocblas_trmm_rTx_kernelILi16ELb1E19rocblas_complex_numIdES1_KS1_S1_Ev13rocblas_fill_17rocblas_diagonal_iiT2_lPT3_llS7_llPT4_lli.num_named_barrier, 0
	.set _ZL23rocblas_trmm_rTx_kernelILi16ELb1E19rocblas_complex_numIdES1_KS1_S1_Ev13rocblas_fill_17rocblas_diagonal_iiT2_lPT3_llS7_llPT4_lli.private_seg_size, 0
	.set _ZL23rocblas_trmm_rTx_kernelILi16ELb1E19rocblas_complex_numIdES1_KS1_S1_Ev13rocblas_fill_17rocblas_diagonal_iiT2_lPT3_llS7_llPT4_lli.uses_vcc, 1
	.set _ZL23rocblas_trmm_rTx_kernelILi16ELb1E19rocblas_complex_numIdES1_KS1_S1_Ev13rocblas_fill_17rocblas_diagonal_iiT2_lPT3_llS7_llPT4_lli.uses_flat_scratch, 0
	.set _ZL23rocblas_trmm_rTx_kernelILi16ELb1E19rocblas_complex_numIdES1_KS1_S1_Ev13rocblas_fill_17rocblas_diagonal_iiT2_lPT3_llS7_llPT4_lli.has_dyn_sized_stack, 0
	.set _ZL23rocblas_trmm_rTx_kernelILi16ELb1E19rocblas_complex_numIdES1_KS1_S1_Ev13rocblas_fill_17rocblas_diagonal_iiT2_lPT3_llS7_llPT4_lli.has_recursion, 0
	.set _ZL23rocblas_trmm_rTx_kernelILi16ELb1E19rocblas_complex_numIdES1_KS1_S1_Ev13rocblas_fill_17rocblas_diagonal_iiT2_lPT3_llS7_llPT4_lli.has_indirect_call, 0
	.section	.AMDGPU.csdata,"",@progbits
; Kernel info:
; codeLenInByte = 1912
; TotalNumSgprs: 36
; NumVgprs: 54
; ScratchSize: 0
; MemoryBound: 0
; FloatMode: 240
; IeeeMode: 1
; LDSByteSize: 8192 bytes/workgroup (compile time only)
; SGPRBlocks: 0
; VGPRBlocks: 6
; NumSGPRsForWavesPerEU: 36
; NumVGPRsForWavesPerEU: 54
; Occupancy: 16
; WaveLimiterHint : 1
; COMPUTE_PGM_RSRC2:SCRATCH_EN: 0
; COMPUTE_PGM_RSRC2:USER_SGPR: 2
; COMPUTE_PGM_RSRC2:TRAP_HANDLER: 0
; COMPUTE_PGM_RSRC2:TGID_X_EN: 1
; COMPUTE_PGM_RSRC2:TGID_Y_EN: 0
; COMPUTE_PGM_RSRC2:TGID_Z_EN: 1
; COMPUTE_PGM_RSRC2:TIDIG_COMP_CNT: 1
	.section	.text._ZL23rocblas_trmm_lNx_kernelILi32EfPKfKS1_KPfEv13rocblas_fill_17rocblas_diagonal_iiT1_lPT2_llS9_llPT3_lli,"axG",@progbits,_ZL23rocblas_trmm_lNx_kernelILi32EfPKfKS1_KPfEv13rocblas_fill_17rocblas_diagonal_iiT1_lPT2_llS9_llPT3_lli,comdat
	.globl	_ZL23rocblas_trmm_lNx_kernelILi32EfPKfKS1_KPfEv13rocblas_fill_17rocblas_diagonal_iiT1_lPT2_llS9_llPT3_lli ; -- Begin function _ZL23rocblas_trmm_lNx_kernelILi32EfPKfKS1_KPfEv13rocblas_fill_17rocblas_diagonal_iiT1_lPT2_llS9_llPT3_lli
	.p2align	8
	.type	_ZL23rocblas_trmm_lNx_kernelILi32EfPKfKS1_KPfEv13rocblas_fill_17rocblas_diagonal_iiT1_lPT2_llS9_llPT3_lli,@function
_ZL23rocblas_trmm_lNx_kernelILi32EfPKfKS1_KPfEv13rocblas_fill_17rocblas_diagonal_iiT1_lPT2_llS9_llPT3_lli: ; @_ZL23rocblas_trmm_lNx_kernelILi32EfPKfKS1_KPfEv13rocblas_fill_17rocblas_diagonal_iiT1_lPT2_llS9_llPT3_lli
; %bb.0:
	s_load_b32 s28, s[0:1], 0x68
	s_lshr_b32 s2, ttmp7, 16
	s_wait_kmcnt 0x0
	s_cmp_ge_u32 s2, s28
	s_cbranch_scc1 .LBB144_19
; %bb.1:
	s_clause 0x3
	s_load_b128 s[24:27], s[0:1], 0x0
	s_load_b512 s[4:19], s[0:1], 0x10
	s_load_b128 s[20:23], s[0:1], 0x50
	s_load_b64 s[34:35], s[0:1], 0x60
	v_bfe_u32 v9, v0, 10, 10
	v_dual_mov_b32 v11, 0 :: v_dual_and_b32 v16, 0x3ff, v0
	s_delay_alu instid0(VALU_DEP_2) | instskip(NEXT) | instid1(VALU_DEP_2)
	v_dual_mov_b32 v15, 1.0 :: v_dual_lshlrev_b32 v0, 5, v9
	v_cmp_eq_u32_e32 vcc_lo, v9, v16
	v_lshlrev_b32_e32 v13, 2, v16
	v_lshl_add_u32 v14, v9, 7, 0x1000
	s_delay_alu instid0(VALU_DEP_4) | instskip(NEXT) | instid1(VALU_DEP_3)
	v_add_lshl_u32 v10, v0, v16, 2
	v_add_nc_u32_e32 v17, 0x400, v13
	v_add_nc_u32_e32 v18, 0x800, v13
	;; [unrolled: 1-line block ×3, first 2 shown]
	s_wait_kmcnt 0x0
	s_add_co_i32 s1, s27, -1
	v_mad_co_u64_u32 v[0:1], null, s10, v9, 0
	v_mad_co_u64_u32 v[2:3], null, s16, v9, 0
	s_ashr_i32 s3, s1, 31
	v_mad_co_u64_u32 v[4:5], null, s22, v9, 0
	s_lshr_b32 s3, s3, 27
	v_cmp_gt_i32_e64 s0, s26, v9
	s_add_co_i32 s3, s1, s3
	v_mad_co_u64_u32 v[6:7], null, s11, v9, v[1:2]
	s_ashr_i32 s10, s3, 5
	s_and_not1_b32 s3, s3, 31
	v_cmp_gt_i32_e64 s1, s26, v16
	s_sub_co_i32 s3, s27, s3
	s_wait_alu 0xfffe
	s_cmp_ge_i32 ttmp9, s10
	v_mad_co_u64_u32 v[7:8], null, s17, v9, v[3:4]
	s_cselect_b32 s3, s3, 32
	s_and_b32 s26, s0, s1
	v_cmp_gt_i32_e64 s0, s3, v9
	v_mov_b32_e32 v1, v6
	v_mad_co_u64_u32 v[5:6], null, s23, v9, v[5:6]
	s_lshl_b32 s10, ttmp9, 5
	v_dual_mov_b32 v3, v7 :: v_dual_add_nc_u32 v12, 0x1000, v10
	s_wait_alu 0xfffe
	s_ashr_i32 s11, s10, 31
	s_and_b32 s27, s1, s0
	s_cmp_eq_u32 s25, 0x84
	v_lshlrev_b64_e32 v[0:1], 2, v[0:1]
	s_cselect_b32 s0, -1, 0
	v_lshlrev_b64_e32 v[2:3], 2, v[2:3]
	v_lshlrev_b64_e32 v[4:5], 2, v[4:5]
	s_and_b32 s29, vcc_lo, s0
	v_cmp_lt_u32_e64 s0, v16, v9
	v_cmp_gt_u32_e64 s1, v16, v9
	v_lshlrev_b32_e32 v16, 2, v16
	s_wait_alu 0xfffe
	s_mul_u64 s[16:17], s[16:17], s[10:11]
	s_mul_u64 s[36:37], s[22:23], s[10:11]
	s_cmp_lg_u32 s24, 0x79
	s_mov_b32 s3, 0
	s_cselect_b32 s30, -1, 0
	s_lshl_b64 s[10:11], s[12:13], 2
	s_lshl_b64 s[12:13], s[18:19], 2
	s_wait_alu 0xfffe
	s_lshl_b64 s[16:17], s[16:17], 2
	s_lshl_b64 s[18:19], s[34:35], 2
	;; [unrolled: 1-line block ×3, first 2 shown]
	s_branch .LBB144_4
.LBB144_2:                              ;   in Loop: Header=BB144_4 Depth=1
	s_or_b32 exec_lo, exec_lo, s24
.LBB144_3:                              ;   in Loop: Header=BB144_4 Depth=1
	s_add_co_i32 s2, s2, 0x10000
	s_wait_alu 0xfffe
	s_cmp_lt_u32 s2, s28
	s_cbranch_scc0 .LBB144_19
.LBB144_4:                              ; =>This Inner Loop Header: Depth=1
	s_mul_u64 s[24:25], s[6:7], s[2:3]
	s_delay_alu instid0(SALU_CYCLE_1) | instskip(NEXT) | instid1(SALU_CYCLE_1)
	s_lshl_b64 s[24:25], s[24:25], 2
	s_add_nc_u64 s[24:25], s[4:5], s[24:25]
	global_load_b32 v20, v11, s[24:25]
	s_wait_loadcnt 0x0
	v_cmp_eq_f32_e32 vcc_lo, 0, v20
	s_cbranch_vccnz .LBB144_3
; %bb.5:                                ;   in Loop: Header=BB144_4 Depth=1
	s_lshl_b64 s[24:25], s[2:3], 3
	s_delay_alu instid0(SALU_CYCLE_1)
	s_add_nc_u64 s[34:35], s[14:15], s[24:25]
	s_add_nc_u64 s[36:37], s[20:21], s[24:25]
	s_clause 0x1
	global_load_b64 v[8:9], v11, s[34:35]
	global_load_b64 v[6:7], v11, s[36:37]
	ds_store_b32 v10, v11
	ds_store_b32 v12, v11
	s_and_saveexec_b32 s31, s26
	s_cbranch_execnz .LBB144_10
; %bb.6:                                ;   in Loop: Header=BB144_4 Depth=1
	s_or_b32 exec_lo, exec_lo, s31
	s_and_saveexec_b32 s24, s27
	s_cbranch_execnz .LBB144_11
.LBB144_7:                              ;   in Loop: Header=BB144_4 Depth=1
	s_or_b32 exec_lo, exec_lo, s24
	s_and_saveexec_b32 s24, s29
	s_cbranch_execnz .LBB144_12
.LBB144_8:                              ;   in Loop: Header=BB144_4 Depth=1
	s_or_b32 exec_lo, exec_lo, s24
	s_delay_alu instid0(SALU_CYCLE_1)
	s_and_b32 vcc_lo, exec_lo, s30
	s_wait_alu 0xfffe
	s_cbranch_vccz .LBB144_13
.LBB144_9:                              ;   in Loop: Header=BB144_4 Depth=1
	s_and_b32 s24, s0, exec_lo
	s_cbranch_execz .LBB144_14
	s_branch .LBB144_15
.LBB144_10:                             ;   in Loop: Header=BB144_4 Depth=1
	s_add_nc_u64 s[24:25], s[8:9], s[24:25]
	global_load_b64 v[21:22], v11, s[24:25]
	s_wait_loadcnt 0x0
	v_add_co_u32 v21, vcc_lo, v21, s10
	s_wait_alu 0xfffd
	v_add_co_ci_u32_e64 v22, null, s11, v22, vcc_lo
	s_delay_alu instid0(VALU_DEP_2) | instskip(SKIP_1) | instid1(VALU_DEP_2)
	v_add_co_u32 v21, vcc_lo, v21, v0
	s_wait_alu 0xfffd
	v_add_co_ci_u32_e64 v22, null, v22, v1, vcc_lo
	s_delay_alu instid0(VALU_DEP_2) | instskip(SKIP_1) | instid1(VALU_DEP_2)
	v_add_co_u32 v21, vcc_lo, v21, v16
	s_wait_alu 0xfffd
	v_add_co_ci_u32_e64 v22, null, 0, v22, vcc_lo
	flat_load_b32 v21, v[21:22]
	s_wait_loadcnt_dscnt 0x0
	ds_store_b32 v10, v21
	s_or_b32 exec_lo, exec_lo, s31
	s_and_saveexec_b32 s24, s27
	s_cbranch_execz .LBB144_7
.LBB144_11:                             ;   in Loop: Header=BB144_4 Depth=1
	s_wait_loadcnt 0x1
	v_add_co_u32 v8, vcc_lo, v8, s12
	s_wait_alu 0xfffd
	v_add_co_ci_u32_e64 v9, null, s13, v9, vcc_lo
	s_wait_alu 0xfffe
	s_delay_alu instid0(VALU_DEP_2) | instskip(SKIP_1) | instid1(VALU_DEP_2)
	v_add_co_u32 v8, vcc_lo, v8, s16
	s_wait_alu 0xfffd
	v_add_co_ci_u32_e64 v9, null, s17, v9, vcc_lo
	s_delay_alu instid0(VALU_DEP_2) | instskip(SKIP_1) | instid1(VALU_DEP_2)
	v_add_co_u32 v8, vcc_lo, v8, v2
	s_wait_alu 0xfffd
	v_add_co_ci_u32_e64 v9, null, v9, v3, vcc_lo
	;; [unrolled: 4-line block ×3, first 2 shown]
	flat_load_b32 v8, v[8:9]
	s_wait_loadcnt_dscnt 0x0
	ds_store_b32 v12, v8
	s_or_b32 exec_lo, exec_lo, s24
	s_and_saveexec_b32 s24, s29
	s_cbranch_execz .LBB144_8
.LBB144_12:                             ;   in Loop: Header=BB144_4 Depth=1
	ds_store_b32 v10, v15
	s_or_b32 exec_lo, exec_lo, s24
	s_delay_alu instid0(SALU_CYCLE_1)
	s_and_b32 vcc_lo, exec_lo, s30
	s_wait_alu 0xfffe
	s_cbranch_vccnz .LBB144_9
.LBB144_13:                             ;   in Loop: Header=BB144_4 Depth=1
	s_mov_b32 s24, 0
.LBB144_14:                             ;   in Loop: Header=BB144_4 Depth=1
	s_delay_alu instid0(SALU_CYCLE_1) | instskip(SKIP_1) | instid1(SALU_CYCLE_1)
	s_and_not1_b32 s24, s24, exec_lo
	s_and_b32 s25, s1, exec_lo
	s_or_b32 s24, s24, s25
.LBB144_15:                             ;   in Loop: Header=BB144_4 Depth=1
	s_delay_alu instid0(SALU_CYCLE_1)
	s_and_saveexec_b32 s25, s24
; %bb.16:                               ;   in Loop: Header=BB144_4 Depth=1
	ds_store_b32 v10, v11
; %bb.17:                               ;   in Loop: Header=BB144_4 Depth=1
	s_or_b32 exec_lo, exec_lo, s25
	s_wait_loadcnt_dscnt 0x0
	s_barrier_signal -1
	s_barrier_wait -1
	global_inv scope:SCOPE_SE
	s_and_saveexec_b32 s24, s27
	s_cbranch_execz .LBB144_2
; %bb.18:                               ;   in Loop: Header=BB144_4 Depth=1
	ds_load_2addr_b32 v[8:9], v13 offset1:32
	ds_load_b128 v[21:24], v14
	ds_load_2addr_b32 v[29:30], v13 offset0:64 offset1:96
	ds_load_b128 v[25:28], v14 offset:16
	ds_load_2addr_b32 v[31:32], v13 offset0:128 offset1:160
	v_add_co_u32 v6, vcc_lo, v6, s18
	s_wait_alu 0xfffd
	v_add_co_ci_u32_e64 v7, null, s19, v7, vcc_lo
	s_wait_alu 0xfffe
	s_delay_alu instid0(VALU_DEP_2) | instskip(SKIP_1) | instid1(VALU_DEP_2)
	v_add_co_u32 v6, vcc_lo, v6, s22
	s_wait_alu 0xfffd
	v_add_co_ci_u32_e64 v7, null, s23, v7, vcc_lo
	s_delay_alu instid0(VALU_DEP_2) | instskip(SKIP_1) | instid1(VALU_DEP_2)
	v_add_co_u32 v6, vcc_lo, v6, v4
	s_wait_alu 0xfffd
	v_add_co_ci_u32_e64 v7, null, v7, v5, vcc_lo
	s_delay_alu instid0(VALU_DEP_2) | instskip(SKIP_4) | instid1(VALU_DEP_2)
	v_add_co_u32 v6, vcc_lo, v6, v16
	s_wait_dscnt 0x3
	v_fma_f32 v33, v8, v21, 0
	s_wait_alu 0xfffd
	v_add_co_ci_u32_e64 v7, null, 0, v7, vcc_lo
	v_fmac_f32_e32 v33, v9, v22
	ds_load_2addr_b32 v[8:9], v13 offset0:192 offset1:224
	s_wait_dscnt 0x3
	v_fmac_f32_e32 v33, v29, v23
	s_delay_alu instid0(VALU_DEP_1) | instskip(SKIP_4) | instid1(VALU_DEP_1)
	v_fmac_f32_e32 v33, v30, v24
	ds_load_b128 v[21:24], v14 offset:32
	ds_load_2addr_b32 v[29:30], v17 offset1:32
	s_wait_dscnt 0x3
	v_fmac_f32_e32 v33, v31, v25
	v_fmac_f32_e32 v33, v32, v26
	ds_load_2addr_b32 v[31:32], v17 offset0:64 offset1:96
	s_wait_dscnt 0x3
	v_fmac_f32_e32 v33, v8, v27
	s_delay_alu instid0(VALU_DEP_1) | instskip(SKIP_4) | instid1(VALU_DEP_1)
	v_fmac_f32_e32 v33, v9, v28
	ds_load_b128 v[25:28], v14 offset:48
	ds_load_2addr_b32 v[8:9], v17 offset0:128 offset1:160
	s_wait_dscnt 0x3
	v_fmac_f32_e32 v33, v29, v21
	v_fmac_f32_e32 v33, v30, v22
	ds_load_2addr_b32 v[29:30], v17 offset0:192 offset1:224
	s_wait_dscnt 0x3
	v_fmac_f32_e32 v33, v31, v23
	s_delay_alu instid0(VALU_DEP_1) | instskip(SKIP_4) | instid1(VALU_DEP_1)
	v_fmac_f32_e32 v33, v32, v24
	ds_load_2addr_b32 v[31:32], v18 offset1:32
	ds_load_b128 v[21:24], v14 offset:64
	s_wait_dscnt 0x3
	v_fmac_f32_e32 v33, v8, v25
	v_fmac_f32_e32 v33, v9, v26
	ds_load_2addr_b32 v[8:9], v18 offset0:64 offset1:96
	s_wait_dscnt 0x3
	v_fmac_f32_e32 v33, v29, v27
	s_delay_alu instid0(VALU_DEP_1) | instskip(SKIP_4) | instid1(VALU_DEP_1)
	v_fmac_f32_e32 v33, v30, v28
	ds_load_2addr_b32 v[29:30], v18 offset0:128 offset1:160
	ds_load_b128 v[25:28], v14 offset:80
	s_wait_dscnt 0x3
	v_fmac_f32_e32 v33, v31, v21
	v_fmac_f32_e32 v33, v32, v22
	ds_load_2addr_b32 v[31:32], v18 offset0:192 offset1:224
	s_wait_dscnt 0x3
	v_fmac_f32_e32 v33, v8, v23
	s_delay_alu instid0(VALU_DEP_1) | instskip(SKIP_4) | instid1(VALU_DEP_1)
	v_fmac_f32_e32 v33, v9, v24
	ds_load_2addr_b32 v[8:9], v19 offset1:32
	ds_load_b128 v[21:24], v14 offset:96
	s_wait_dscnt 0x3
	v_fmac_f32_e32 v33, v29, v25
	v_fmac_f32_e32 v33, v30, v26
	ds_load_2addr_b32 v[29:30], v19 offset0:64 offset1:96
	s_wait_dscnt 0x3
	v_fmac_f32_e32 v33, v31, v27
	s_delay_alu instid0(VALU_DEP_1) | instskip(SKIP_4) | instid1(VALU_DEP_1)
	v_fmac_f32_e32 v33, v32, v28
	ds_load_2addr_b32 v[31:32], v19 offset0:128 offset1:160
	ds_load_b128 v[25:28], v14 offset:112
	s_wait_dscnt 0x3
	v_fmac_f32_e32 v33, v8, v21
	v_fmac_f32_e32 v33, v9, v22
	ds_load_2addr_b32 v[8:9], v19 offset0:192 offset1:224
	s_wait_dscnt 0x3
	v_fmac_f32_e32 v33, v29, v23
	s_delay_alu instid0(VALU_DEP_1) | instskip(SKIP_1) | instid1(VALU_DEP_1)
	v_fmac_f32_e32 v33, v30, v24
	s_wait_dscnt 0x1
	v_fmac_f32_e32 v33, v31, v25
	s_delay_alu instid0(VALU_DEP_1) | instskip(SKIP_1) | instid1(VALU_DEP_1)
	v_fmac_f32_e32 v33, v32, v26
	s_wait_dscnt 0x0
	v_fmac_f32_e32 v33, v8, v27
	s_delay_alu instid0(VALU_DEP_1) | instskip(NEXT) | instid1(VALU_DEP_1)
	v_fmac_f32_e32 v33, v9, v28
	v_mul_f32_e32 v8, v20, v33
	flat_store_b32 v[6:7], v8
	s_branch .LBB144_2
.LBB144_19:
	s_endpgm
	.section	.rodata,"a",@progbits
	.p2align	6, 0x0
	.amdhsa_kernel _ZL23rocblas_trmm_lNx_kernelILi32EfPKfKS1_KPfEv13rocblas_fill_17rocblas_diagonal_iiT1_lPT2_llS9_llPT3_lli
		.amdhsa_group_segment_fixed_size 8192
		.amdhsa_private_segment_fixed_size 0
		.amdhsa_kernarg_size 108
		.amdhsa_user_sgpr_count 2
		.amdhsa_user_sgpr_dispatch_ptr 0
		.amdhsa_user_sgpr_queue_ptr 0
		.amdhsa_user_sgpr_kernarg_segment_ptr 1
		.amdhsa_user_sgpr_dispatch_id 0
		.amdhsa_user_sgpr_private_segment_size 0
		.amdhsa_wavefront_size32 1
		.amdhsa_uses_dynamic_stack 0
		.amdhsa_enable_private_segment 0
		.amdhsa_system_sgpr_workgroup_id_x 1
		.amdhsa_system_sgpr_workgroup_id_y 0
		.amdhsa_system_sgpr_workgroup_id_z 1
		.amdhsa_system_sgpr_workgroup_info 0
		.amdhsa_system_vgpr_workitem_id 1
		.amdhsa_next_free_vgpr 34
		.amdhsa_next_free_sgpr 38
		.amdhsa_reserve_vcc 1
		.amdhsa_float_round_mode_32 0
		.amdhsa_float_round_mode_16_64 0
		.amdhsa_float_denorm_mode_32 3
		.amdhsa_float_denorm_mode_16_64 3
		.amdhsa_fp16_overflow 0
		.amdhsa_workgroup_processor_mode 1
		.amdhsa_memory_ordered 1
		.amdhsa_forward_progress 1
		.amdhsa_inst_pref_size 12
		.amdhsa_round_robin_scheduling 0
		.amdhsa_exception_fp_ieee_invalid_op 0
		.amdhsa_exception_fp_denorm_src 0
		.amdhsa_exception_fp_ieee_div_zero 0
		.amdhsa_exception_fp_ieee_overflow 0
		.amdhsa_exception_fp_ieee_underflow 0
		.amdhsa_exception_fp_ieee_inexact 0
		.amdhsa_exception_int_div_zero 0
	.end_amdhsa_kernel
	.section	.text._ZL23rocblas_trmm_lNx_kernelILi32EfPKfKS1_KPfEv13rocblas_fill_17rocblas_diagonal_iiT1_lPT2_llS9_llPT3_lli,"axG",@progbits,_ZL23rocblas_trmm_lNx_kernelILi32EfPKfKS1_KPfEv13rocblas_fill_17rocblas_diagonal_iiT1_lPT2_llS9_llPT3_lli,comdat
.Lfunc_end144:
	.size	_ZL23rocblas_trmm_lNx_kernelILi32EfPKfKS1_KPfEv13rocblas_fill_17rocblas_diagonal_iiT1_lPT2_llS9_llPT3_lli, .Lfunc_end144-_ZL23rocblas_trmm_lNx_kernelILi32EfPKfKS1_KPfEv13rocblas_fill_17rocblas_diagonal_iiT1_lPT2_llS9_llPT3_lli
                                        ; -- End function
	.set _ZL23rocblas_trmm_lNx_kernelILi32EfPKfKS1_KPfEv13rocblas_fill_17rocblas_diagonal_iiT1_lPT2_llS9_llPT3_lli.num_vgpr, 34
	.set _ZL23rocblas_trmm_lNx_kernelILi32EfPKfKS1_KPfEv13rocblas_fill_17rocblas_diagonal_iiT1_lPT2_llS9_llPT3_lli.num_agpr, 0
	.set _ZL23rocblas_trmm_lNx_kernelILi32EfPKfKS1_KPfEv13rocblas_fill_17rocblas_diagonal_iiT1_lPT2_llS9_llPT3_lli.numbered_sgpr, 38
	.set _ZL23rocblas_trmm_lNx_kernelILi32EfPKfKS1_KPfEv13rocblas_fill_17rocblas_diagonal_iiT1_lPT2_llS9_llPT3_lli.num_named_barrier, 0
	.set _ZL23rocblas_trmm_lNx_kernelILi32EfPKfKS1_KPfEv13rocblas_fill_17rocblas_diagonal_iiT1_lPT2_llS9_llPT3_lli.private_seg_size, 0
	.set _ZL23rocblas_trmm_lNx_kernelILi32EfPKfKS1_KPfEv13rocblas_fill_17rocblas_diagonal_iiT1_lPT2_llS9_llPT3_lli.uses_vcc, 1
	.set _ZL23rocblas_trmm_lNx_kernelILi32EfPKfKS1_KPfEv13rocblas_fill_17rocblas_diagonal_iiT1_lPT2_llS9_llPT3_lli.uses_flat_scratch, 0
	.set _ZL23rocblas_trmm_lNx_kernelILi32EfPKfKS1_KPfEv13rocblas_fill_17rocblas_diagonal_iiT1_lPT2_llS9_llPT3_lli.has_dyn_sized_stack, 0
	.set _ZL23rocblas_trmm_lNx_kernelILi32EfPKfKS1_KPfEv13rocblas_fill_17rocblas_diagonal_iiT1_lPT2_llS9_llPT3_lli.has_recursion, 0
	.set _ZL23rocblas_trmm_lNx_kernelILi32EfPKfKS1_KPfEv13rocblas_fill_17rocblas_diagonal_iiT1_lPT2_llS9_llPT3_lli.has_indirect_call, 0
	.section	.AMDGPU.csdata,"",@progbits
; Kernel info:
; codeLenInByte = 1496
; TotalNumSgprs: 40
; NumVgprs: 34
; ScratchSize: 0
; MemoryBound: 0
; FloatMode: 240
; IeeeMode: 1
; LDSByteSize: 8192 bytes/workgroup (compile time only)
; SGPRBlocks: 0
; VGPRBlocks: 4
; NumSGPRsForWavesPerEU: 40
; NumVGPRsForWavesPerEU: 34
; Occupancy: 16
; WaveLimiterHint : 1
; COMPUTE_PGM_RSRC2:SCRATCH_EN: 0
; COMPUTE_PGM_RSRC2:USER_SGPR: 2
; COMPUTE_PGM_RSRC2:TRAP_HANDLER: 0
; COMPUTE_PGM_RSRC2:TGID_X_EN: 1
; COMPUTE_PGM_RSRC2:TGID_Y_EN: 0
; COMPUTE_PGM_RSRC2:TGID_Z_EN: 1
; COMPUTE_PGM_RSRC2:TIDIG_COMP_CNT: 1
	.section	.text._ZL23rocblas_trmm_lNx_kernelILi32EffKPKfKPfEv13rocblas_fill_17rocblas_diagonal_iiT1_lPT2_llS9_llPT3_lli,"axG",@progbits,_ZL23rocblas_trmm_lNx_kernelILi32EffKPKfKPfEv13rocblas_fill_17rocblas_diagonal_iiT1_lPT2_llS9_llPT3_lli,comdat
	.globl	_ZL23rocblas_trmm_lNx_kernelILi32EffKPKfKPfEv13rocblas_fill_17rocblas_diagonal_iiT1_lPT2_llS9_llPT3_lli ; -- Begin function _ZL23rocblas_trmm_lNx_kernelILi32EffKPKfKPfEv13rocblas_fill_17rocblas_diagonal_iiT1_lPT2_llS9_llPT3_lli
	.p2align	8
	.type	_ZL23rocblas_trmm_lNx_kernelILi32EffKPKfKPfEv13rocblas_fill_17rocblas_diagonal_iiT1_lPT2_llS9_llPT3_lli,@function
_ZL23rocblas_trmm_lNx_kernelILi32EffKPKfKPfEv13rocblas_fill_17rocblas_diagonal_iiT1_lPT2_llS9_llPT3_lli: ; @_ZL23rocblas_trmm_lNx_kernelILi32EffKPKfKPfEv13rocblas_fill_17rocblas_diagonal_iiT1_lPT2_llS9_llPT3_lli
; %bb.0:
	s_load_b32 s26, s[0:1], 0x68
	s_lshr_b32 s24, ttmp7, 16
	s_wait_kmcnt 0x0
	s_cmp_ge_u32 s24, s26
	s_cbranch_scc1 .LBB145_19
; %bb.1:
	s_clause 0x3
	s_load_b32 s27, s[0:1], 0x10
	s_load_b512 s[4:19], s[0:1], 0x20
	s_load_b128 s[20:23], s[0:1], 0x0
	s_load_b64 s[30:31], s[0:1], 0x60
	v_bfe_u32 v9, v0, 10, 10
	v_dual_mov_b32 v11, 0 :: v_dual_and_b32 v16, 0x3ff, v0
	v_mov_b32_e32 v15, 1.0
	s_mov_b32 s25, 0
	s_delay_alu instid0(VALU_DEP_3) | instskip(NEXT) | instid1(VALU_DEP_3)
	v_lshlrev_b32_e32 v0, 5, v9
	v_cmp_eq_u32_e32 vcc_lo, v9, v16
	v_lshlrev_b32_e32 v13, 2, v16
	v_lshl_add_u32 v14, v9, 7, 0x1000
	s_delay_alu instid0(VALU_DEP_4) | instskip(NEXT) | instid1(VALU_DEP_3)
	v_add_lshl_u32 v10, v0, v16, 2
	v_add_nc_u32_e32 v17, 0x400, v13
	v_add_nc_u32_e32 v18, 0x800, v13
	;; [unrolled: 1-line block ×3, first 2 shown]
	s_wait_kmcnt 0x0
	s_cmp_neq_f32 s27, 0
	v_mad_co_u64_u32 v[0:1], null, s6, v9, 0
	v_mad_co_u64_u32 v[2:3], null, s12, v9, 0
	s_cselect_b32 s28, -1, 0
	s_add_co_i32 s2, s23, -1
	v_mad_co_u64_u32 v[4:5], null, s18, v9, 0
	s_ashr_i32 s3, s2, 31
	v_cmp_gt_i32_e64 s0, s22, v9
	s_lshr_b32 s3, s3, 27
	v_mad_co_u64_u32 v[6:7], null, s7, v9, v[1:2]
	s_add_co_i32 s2, s2, s3
	v_mad_co_u64_u32 v[7:8], null, s13, v9, v[3:4]
	s_and_b32 s3, s2, 0xffffffe0
	s_ashr_i32 s2, s2, 5
	s_sub_co_i32 s3, s23, s3
	s_cmp_ge_i32 ttmp9, s2
	v_cmp_gt_i32_e64 s1, s22, v16
	s_cselect_b32 s2, s3, 32
	v_mov_b32_e32 v1, v6
	v_cmp_gt_i32_e64 s2, s2, v9
	v_mad_co_u64_u32 v[5:6], null, s19, v9, v[5:6]
	s_lshl_b32 s6, ttmp9, 5
	v_dual_mov_b32 v3, v7 :: v_dual_add_nc_u32 v12, 0x1000, v10
	s_wait_alu 0xfffe
	s_ashr_i32 s7, s6, 31
	s_and_b32 s22, s0, s1
	s_and_b32 s23, s1, s2
	s_cmp_eq_u32 s21, 0x84
	v_lshlrev_b64_e32 v[0:1], 2, v[0:1]
	s_cselect_b32 s0, -1, 0
	v_lshlrev_b64_e32 v[2:3], 2, v[2:3]
	v_lshlrev_b64_e32 v[4:5], 2, v[4:5]
	s_and_b32 s21, vcc_lo, s0
	v_cmp_lt_u32_e64 s0, v16, v9
	v_cmp_gt_u32_e64 s1, v16, v9
	v_lshlrev_b32_e32 v16, 2, v16
	s_wait_alu 0xfffe
	s_mul_u64 s[12:13], s[12:13], s[6:7]
	s_mul_u64 s[34:35], s[18:19], s[6:7]
	s_cmp_lg_u32 s20, 0x79
	s_cselect_b32 s20, -1, 0
	s_lshl_b64 s[2:3], s[8:9], 2
	s_lshl_b64 s[6:7], s[14:15], 2
	s_wait_alu 0xfffe
	s_lshl_b64 s[8:9], s[12:13], 2
	s_lshl_b64 s[12:13], s[30:31], 2
	s_lshl_b64 s[14:15], s[34:35], 2
	s_branch .LBB145_4
.LBB145_2:                              ;   in Loop: Header=BB145_4 Depth=1
	s_wait_alu 0xfffe
	s_or_b32 exec_lo, exec_lo, s18
.LBB145_3:                              ;   in Loop: Header=BB145_4 Depth=1
	s_add_co_i32 s24, s24, 0x10000
	s_delay_alu instid0(SALU_CYCLE_1)
	s_cmp_lt_u32 s24, s26
	s_cbranch_scc0 .LBB145_19
.LBB145_4:                              ; =>This Inner Loop Header: Depth=1
	s_and_not1_b32 vcc_lo, exec_lo, s28
	s_wait_alu 0xfffe
	s_cbranch_vccnz .LBB145_3
; %bb.5:                                ;   in Loop: Header=BB145_4 Depth=1
	s_lshl_b64 s[18:19], s[24:25], 3
	s_wait_alu 0xfffe
	s_add_nc_u64 s[30:31], s[10:11], s[18:19]
	s_add_nc_u64 s[34:35], s[16:17], s[18:19]
	s_clause 0x1
	global_load_b64 v[8:9], v11, s[30:31]
	global_load_b64 v[6:7], v11, s[34:35]
	ds_store_b32 v10, v11
	ds_store_b32 v12, v11
	s_and_saveexec_b32 s29, s22
	s_cbranch_execnz .LBB145_10
; %bb.6:                                ;   in Loop: Header=BB145_4 Depth=1
	s_or_b32 exec_lo, exec_lo, s29
	s_and_saveexec_b32 s18, s23
	s_cbranch_execnz .LBB145_11
.LBB145_7:                              ;   in Loop: Header=BB145_4 Depth=1
	s_wait_alu 0xfffe
	s_or_b32 exec_lo, exec_lo, s18
	s_and_saveexec_b32 s18, s21
	s_cbranch_execnz .LBB145_12
.LBB145_8:                              ;   in Loop: Header=BB145_4 Depth=1
	s_wait_alu 0xfffe
	s_or_b32 exec_lo, exec_lo, s18
	s_delay_alu instid0(SALU_CYCLE_1)
	s_and_b32 vcc_lo, exec_lo, s20
	s_wait_alu 0xfffe
	s_cbranch_vccz .LBB145_13
.LBB145_9:                              ;   in Loop: Header=BB145_4 Depth=1
	s_and_b32 s18, s0, exec_lo
	s_cbranch_execz .LBB145_14
	s_branch .LBB145_15
.LBB145_10:                             ;   in Loop: Header=BB145_4 Depth=1
	s_add_nc_u64 s[18:19], s[4:5], s[18:19]
	global_load_b64 v[20:21], v11, s[18:19]
	s_wait_loadcnt 0x0
	v_add_co_u32 v20, vcc_lo, v20, s2
	s_wait_alu 0xfffd
	v_add_co_ci_u32_e64 v21, null, s3, v21, vcc_lo
	s_delay_alu instid0(VALU_DEP_2) | instskip(SKIP_1) | instid1(VALU_DEP_2)
	v_add_co_u32 v20, vcc_lo, v20, v0
	s_wait_alu 0xfffd
	v_add_co_ci_u32_e64 v21, null, v21, v1, vcc_lo
	s_delay_alu instid0(VALU_DEP_2) | instskip(SKIP_1) | instid1(VALU_DEP_2)
	v_add_co_u32 v20, vcc_lo, v20, v16
	s_wait_alu 0xfffd
	v_add_co_ci_u32_e64 v21, null, 0, v21, vcc_lo
	flat_load_b32 v20, v[20:21]
	s_wait_loadcnt_dscnt 0x0
	ds_store_b32 v10, v20
	s_or_b32 exec_lo, exec_lo, s29
	s_and_saveexec_b32 s18, s23
	s_cbranch_execz .LBB145_7
.LBB145_11:                             ;   in Loop: Header=BB145_4 Depth=1
	s_wait_loadcnt 0x1
	v_add_co_u32 v8, vcc_lo, v8, s6
	s_wait_alu 0xfffd
	v_add_co_ci_u32_e64 v9, null, s7, v9, vcc_lo
	s_delay_alu instid0(VALU_DEP_2) | instskip(SKIP_1) | instid1(VALU_DEP_2)
	v_add_co_u32 v8, vcc_lo, v8, s8
	s_wait_alu 0xfffd
	v_add_co_ci_u32_e64 v9, null, s9, v9, vcc_lo
	s_delay_alu instid0(VALU_DEP_2) | instskip(SKIP_1) | instid1(VALU_DEP_2)
	;; [unrolled: 4-line block ×3, first 2 shown]
	v_add_co_u32 v8, vcc_lo, v8, v16
	s_wait_alu 0xfffd
	v_add_co_ci_u32_e64 v9, null, 0, v9, vcc_lo
	flat_load_b32 v8, v[8:9]
	s_wait_loadcnt_dscnt 0x0
	ds_store_b32 v12, v8
	s_wait_alu 0xfffe
	s_or_b32 exec_lo, exec_lo, s18
	s_and_saveexec_b32 s18, s21
	s_cbranch_execz .LBB145_8
.LBB145_12:                             ;   in Loop: Header=BB145_4 Depth=1
	ds_store_b32 v10, v15
	s_wait_alu 0xfffe
	s_or_b32 exec_lo, exec_lo, s18
	s_delay_alu instid0(SALU_CYCLE_1)
	s_and_b32 vcc_lo, exec_lo, s20
	s_wait_alu 0xfffe
	s_cbranch_vccnz .LBB145_9
.LBB145_13:                             ;   in Loop: Header=BB145_4 Depth=1
	s_mov_b32 s18, 0
.LBB145_14:                             ;   in Loop: Header=BB145_4 Depth=1
	s_wait_alu 0xfffe
	s_and_not1_b32 s18, s18, exec_lo
	s_and_b32 s19, s1, exec_lo
	s_wait_alu 0xfffe
	s_or_b32 s18, s18, s19
.LBB145_15:                             ;   in Loop: Header=BB145_4 Depth=1
	s_wait_alu 0xfffe
	s_and_saveexec_b32 s19, s18
; %bb.16:                               ;   in Loop: Header=BB145_4 Depth=1
	ds_store_b32 v10, v11
; %bb.17:                               ;   in Loop: Header=BB145_4 Depth=1
	s_wait_alu 0xfffe
	s_or_b32 exec_lo, exec_lo, s19
	s_wait_loadcnt_dscnt 0x0
	s_barrier_signal -1
	s_barrier_wait -1
	global_inv scope:SCOPE_SE
	s_and_saveexec_b32 s18, s23
	s_cbranch_execz .LBB145_2
; %bb.18:                               ;   in Loop: Header=BB145_4 Depth=1
	ds_load_2addr_b32 v[8:9], v13 offset1:32
	ds_load_b128 v[20:23], v14
	ds_load_2addr_b32 v[28:29], v13 offset0:64 offset1:96
	ds_load_b128 v[24:27], v14 offset:16
	ds_load_2addr_b32 v[30:31], v13 offset0:128 offset1:160
	v_add_co_u32 v6, vcc_lo, v6, s12
	s_wait_alu 0xfffd
	v_add_co_ci_u32_e64 v7, null, s13, v7, vcc_lo
	s_delay_alu instid0(VALU_DEP_2) | instskip(SKIP_1) | instid1(VALU_DEP_2)
	v_add_co_u32 v6, vcc_lo, v6, s14
	s_wait_alu 0xfffd
	v_add_co_ci_u32_e64 v7, null, s15, v7, vcc_lo
	s_delay_alu instid0(VALU_DEP_2) | instskip(SKIP_1) | instid1(VALU_DEP_2)
	v_add_co_u32 v6, vcc_lo, v6, v4
	s_wait_alu 0xfffd
	v_add_co_ci_u32_e64 v7, null, v7, v5, vcc_lo
	s_delay_alu instid0(VALU_DEP_2) | instskip(SKIP_4) | instid1(VALU_DEP_2)
	v_add_co_u32 v6, vcc_lo, v6, v16
	s_wait_dscnt 0x3
	v_fma_f32 v32, v8, v20, 0
	s_wait_alu 0xfffd
	v_add_co_ci_u32_e64 v7, null, 0, v7, vcc_lo
	v_fmac_f32_e32 v32, v9, v21
	ds_load_2addr_b32 v[8:9], v13 offset0:192 offset1:224
	s_wait_dscnt 0x3
	v_fmac_f32_e32 v32, v28, v22
	s_delay_alu instid0(VALU_DEP_1) | instskip(SKIP_4) | instid1(VALU_DEP_1)
	v_fmac_f32_e32 v32, v29, v23
	ds_load_b128 v[20:23], v14 offset:32
	ds_load_2addr_b32 v[28:29], v17 offset1:32
	s_wait_dscnt 0x3
	v_fmac_f32_e32 v32, v30, v24
	v_fmac_f32_e32 v32, v31, v25
	ds_load_2addr_b32 v[30:31], v17 offset0:64 offset1:96
	s_wait_dscnt 0x3
	v_fmac_f32_e32 v32, v8, v26
	s_delay_alu instid0(VALU_DEP_1) | instskip(SKIP_4) | instid1(VALU_DEP_1)
	v_fmac_f32_e32 v32, v9, v27
	ds_load_b128 v[24:27], v14 offset:48
	ds_load_2addr_b32 v[8:9], v17 offset0:128 offset1:160
	s_wait_dscnt 0x3
	v_fmac_f32_e32 v32, v28, v20
	v_fmac_f32_e32 v32, v29, v21
	ds_load_2addr_b32 v[28:29], v17 offset0:192 offset1:224
	s_wait_dscnt 0x3
	v_fmac_f32_e32 v32, v30, v22
	s_delay_alu instid0(VALU_DEP_1) | instskip(SKIP_4) | instid1(VALU_DEP_1)
	v_fmac_f32_e32 v32, v31, v23
	ds_load_2addr_b32 v[30:31], v18 offset1:32
	ds_load_b128 v[20:23], v14 offset:64
	s_wait_dscnt 0x3
	v_fmac_f32_e32 v32, v8, v24
	v_fmac_f32_e32 v32, v9, v25
	ds_load_2addr_b32 v[8:9], v18 offset0:64 offset1:96
	s_wait_dscnt 0x3
	v_fmac_f32_e32 v32, v28, v26
	s_delay_alu instid0(VALU_DEP_1) | instskip(SKIP_4) | instid1(VALU_DEP_1)
	v_fmac_f32_e32 v32, v29, v27
	ds_load_2addr_b32 v[28:29], v18 offset0:128 offset1:160
	ds_load_b128 v[24:27], v14 offset:80
	s_wait_dscnt 0x3
	v_fmac_f32_e32 v32, v30, v20
	v_fmac_f32_e32 v32, v31, v21
	ds_load_2addr_b32 v[30:31], v18 offset0:192 offset1:224
	s_wait_dscnt 0x3
	v_fmac_f32_e32 v32, v8, v22
	s_delay_alu instid0(VALU_DEP_1) | instskip(SKIP_4) | instid1(VALU_DEP_1)
	v_fmac_f32_e32 v32, v9, v23
	ds_load_2addr_b32 v[8:9], v19 offset1:32
	ds_load_b128 v[20:23], v14 offset:96
	s_wait_dscnt 0x3
	v_fmac_f32_e32 v32, v28, v24
	v_fmac_f32_e32 v32, v29, v25
	ds_load_2addr_b32 v[28:29], v19 offset0:64 offset1:96
	s_wait_dscnt 0x3
	v_fmac_f32_e32 v32, v30, v26
	s_delay_alu instid0(VALU_DEP_1) | instskip(SKIP_4) | instid1(VALU_DEP_1)
	v_fmac_f32_e32 v32, v31, v27
	ds_load_2addr_b32 v[30:31], v19 offset0:128 offset1:160
	ds_load_b128 v[24:27], v14 offset:112
	s_wait_dscnt 0x3
	v_fmac_f32_e32 v32, v8, v20
	v_fmac_f32_e32 v32, v9, v21
	ds_load_2addr_b32 v[8:9], v19 offset0:192 offset1:224
	s_wait_dscnt 0x3
	v_fmac_f32_e32 v32, v28, v22
	s_delay_alu instid0(VALU_DEP_1) | instskip(SKIP_1) | instid1(VALU_DEP_1)
	v_fmac_f32_e32 v32, v29, v23
	s_wait_dscnt 0x1
	v_fmac_f32_e32 v32, v30, v24
	s_delay_alu instid0(VALU_DEP_1) | instskip(SKIP_1) | instid1(VALU_DEP_1)
	v_fmac_f32_e32 v32, v31, v25
	s_wait_dscnt 0x0
	v_fmac_f32_e32 v32, v8, v26
	s_delay_alu instid0(VALU_DEP_1) | instskip(NEXT) | instid1(VALU_DEP_1)
	v_fmac_f32_e32 v32, v9, v27
	v_mul_f32_e32 v8, s27, v32
	flat_store_b32 v[6:7], v8
	s_branch .LBB145_2
.LBB145_19:
	s_endpgm
	.section	.rodata,"a",@progbits
	.p2align	6, 0x0
	.amdhsa_kernel _ZL23rocblas_trmm_lNx_kernelILi32EffKPKfKPfEv13rocblas_fill_17rocblas_diagonal_iiT1_lPT2_llS9_llPT3_lli
		.amdhsa_group_segment_fixed_size 8192
		.amdhsa_private_segment_fixed_size 0
		.amdhsa_kernarg_size 108
		.amdhsa_user_sgpr_count 2
		.amdhsa_user_sgpr_dispatch_ptr 0
		.amdhsa_user_sgpr_queue_ptr 0
		.amdhsa_user_sgpr_kernarg_segment_ptr 1
		.amdhsa_user_sgpr_dispatch_id 0
		.amdhsa_user_sgpr_private_segment_size 0
		.amdhsa_wavefront_size32 1
		.amdhsa_uses_dynamic_stack 0
		.amdhsa_enable_private_segment 0
		.amdhsa_system_sgpr_workgroup_id_x 1
		.amdhsa_system_sgpr_workgroup_id_y 0
		.amdhsa_system_sgpr_workgroup_id_z 1
		.amdhsa_system_sgpr_workgroup_info 0
		.amdhsa_system_vgpr_workitem_id 1
		.amdhsa_next_free_vgpr 33
		.amdhsa_next_free_sgpr 36
		.amdhsa_reserve_vcc 1
		.amdhsa_float_round_mode_32 0
		.amdhsa_float_round_mode_16_64 0
		.amdhsa_float_denorm_mode_32 3
		.amdhsa_float_denorm_mode_16_64 3
		.amdhsa_fp16_overflow 0
		.amdhsa_workgroup_processor_mode 1
		.amdhsa_memory_ordered 1
		.amdhsa_forward_progress 1
		.amdhsa_inst_pref_size 12
		.amdhsa_round_robin_scheduling 0
		.amdhsa_exception_fp_ieee_invalid_op 0
		.amdhsa_exception_fp_denorm_src 0
		.amdhsa_exception_fp_ieee_div_zero 0
		.amdhsa_exception_fp_ieee_overflow 0
		.amdhsa_exception_fp_ieee_underflow 0
		.amdhsa_exception_fp_ieee_inexact 0
		.amdhsa_exception_int_div_zero 0
	.end_amdhsa_kernel
	.section	.text._ZL23rocblas_trmm_lNx_kernelILi32EffKPKfKPfEv13rocblas_fill_17rocblas_diagonal_iiT1_lPT2_llS9_llPT3_lli,"axG",@progbits,_ZL23rocblas_trmm_lNx_kernelILi32EffKPKfKPfEv13rocblas_fill_17rocblas_diagonal_iiT1_lPT2_llS9_llPT3_lli,comdat
.Lfunc_end145:
	.size	_ZL23rocblas_trmm_lNx_kernelILi32EffKPKfKPfEv13rocblas_fill_17rocblas_diagonal_iiT1_lPT2_llS9_llPT3_lli, .Lfunc_end145-_ZL23rocblas_trmm_lNx_kernelILi32EffKPKfKPfEv13rocblas_fill_17rocblas_diagonal_iiT1_lPT2_llS9_llPT3_lli
                                        ; -- End function
	.set _ZL23rocblas_trmm_lNx_kernelILi32EffKPKfKPfEv13rocblas_fill_17rocblas_diagonal_iiT1_lPT2_llS9_llPT3_lli.num_vgpr, 33
	.set _ZL23rocblas_trmm_lNx_kernelILi32EffKPKfKPfEv13rocblas_fill_17rocblas_diagonal_iiT1_lPT2_llS9_llPT3_lli.num_agpr, 0
	.set _ZL23rocblas_trmm_lNx_kernelILi32EffKPKfKPfEv13rocblas_fill_17rocblas_diagonal_iiT1_lPT2_llS9_llPT3_lli.numbered_sgpr, 36
	.set _ZL23rocblas_trmm_lNx_kernelILi32EffKPKfKPfEv13rocblas_fill_17rocblas_diagonal_iiT1_lPT2_llS9_llPT3_lli.num_named_barrier, 0
	.set _ZL23rocblas_trmm_lNx_kernelILi32EffKPKfKPfEv13rocblas_fill_17rocblas_diagonal_iiT1_lPT2_llS9_llPT3_lli.private_seg_size, 0
	.set _ZL23rocblas_trmm_lNx_kernelILi32EffKPKfKPfEv13rocblas_fill_17rocblas_diagonal_iiT1_lPT2_llS9_llPT3_lli.uses_vcc, 1
	.set _ZL23rocblas_trmm_lNx_kernelILi32EffKPKfKPfEv13rocblas_fill_17rocblas_diagonal_iiT1_lPT2_llS9_llPT3_lli.uses_flat_scratch, 0
	.set _ZL23rocblas_trmm_lNx_kernelILi32EffKPKfKPfEv13rocblas_fill_17rocblas_diagonal_iiT1_lPT2_llS9_llPT3_lli.has_dyn_sized_stack, 0
	.set _ZL23rocblas_trmm_lNx_kernelILi32EffKPKfKPfEv13rocblas_fill_17rocblas_diagonal_iiT1_lPT2_llS9_llPT3_lli.has_recursion, 0
	.set _ZL23rocblas_trmm_lNx_kernelILi32EffKPKfKPfEv13rocblas_fill_17rocblas_diagonal_iiT1_lPT2_llS9_llPT3_lli.has_indirect_call, 0
	.section	.AMDGPU.csdata,"",@progbits
; Kernel info:
; codeLenInByte = 1496
; TotalNumSgprs: 38
; NumVgprs: 33
; ScratchSize: 0
; MemoryBound: 0
; FloatMode: 240
; IeeeMode: 1
; LDSByteSize: 8192 bytes/workgroup (compile time only)
; SGPRBlocks: 0
; VGPRBlocks: 4
; NumSGPRsForWavesPerEU: 38
; NumVGPRsForWavesPerEU: 33
; Occupancy: 16
; WaveLimiterHint : 1
; COMPUTE_PGM_RSRC2:SCRATCH_EN: 0
; COMPUTE_PGM_RSRC2:USER_SGPR: 2
; COMPUTE_PGM_RSRC2:TRAP_HANDLER: 0
; COMPUTE_PGM_RSRC2:TGID_X_EN: 1
; COMPUTE_PGM_RSRC2:TGID_Y_EN: 0
; COMPUTE_PGM_RSRC2:TGID_Z_EN: 1
; COMPUTE_PGM_RSRC2:TIDIG_COMP_CNT: 1
	.section	.text._ZL23rocblas_trmm_lTx_kernelILi32ELb0EfPKfKS1_KPfEv13rocblas_fill_17rocblas_diagonal_iiT2_lPT3_llS9_llPT4_lli,"axG",@progbits,_ZL23rocblas_trmm_lTx_kernelILi32ELb0EfPKfKS1_KPfEv13rocblas_fill_17rocblas_diagonal_iiT2_lPT3_llS9_llPT4_lli,comdat
	.globl	_ZL23rocblas_trmm_lTx_kernelILi32ELb0EfPKfKS1_KPfEv13rocblas_fill_17rocblas_diagonal_iiT2_lPT3_llS9_llPT4_lli ; -- Begin function _ZL23rocblas_trmm_lTx_kernelILi32ELb0EfPKfKS1_KPfEv13rocblas_fill_17rocblas_diagonal_iiT2_lPT3_llS9_llPT4_lli
	.p2align	8
	.type	_ZL23rocblas_trmm_lTx_kernelILi32ELb0EfPKfKS1_KPfEv13rocblas_fill_17rocblas_diagonal_iiT2_lPT3_llS9_llPT4_lli,@function
_ZL23rocblas_trmm_lTx_kernelILi32ELb0EfPKfKS1_KPfEv13rocblas_fill_17rocblas_diagonal_iiT2_lPT3_llS9_llPT4_lli: ; @_ZL23rocblas_trmm_lTx_kernelILi32ELb0EfPKfKS1_KPfEv13rocblas_fill_17rocblas_diagonal_iiT2_lPT3_llS9_llPT4_lli
; %bb.0:
	s_load_b32 s28, s[0:1], 0x68
	s_lshr_b32 s2, ttmp7, 16
	s_wait_kmcnt 0x0
	s_cmp_ge_u32 s2, s28
	s_cbranch_scc1 .LBB146_19
; %bb.1:
	s_clause 0x3
	s_load_b128 s[24:27], s[0:1], 0x0
	s_load_b512 s[4:19], s[0:1], 0x10
	s_load_b128 s[20:23], s[0:1], 0x50
	s_load_b64 s[30:31], s[0:1], 0x60
	v_bfe_u32 v9, v0, 10, 10
	v_dual_mov_b32 v13, 0 :: v_dual_and_b32 v10, 0x3ff, v0
	s_delay_alu instid0(VALU_DEP_2) | instskip(SKIP_1) | instid1(VALU_DEP_3)
	v_dual_mov_b32 v18, 1.0 :: v_dual_lshlrev_b32 v11, 2, v9
	v_lshlrev_b32_e32 v0, 5, v9
	v_lshlrev_b32_e32 v15, 2, v10
	v_lshl_add_u32 v16, v9, 7, 0x1000
	v_lshlrev_b32_e32 v19, 2, v10
	s_delay_alu instid0(VALU_DEP_4) | instskip(NEXT) | instid1(VALU_DEP_4)
	v_add_lshl_u32 v12, v0, v10, 2
	v_add_nc_u32_e32 v20, 0x400, v15
	v_add_nc_u32_e32 v21, 0x800, v15
	;; [unrolled: 1-line block ×3, first 2 shown]
	s_wait_kmcnt 0x0
	s_add_co_i32 s1, s27, -1
	v_mad_co_u64_u32 v[0:1], null, s10, v9, 0
	v_mad_co_u64_u32 v[2:3], null, s16, v9, 0
	s_ashr_i32 s3, s1, 31
	v_mad_co_u64_u32 v[4:5], null, s22, v9, 0
	s_lshr_b32 s3, s3, 27
	v_cmp_gt_i32_e32 vcc_lo, s26, v9
	s_add_co_i32 s1, s1, s3
	v_mad_co_u64_u32 v[6:7], null, s11, v9, v[1:2]
	s_ashr_i32 s3, s1, 5
	s_and_not1_b32 s1, s1, 31
	v_cmp_gt_i32_e64 s0, s26, v10
	s_sub_co_i32 s1, s27, s1
	v_add_nc_u32_e32 v14, 0x1000, v12
	s_cmp_ge_i32 ttmp9, s3
	v_mad_co_u64_u32 v[7:8], null, s17, v9, v[3:4]
	v_mov_b32_e32 v3, v5
	s_cselect_b32 s1, s1, 32
	s_and_b32 s26, vcc_lo, s0
	v_cmp_gt_i32_e32 vcc_lo, s1, v9
	v_mov_b32_e32 v1, v6
	v_mad_co_u64_u32 v[5:6], null, s23, v9, v[3:4]
	s_lshl_b32 s10, ttmp9, 5
	v_dual_mov_b32 v3, v7 :: v_dual_lshlrev_b32 v8, 7, v10
	s_wait_alu 0xfffe
	s_ashr_i32 s11, s10, 31
	s_and_b32 s27, s0, vcc_lo
	v_cmp_eq_u32_e32 vcc_lo, v9, v10
	s_cmp_eq_u32 s25, 0x84
	v_lshlrev_b64_e32 v[0:1], 2, v[0:1]
	s_cselect_b32 s0, -1, 0
	v_lshlrev_b64_e32 v[2:3], 2, v[2:3]
	v_lshlrev_b64_e32 v[4:5], 2, v[4:5]
	s_wait_alu 0xfffe
	s_and_b32 s25, vcc_lo, s0
	v_cmp_lt_u32_e64 s0, v10, v9
	v_cmp_gt_u32_e64 s1, v10, v9
	v_add_nc_u32_e32 v17, v11, v8
	s_mul_u64 s[16:17], s[16:17], s[10:11]
	s_mul_u64 s[34:35], s[22:23], s[10:11]
	s_cmp_lg_u32 s24, 0x7a
	s_mov_b32 s3, 0
	s_cselect_b32 s24, -1, 0
	s_lshl_b64 s[10:11], s[12:13], 2
	s_lshl_b64 s[12:13], s[18:19], 2
	s_wait_alu 0xfffe
	s_lshl_b64 s[16:17], s[16:17], 2
	s_lshl_b64 s[18:19], s[30:31], 2
	;; [unrolled: 1-line block ×3, first 2 shown]
	s_branch .LBB146_4
.LBB146_2:                              ;   in Loop: Header=BB146_4 Depth=1
	s_or_b32 exec_lo, exec_lo, s29
.LBB146_3:                              ;   in Loop: Header=BB146_4 Depth=1
	s_add_co_i32 s2, s2, 0x10000
	s_delay_alu instid0(SALU_CYCLE_1)
	s_cmp_lt_u32 s2, s28
	s_cbranch_scc0 .LBB146_19
.LBB146_4:                              ; =>This Inner Loop Header: Depth=1
	s_mul_u64 s[30:31], s[6:7], s[2:3]
	s_delay_alu instid0(SALU_CYCLE_1) | instskip(NEXT) | instid1(SALU_CYCLE_1)
	s_lshl_b64 s[30:31], s[30:31], 2
	s_add_nc_u64 s[30:31], s[4:5], s[30:31]
	global_load_b32 v23, v13, s[30:31]
	s_wait_loadcnt 0x0
	v_cmp_eq_f32_e32 vcc_lo, 0, v23
	s_cbranch_vccnz .LBB146_3
; %bb.5:                                ;   in Loop: Header=BB146_4 Depth=1
	s_lshl_b64 s[30:31], s[2:3], 3
	s_delay_alu instid0(SALU_CYCLE_1)
	s_add_nc_u64 s[34:35], s[8:9], s[30:31]
	s_add_nc_u64 s[36:37], s[14:15], s[30:31]
	;; [unrolled: 1-line block ×3, first 2 shown]
	s_clause 0x2
	global_load_b64 v[10:11], v13, s[34:35]
	global_load_b64 v[8:9], v13, s[36:37]
	;; [unrolled: 1-line block ×3, first 2 shown]
	ds_store_b32 v12, v13
	ds_store_b32 v14, v13
	s_wait_loadcnt_dscnt 0x0
	s_barrier_signal -1
	s_barrier_wait -1
	global_inv scope:SCOPE_SE
	s_and_saveexec_b32 s29, s26
	s_cbranch_execnz .LBB146_11
; %bb.6:                                ;   in Loop: Header=BB146_4 Depth=1
	s_or_b32 exec_lo, exec_lo, s29
	s_and_saveexec_b32 s29, s27
	s_cbranch_execnz .LBB146_12
.LBB146_7:                              ;   in Loop: Header=BB146_4 Depth=1
	s_or_b32 exec_lo, exec_lo, s29
	s_and_saveexec_b32 s29, s25
.LBB146_8:                              ;   in Loop: Header=BB146_4 Depth=1
	ds_store_b32 v12, v18
.LBB146_9:                              ;   in Loop: Header=BB146_4 Depth=1
	s_or_b32 exec_lo, exec_lo, s29
	s_delay_alu instid0(SALU_CYCLE_1)
	s_and_b32 vcc_lo, exec_lo, s24
	s_wait_loadcnt_dscnt 0x0
	s_barrier_signal -1
	s_barrier_wait -1
	global_inv scope:SCOPE_SE
	s_wait_alu 0xfffe
	s_cbranch_vccz .LBB146_13
; %bb.10:                               ;   in Loop: Header=BB146_4 Depth=1
	s_and_b32 s29, s0, exec_lo
	s_cbranch_execz .LBB146_14
	s_branch .LBB146_15
.LBB146_11:                             ;   in Loop: Header=BB146_4 Depth=1
	v_add_co_u32 v10, vcc_lo, v10, s10
	s_wait_alu 0xfffd
	v_add_co_ci_u32_e64 v11, null, s11, v11, vcc_lo
	s_delay_alu instid0(VALU_DEP_2) | instskip(SKIP_1) | instid1(VALU_DEP_2)
	v_add_co_u32 v10, vcc_lo, v10, v0
	s_wait_alu 0xfffd
	v_add_co_ci_u32_e64 v11, null, v11, v1, vcc_lo
	s_delay_alu instid0(VALU_DEP_2) | instskip(SKIP_1) | instid1(VALU_DEP_2)
	v_add_co_u32 v10, vcc_lo, v10, v19
	s_wait_alu 0xfffd
	v_add_co_ci_u32_e64 v11, null, 0, v11, vcc_lo
	flat_load_b32 v10, v[10:11]
	s_wait_loadcnt_dscnt 0x0
	ds_store_b32 v17, v10
	s_or_b32 exec_lo, exec_lo, s29
	s_and_saveexec_b32 s29, s27
	s_cbranch_execz .LBB146_7
.LBB146_12:                             ;   in Loop: Header=BB146_4 Depth=1
	v_add_co_u32 v8, vcc_lo, v8, s12
	s_wait_alu 0xfffd
	v_add_co_ci_u32_e64 v9, null, s13, v9, vcc_lo
	s_wait_alu 0xfffe
	s_delay_alu instid0(VALU_DEP_2) | instskip(SKIP_1) | instid1(VALU_DEP_2)
	v_add_co_u32 v8, vcc_lo, v8, s16
	s_wait_alu 0xfffd
	v_add_co_ci_u32_e64 v9, null, s17, v9, vcc_lo
	s_delay_alu instid0(VALU_DEP_2) | instskip(SKIP_1) | instid1(VALU_DEP_2)
	v_add_co_u32 v8, vcc_lo, v8, v2
	s_wait_alu 0xfffd
	v_add_co_ci_u32_e64 v9, null, v9, v3, vcc_lo
	;; [unrolled: 4-line block ×3, first 2 shown]
	flat_load_b32 v8, v[8:9]
	s_wait_loadcnt_dscnt 0x0
	ds_store_b32 v14, v8
	s_or_b32 exec_lo, exec_lo, s29
	s_and_saveexec_b32 s29, s25
	s_cbranch_execnz .LBB146_8
	s_branch .LBB146_9
.LBB146_13:                             ;   in Loop: Header=BB146_4 Depth=1
	s_mov_b32 s29, 0
.LBB146_14:                             ;   in Loop: Header=BB146_4 Depth=1
	s_delay_alu instid0(SALU_CYCLE_1) | instskip(SKIP_1) | instid1(SALU_CYCLE_1)
	s_and_not1_b32 s29, s29, exec_lo
	s_and_b32 s30, s1, exec_lo
	s_or_b32 s29, s29, s30
.LBB146_15:                             ;   in Loop: Header=BB146_4 Depth=1
	s_delay_alu instid0(SALU_CYCLE_1)
	s_and_saveexec_b32 s30, s29
; %bb.16:                               ;   in Loop: Header=BB146_4 Depth=1
	ds_store_b32 v12, v13
; %bb.17:                               ;   in Loop: Header=BB146_4 Depth=1
	s_or_b32 exec_lo, exec_lo, s30
	s_wait_loadcnt_dscnt 0x0
	s_barrier_signal -1
	s_barrier_wait -1
	global_inv scope:SCOPE_SE
	s_and_saveexec_b32 s29, s27
	s_cbranch_execz .LBB146_2
; %bb.18:                               ;   in Loop: Header=BB146_4 Depth=1
	ds_load_2addr_b32 v[28:29], v15 offset1:32
	ds_load_b128 v[8:11], v16
	ds_load_2addr_b32 v[30:31], v15 offset0:64 offset1:96
	ds_load_b128 v[24:27], v16 offset:16
	ds_load_2addr_b32 v[32:33], v15 offset0:128 offset1:160
	v_add_co_u32 v6, vcc_lo, v6, s18
	s_wait_alu 0xfffd
	v_add_co_ci_u32_e64 v7, null, s19, v7, vcc_lo
	s_wait_alu 0xfffe
	s_delay_alu instid0(VALU_DEP_2) | instskip(SKIP_1) | instid1(VALU_DEP_2)
	v_add_co_u32 v6, vcc_lo, v6, s22
	s_wait_alu 0xfffd
	v_add_co_ci_u32_e64 v7, null, s23, v7, vcc_lo
	s_delay_alu instid0(VALU_DEP_2) | instskip(SKIP_1) | instid1(VALU_DEP_2)
	v_add_co_u32 v6, vcc_lo, v6, v4
	s_wait_alu 0xfffd
	v_add_co_ci_u32_e64 v7, null, v7, v5, vcc_lo
	s_delay_alu instid0(VALU_DEP_2) | instskip(SKIP_4) | instid1(VALU_DEP_2)
	v_add_co_u32 v6, vcc_lo, v6, v19
	s_wait_dscnt 0x3
	v_fma_f32 v34, v28, v8, 0
	s_wait_alu 0xfffd
	v_add_co_ci_u32_e64 v7, null, 0, v7, vcc_lo
	v_fmac_f32_e32 v34, v29, v9
	ds_load_2addr_b32 v[28:29], v15 offset0:192 offset1:224
	s_wait_dscnt 0x3
	v_fmac_f32_e32 v34, v30, v10
	s_delay_alu instid0(VALU_DEP_1) | instskip(SKIP_4) | instid1(VALU_DEP_1)
	v_fmac_f32_e32 v34, v31, v11
	ds_load_b128 v[8:11], v16 offset:32
	ds_load_2addr_b32 v[30:31], v20 offset1:32
	s_wait_dscnt 0x3
	v_fmac_f32_e32 v34, v32, v24
	v_fmac_f32_e32 v34, v33, v25
	ds_load_2addr_b32 v[32:33], v20 offset0:64 offset1:96
	s_wait_dscnt 0x3
	v_fmac_f32_e32 v34, v28, v26
	s_delay_alu instid0(VALU_DEP_1) | instskip(SKIP_4) | instid1(VALU_DEP_1)
	v_fmac_f32_e32 v34, v29, v27
	ds_load_b128 v[24:27], v16 offset:48
	ds_load_2addr_b32 v[28:29], v20 offset0:128 offset1:160
	s_wait_dscnt 0x3
	v_fmac_f32_e32 v34, v30, v8
	v_fmac_f32_e32 v34, v31, v9
	ds_load_2addr_b32 v[30:31], v20 offset0:192 offset1:224
	s_wait_dscnt 0x3
	v_fmac_f32_e32 v34, v32, v10
	s_delay_alu instid0(VALU_DEP_1) | instskip(SKIP_4) | instid1(VALU_DEP_1)
	v_fmac_f32_e32 v34, v33, v11
	ds_load_2addr_b32 v[32:33], v21 offset1:32
	ds_load_b128 v[8:11], v16 offset:64
	s_wait_dscnt 0x3
	v_fmac_f32_e32 v34, v28, v24
	v_fmac_f32_e32 v34, v29, v25
	ds_load_2addr_b32 v[28:29], v21 offset0:64 offset1:96
	s_wait_dscnt 0x3
	v_fmac_f32_e32 v34, v30, v26
	s_delay_alu instid0(VALU_DEP_1) | instskip(SKIP_4) | instid1(VALU_DEP_1)
	v_fmac_f32_e32 v34, v31, v27
	ds_load_2addr_b32 v[30:31], v21 offset0:128 offset1:160
	ds_load_b128 v[24:27], v16 offset:80
	s_wait_dscnt 0x3
	v_fmac_f32_e32 v34, v32, v8
	v_fmac_f32_e32 v34, v33, v9
	ds_load_2addr_b32 v[32:33], v21 offset0:192 offset1:224
	s_wait_dscnt 0x3
	v_fmac_f32_e32 v34, v28, v10
	s_delay_alu instid0(VALU_DEP_1) | instskip(SKIP_4) | instid1(VALU_DEP_1)
	v_fmac_f32_e32 v34, v29, v11
	ds_load_2addr_b32 v[28:29], v22 offset1:32
	ds_load_b128 v[8:11], v16 offset:96
	s_wait_dscnt 0x3
	v_fmac_f32_e32 v34, v30, v24
	v_fmac_f32_e32 v34, v31, v25
	ds_load_2addr_b32 v[30:31], v22 offset0:64 offset1:96
	s_wait_dscnt 0x3
	v_fmac_f32_e32 v34, v32, v26
	s_delay_alu instid0(VALU_DEP_1) | instskip(SKIP_4) | instid1(VALU_DEP_1)
	v_fmac_f32_e32 v34, v33, v27
	ds_load_2addr_b32 v[32:33], v22 offset0:128 offset1:160
	ds_load_b128 v[24:27], v16 offset:112
	s_wait_dscnt 0x3
	v_fmac_f32_e32 v34, v28, v8
	v_fmac_f32_e32 v34, v29, v9
	ds_load_2addr_b32 v[8:9], v22 offset0:192 offset1:224
	s_wait_dscnt 0x3
	v_fmac_f32_e32 v34, v30, v10
	s_delay_alu instid0(VALU_DEP_1) | instskip(SKIP_1) | instid1(VALU_DEP_1)
	v_fmac_f32_e32 v34, v31, v11
	s_wait_dscnt 0x1
	v_fmac_f32_e32 v34, v32, v24
	s_delay_alu instid0(VALU_DEP_1) | instskip(SKIP_1) | instid1(VALU_DEP_1)
	v_fmac_f32_e32 v34, v33, v25
	s_wait_dscnt 0x0
	v_fmac_f32_e32 v34, v8, v26
	s_delay_alu instid0(VALU_DEP_1) | instskip(NEXT) | instid1(VALU_DEP_1)
	v_fmac_f32_e32 v34, v9, v27
	v_mul_f32_e32 v8, v23, v34
	flat_store_b32 v[6:7], v8
	s_branch .LBB146_2
.LBB146_19:
	s_endpgm
	.section	.rodata,"a",@progbits
	.p2align	6, 0x0
	.amdhsa_kernel _ZL23rocblas_trmm_lTx_kernelILi32ELb0EfPKfKS1_KPfEv13rocblas_fill_17rocblas_diagonal_iiT2_lPT3_llS9_llPT4_lli
		.amdhsa_group_segment_fixed_size 8192
		.amdhsa_private_segment_fixed_size 0
		.amdhsa_kernarg_size 108
		.amdhsa_user_sgpr_count 2
		.amdhsa_user_sgpr_dispatch_ptr 0
		.amdhsa_user_sgpr_queue_ptr 0
		.amdhsa_user_sgpr_kernarg_segment_ptr 1
		.amdhsa_user_sgpr_dispatch_id 0
		.amdhsa_user_sgpr_private_segment_size 0
		.amdhsa_wavefront_size32 1
		.amdhsa_uses_dynamic_stack 0
		.amdhsa_enable_private_segment 0
		.amdhsa_system_sgpr_workgroup_id_x 1
		.amdhsa_system_sgpr_workgroup_id_y 0
		.amdhsa_system_sgpr_workgroup_id_z 1
		.amdhsa_system_sgpr_workgroup_info 0
		.amdhsa_system_vgpr_workitem_id 1
		.amdhsa_next_free_vgpr 35
		.amdhsa_next_free_sgpr 38
		.amdhsa_reserve_vcc 1
		.amdhsa_float_round_mode_32 0
		.amdhsa_float_round_mode_16_64 0
		.amdhsa_float_denorm_mode_32 3
		.amdhsa_float_denorm_mode_16_64 3
		.amdhsa_fp16_overflow 0
		.amdhsa_workgroup_processor_mode 1
		.amdhsa_memory_ordered 1
		.amdhsa_forward_progress 1
		.amdhsa_inst_pref_size 12
		.amdhsa_round_robin_scheduling 0
		.amdhsa_exception_fp_ieee_invalid_op 0
		.amdhsa_exception_fp_denorm_src 0
		.amdhsa_exception_fp_ieee_div_zero 0
		.amdhsa_exception_fp_ieee_overflow 0
		.amdhsa_exception_fp_ieee_underflow 0
		.amdhsa_exception_fp_ieee_inexact 0
		.amdhsa_exception_int_div_zero 0
	.end_amdhsa_kernel
	.section	.text._ZL23rocblas_trmm_lTx_kernelILi32ELb0EfPKfKS1_KPfEv13rocblas_fill_17rocblas_diagonal_iiT2_lPT3_llS9_llPT4_lli,"axG",@progbits,_ZL23rocblas_trmm_lTx_kernelILi32ELb0EfPKfKS1_KPfEv13rocblas_fill_17rocblas_diagonal_iiT2_lPT3_llS9_llPT4_lli,comdat
.Lfunc_end146:
	.size	_ZL23rocblas_trmm_lTx_kernelILi32ELb0EfPKfKS1_KPfEv13rocblas_fill_17rocblas_diagonal_iiT2_lPT3_llS9_llPT4_lli, .Lfunc_end146-_ZL23rocblas_trmm_lTx_kernelILi32ELb0EfPKfKS1_KPfEv13rocblas_fill_17rocblas_diagonal_iiT2_lPT3_llS9_llPT4_lli
                                        ; -- End function
	.set _ZL23rocblas_trmm_lTx_kernelILi32ELb0EfPKfKS1_KPfEv13rocblas_fill_17rocblas_diagonal_iiT2_lPT3_llS9_llPT4_lli.num_vgpr, 35
	.set _ZL23rocblas_trmm_lTx_kernelILi32ELb0EfPKfKS1_KPfEv13rocblas_fill_17rocblas_diagonal_iiT2_lPT3_llS9_llPT4_lli.num_agpr, 0
	.set _ZL23rocblas_trmm_lTx_kernelILi32ELb0EfPKfKS1_KPfEv13rocblas_fill_17rocblas_diagonal_iiT2_lPT3_llS9_llPT4_lli.numbered_sgpr, 38
	.set _ZL23rocblas_trmm_lTx_kernelILi32ELb0EfPKfKS1_KPfEv13rocblas_fill_17rocblas_diagonal_iiT2_lPT3_llS9_llPT4_lli.num_named_barrier, 0
	.set _ZL23rocblas_trmm_lTx_kernelILi32ELb0EfPKfKS1_KPfEv13rocblas_fill_17rocblas_diagonal_iiT2_lPT3_llS9_llPT4_lli.private_seg_size, 0
	.set _ZL23rocblas_trmm_lTx_kernelILi32ELb0EfPKfKS1_KPfEv13rocblas_fill_17rocblas_diagonal_iiT2_lPT3_llS9_llPT4_lli.uses_vcc, 1
	.set _ZL23rocblas_trmm_lTx_kernelILi32ELb0EfPKfKS1_KPfEv13rocblas_fill_17rocblas_diagonal_iiT2_lPT3_llS9_llPT4_lli.uses_flat_scratch, 0
	.set _ZL23rocblas_trmm_lTx_kernelILi32ELb0EfPKfKS1_KPfEv13rocblas_fill_17rocblas_diagonal_iiT2_lPT3_llS9_llPT4_lli.has_dyn_sized_stack, 0
	.set _ZL23rocblas_trmm_lTx_kernelILi32ELb0EfPKfKS1_KPfEv13rocblas_fill_17rocblas_diagonal_iiT2_lPT3_llS9_llPT4_lli.has_recursion, 0
	.set _ZL23rocblas_trmm_lTx_kernelILi32ELb0EfPKfKS1_KPfEv13rocblas_fill_17rocblas_diagonal_iiT2_lPT3_llS9_llPT4_lli.has_indirect_call, 0
	.section	.AMDGPU.csdata,"",@progbits
; Kernel info:
; codeLenInByte = 1520
; TotalNumSgprs: 40
; NumVgprs: 35
; ScratchSize: 0
; MemoryBound: 0
; FloatMode: 240
; IeeeMode: 1
; LDSByteSize: 8192 bytes/workgroup (compile time only)
; SGPRBlocks: 0
; VGPRBlocks: 4
; NumSGPRsForWavesPerEU: 40
; NumVGPRsForWavesPerEU: 35
; Occupancy: 16
; WaveLimiterHint : 1
; COMPUTE_PGM_RSRC2:SCRATCH_EN: 0
; COMPUTE_PGM_RSRC2:USER_SGPR: 2
; COMPUTE_PGM_RSRC2:TRAP_HANDLER: 0
; COMPUTE_PGM_RSRC2:TGID_X_EN: 1
; COMPUTE_PGM_RSRC2:TGID_Y_EN: 0
; COMPUTE_PGM_RSRC2:TGID_Z_EN: 1
; COMPUTE_PGM_RSRC2:TIDIG_COMP_CNT: 1
	.section	.text._ZL23rocblas_trmm_lTx_kernelILi32ELb0EffKPKfKPfEv13rocblas_fill_17rocblas_diagonal_iiT2_lPT3_llS9_llPT4_lli,"axG",@progbits,_ZL23rocblas_trmm_lTx_kernelILi32ELb0EffKPKfKPfEv13rocblas_fill_17rocblas_diagonal_iiT2_lPT3_llS9_llPT4_lli,comdat
	.globl	_ZL23rocblas_trmm_lTx_kernelILi32ELb0EffKPKfKPfEv13rocblas_fill_17rocblas_diagonal_iiT2_lPT3_llS9_llPT4_lli ; -- Begin function _ZL23rocblas_trmm_lTx_kernelILi32ELb0EffKPKfKPfEv13rocblas_fill_17rocblas_diagonal_iiT2_lPT3_llS9_llPT4_lli
	.p2align	8
	.type	_ZL23rocblas_trmm_lTx_kernelILi32ELb0EffKPKfKPfEv13rocblas_fill_17rocblas_diagonal_iiT2_lPT3_llS9_llPT4_lli,@function
_ZL23rocblas_trmm_lTx_kernelILi32ELb0EffKPKfKPfEv13rocblas_fill_17rocblas_diagonal_iiT2_lPT3_llS9_llPT4_lli: ; @_ZL23rocblas_trmm_lTx_kernelILi32ELb0EffKPKfKPfEv13rocblas_fill_17rocblas_diagonal_iiT2_lPT3_llS9_llPT4_lli
; %bb.0:
	s_load_b32 s24, s[0:1], 0x68
	s_lshr_b32 s2, ttmp7, 16
	s_wait_kmcnt 0x0
	s_cmp_ge_u32 s2, s24
	s_cbranch_scc1 .LBB147_19
; %bb.1:
	s_clause 0x2
	s_load_b32 s25, s[0:1], 0x10
	s_load_b128 s[20:23], s[0:1], 0x0
	s_load_b512 s[4:19], s[0:1], 0x20
	v_bfe_u32 v9, v0, 10, 10
	v_dual_mov_b32 v13, 0 :: v_dual_and_b32 v10, 0x3ff, v0
	s_load_b64 s[28:29], s[0:1], 0x60
	s_delay_alu instid0(VALU_DEP_2) | instskip(SKIP_1) | instid1(VALU_DEP_3)
	v_dual_mov_b32 v18, 1.0 :: v_dual_lshlrev_b32 v11, 2, v9
	v_lshlrev_b32_e32 v0, 5, v9
	v_lshlrev_b32_e32 v15, 2, v10
	v_lshl_add_u32 v16, v9, 7, 0x1000
	v_lshlrev_b32_e32 v19, 2, v10
	s_mov_b32 s3, 0
	v_add_lshl_u32 v12, v0, v10, 2
	v_add_nc_u32_e32 v20, 0x400, v15
	v_add_nc_u32_e32 v21, 0x800, v15
	;; [unrolled: 1-line block ×3, first 2 shown]
	s_wait_kmcnt 0x0
	s_cmp_neq_f32 s25, 0
	v_cmp_gt_i32_e32 vcc_lo, s22, v9
	v_mad_co_u64_u32 v[0:1], null, s6, v9, 0
	v_mad_co_u64_u32 v[2:3], null, s12, v9, 0
	s_cselect_b32 s26, -1, 0
	s_add_co_i32 s1, s23, -1
	v_mad_co_u64_u32 v[4:5], null, s18, v9, 0
	s_ashr_i32 s6, s1, 31
	v_add_nc_u32_e32 v14, 0x1000, v12
	s_wait_alu 0xfffe
	s_lshr_b32 s6, s6, 27
	v_mad_co_u64_u32 v[6:7], null, s7, v9, v[1:2]
	s_wait_alu 0xfffe
	s_add_co_i32 s1, s1, s6
	v_mad_co_u64_u32 v[7:8], null, s13, v9, v[3:4]
	s_and_b32 s6, s1, 0xffffffe0
	s_ashr_i32 s1, s1, 5
	s_wait_alu 0xfffe
	s_sub_co_i32 s6, s23, s6
	s_cmp_ge_i32 ttmp9, s1
	v_mov_b32_e32 v3, v5
	s_wait_alu 0xfffe
	s_cselect_b32 s1, s6, 32
	v_cmp_gt_i32_e64 s0, s22, v10
	v_cmp_gt_i32_e64 s1, s1, v9
	v_mov_b32_e32 v1, v6
	v_mad_co_u64_u32 v[5:6], null, s19, v9, v[3:4]
	s_lshl_b32 s6, ttmp9, 5
	v_dual_mov_b32 v3, v7 :: v_dual_lshlrev_b32 v8, 7, v10
	s_wait_alu 0xfffe
	s_ashr_i32 s7, s6, 31
	s_and_b32 s22, vcc_lo, s0
	s_and_b32 s23, s0, s1
	v_cmp_eq_u32_e32 vcc_lo, v9, v10
	s_cmp_eq_u32 s21, 0x84
	v_lshlrev_b64_e32 v[0:1], 2, v[0:1]
	s_cselect_b32 s0, -1, 0
	v_lshlrev_b64_e32 v[2:3], 2, v[2:3]
	v_lshlrev_b64_e32 v[4:5], 2, v[4:5]
	s_wait_alu 0xfffe
	s_and_b32 s21, vcc_lo, s0
	v_cmp_lt_u32_e64 s0, v10, v9
	v_cmp_gt_u32_e64 s1, v10, v9
	v_add_nc_u32_e32 v17, v11, v8
	s_mul_u64 s[12:13], s[12:13], s[6:7]
	s_mul_u64 s[30:31], s[18:19], s[6:7]
	s_cmp_lg_u32 s20, 0x7a
	s_cselect_b32 s20, -1, 0
	s_lshl_b64 s[6:7], s[8:9], 2
	s_lshl_b64 s[8:9], s[14:15], 2
	s_wait_alu 0xfffe
	s_lshl_b64 s[12:13], s[12:13], 2
	s_lshl_b64 s[14:15], s[28:29], 2
	;; [unrolled: 1-line block ×3, first 2 shown]
	s_branch .LBB147_4
.LBB147_2:                              ;   in Loop: Header=BB147_4 Depth=1
	s_or_b32 exec_lo, exec_lo, s27
.LBB147_3:                              ;   in Loop: Header=BB147_4 Depth=1
	s_add_co_i32 s2, s2, 0x10000
	s_delay_alu instid0(SALU_CYCLE_1)
	s_cmp_lt_u32 s2, s24
	s_cbranch_scc0 .LBB147_19
.LBB147_4:                              ; =>This Inner Loop Header: Depth=1
	s_and_not1_b32 vcc_lo, exec_lo, s26
	s_wait_alu 0xfffe
	s_cbranch_vccnz .LBB147_3
; %bb.5:                                ;   in Loop: Header=BB147_4 Depth=1
	s_lshl_b64 s[28:29], s[2:3], 3
	s_delay_alu instid0(SALU_CYCLE_1)
	s_add_nc_u64 s[30:31], s[4:5], s[28:29]
	s_add_nc_u64 s[34:35], s[10:11], s[28:29]
	;; [unrolled: 1-line block ×3, first 2 shown]
	s_clause 0x2
	global_load_b64 v[10:11], v13, s[30:31]
	global_load_b64 v[8:9], v13, s[34:35]
	;; [unrolled: 1-line block ×3, first 2 shown]
	ds_store_b32 v12, v13
	ds_store_b32 v14, v13
	s_wait_loadcnt_dscnt 0x0
	s_barrier_signal -1
	s_barrier_wait -1
	global_inv scope:SCOPE_SE
	s_and_saveexec_b32 s27, s22
	s_cbranch_execnz .LBB147_11
; %bb.6:                                ;   in Loop: Header=BB147_4 Depth=1
	s_or_b32 exec_lo, exec_lo, s27
	s_and_saveexec_b32 s27, s23
	s_cbranch_execnz .LBB147_12
.LBB147_7:                              ;   in Loop: Header=BB147_4 Depth=1
	s_or_b32 exec_lo, exec_lo, s27
	s_and_saveexec_b32 s27, s21
.LBB147_8:                              ;   in Loop: Header=BB147_4 Depth=1
	ds_store_b32 v12, v18
.LBB147_9:                              ;   in Loop: Header=BB147_4 Depth=1
	s_or_b32 exec_lo, exec_lo, s27
	s_delay_alu instid0(SALU_CYCLE_1)
	s_and_b32 vcc_lo, exec_lo, s20
	s_wait_loadcnt_dscnt 0x0
	s_barrier_signal -1
	s_barrier_wait -1
	global_inv scope:SCOPE_SE
	s_wait_alu 0xfffe
	s_cbranch_vccz .LBB147_13
; %bb.10:                               ;   in Loop: Header=BB147_4 Depth=1
	s_and_b32 s27, s0, exec_lo
	s_cbranch_execz .LBB147_14
	s_branch .LBB147_15
.LBB147_11:                             ;   in Loop: Header=BB147_4 Depth=1
	v_add_co_u32 v10, vcc_lo, v10, s6
	s_wait_alu 0xfffd
	v_add_co_ci_u32_e64 v11, null, s7, v11, vcc_lo
	s_delay_alu instid0(VALU_DEP_2) | instskip(SKIP_1) | instid1(VALU_DEP_2)
	v_add_co_u32 v10, vcc_lo, v10, v0
	s_wait_alu 0xfffd
	v_add_co_ci_u32_e64 v11, null, v11, v1, vcc_lo
	s_delay_alu instid0(VALU_DEP_2) | instskip(SKIP_1) | instid1(VALU_DEP_2)
	v_add_co_u32 v10, vcc_lo, v10, v19
	s_wait_alu 0xfffd
	v_add_co_ci_u32_e64 v11, null, 0, v11, vcc_lo
	flat_load_b32 v10, v[10:11]
	s_wait_loadcnt_dscnt 0x0
	ds_store_b32 v17, v10
	s_or_b32 exec_lo, exec_lo, s27
	s_and_saveexec_b32 s27, s23
	s_cbranch_execz .LBB147_7
.LBB147_12:                             ;   in Loop: Header=BB147_4 Depth=1
	v_add_co_u32 v8, vcc_lo, v8, s8
	s_wait_alu 0xfffd
	v_add_co_ci_u32_e64 v9, null, s9, v9, vcc_lo
	s_wait_alu 0xfffe
	s_delay_alu instid0(VALU_DEP_2) | instskip(SKIP_1) | instid1(VALU_DEP_2)
	v_add_co_u32 v8, vcc_lo, v8, s12
	s_wait_alu 0xfffd
	v_add_co_ci_u32_e64 v9, null, s13, v9, vcc_lo
	s_delay_alu instid0(VALU_DEP_2) | instskip(SKIP_1) | instid1(VALU_DEP_2)
	v_add_co_u32 v8, vcc_lo, v8, v2
	s_wait_alu 0xfffd
	v_add_co_ci_u32_e64 v9, null, v9, v3, vcc_lo
	;; [unrolled: 4-line block ×3, first 2 shown]
	flat_load_b32 v8, v[8:9]
	s_wait_loadcnt_dscnt 0x0
	ds_store_b32 v14, v8
	s_or_b32 exec_lo, exec_lo, s27
	s_and_saveexec_b32 s27, s21
	s_cbranch_execnz .LBB147_8
	s_branch .LBB147_9
.LBB147_13:                             ;   in Loop: Header=BB147_4 Depth=1
	s_mov_b32 s27, 0
.LBB147_14:                             ;   in Loop: Header=BB147_4 Depth=1
	s_delay_alu instid0(SALU_CYCLE_1) | instskip(SKIP_1) | instid1(SALU_CYCLE_1)
	s_and_not1_b32 s27, s27, exec_lo
	s_and_b32 s28, s1, exec_lo
	s_or_b32 s27, s27, s28
.LBB147_15:                             ;   in Loop: Header=BB147_4 Depth=1
	s_delay_alu instid0(SALU_CYCLE_1)
	s_and_saveexec_b32 s28, s27
; %bb.16:                               ;   in Loop: Header=BB147_4 Depth=1
	ds_store_b32 v12, v13
; %bb.17:                               ;   in Loop: Header=BB147_4 Depth=1
	s_or_b32 exec_lo, exec_lo, s28
	s_wait_loadcnt_dscnt 0x0
	s_barrier_signal -1
	s_barrier_wait -1
	global_inv scope:SCOPE_SE
	s_and_saveexec_b32 s27, s23
	s_cbranch_execz .LBB147_2
; %bb.18:                               ;   in Loop: Header=BB147_4 Depth=1
	ds_load_2addr_b32 v[27:28], v15 offset1:32
	ds_load_b128 v[8:11], v16
	ds_load_2addr_b32 v[29:30], v15 offset0:64 offset1:96
	ds_load_b128 v[23:26], v16 offset:16
	ds_load_2addr_b32 v[31:32], v15 offset0:128 offset1:160
	v_add_co_u32 v6, vcc_lo, v6, s14
	s_wait_alu 0xfffd
	v_add_co_ci_u32_e64 v7, null, s15, v7, vcc_lo
	s_wait_alu 0xfffe
	s_delay_alu instid0(VALU_DEP_2) | instskip(SKIP_1) | instid1(VALU_DEP_2)
	v_add_co_u32 v6, vcc_lo, v6, s18
	s_wait_alu 0xfffd
	v_add_co_ci_u32_e64 v7, null, s19, v7, vcc_lo
	s_delay_alu instid0(VALU_DEP_2) | instskip(SKIP_1) | instid1(VALU_DEP_2)
	v_add_co_u32 v6, vcc_lo, v6, v4
	s_wait_alu 0xfffd
	v_add_co_ci_u32_e64 v7, null, v7, v5, vcc_lo
	s_delay_alu instid0(VALU_DEP_2) | instskip(SKIP_4) | instid1(VALU_DEP_2)
	v_add_co_u32 v6, vcc_lo, v6, v19
	s_wait_dscnt 0x3
	v_fma_f32 v33, v27, v8, 0
	s_wait_alu 0xfffd
	v_add_co_ci_u32_e64 v7, null, 0, v7, vcc_lo
	v_fmac_f32_e32 v33, v28, v9
	ds_load_2addr_b32 v[27:28], v15 offset0:192 offset1:224
	s_wait_dscnt 0x3
	v_fmac_f32_e32 v33, v29, v10
	s_delay_alu instid0(VALU_DEP_1) | instskip(SKIP_4) | instid1(VALU_DEP_1)
	v_fmac_f32_e32 v33, v30, v11
	ds_load_b128 v[8:11], v16 offset:32
	ds_load_2addr_b32 v[29:30], v20 offset1:32
	s_wait_dscnt 0x3
	v_fmac_f32_e32 v33, v31, v23
	v_fmac_f32_e32 v33, v32, v24
	ds_load_2addr_b32 v[31:32], v20 offset0:64 offset1:96
	s_wait_dscnt 0x3
	v_fmac_f32_e32 v33, v27, v25
	s_delay_alu instid0(VALU_DEP_1) | instskip(SKIP_4) | instid1(VALU_DEP_1)
	v_fmac_f32_e32 v33, v28, v26
	ds_load_b128 v[23:26], v16 offset:48
	ds_load_2addr_b32 v[27:28], v20 offset0:128 offset1:160
	s_wait_dscnt 0x3
	v_fmac_f32_e32 v33, v29, v8
	v_fmac_f32_e32 v33, v30, v9
	ds_load_2addr_b32 v[29:30], v20 offset0:192 offset1:224
	s_wait_dscnt 0x3
	v_fmac_f32_e32 v33, v31, v10
	s_delay_alu instid0(VALU_DEP_1) | instskip(SKIP_4) | instid1(VALU_DEP_1)
	v_fmac_f32_e32 v33, v32, v11
	ds_load_2addr_b32 v[31:32], v21 offset1:32
	ds_load_b128 v[8:11], v16 offset:64
	s_wait_dscnt 0x3
	v_fmac_f32_e32 v33, v27, v23
	v_fmac_f32_e32 v33, v28, v24
	ds_load_2addr_b32 v[27:28], v21 offset0:64 offset1:96
	s_wait_dscnt 0x3
	v_fmac_f32_e32 v33, v29, v25
	s_delay_alu instid0(VALU_DEP_1) | instskip(SKIP_4) | instid1(VALU_DEP_1)
	v_fmac_f32_e32 v33, v30, v26
	ds_load_2addr_b32 v[29:30], v21 offset0:128 offset1:160
	ds_load_b128 v[23:26], v16 offset:80
	s_wait_dscnt 0x3
	v_fmac_f32_e32 v33, v31, v8
	v_fmac_f32_e32 v33, v32, v9
	ds_load_2addr_b32 v[31:32], v21 offset0:192 offset1:224
	s_wait_dscnt 0x3
	v_fmac_f32_e32 v33, v27, v10
	s_delay_alu instid0(VALU_DEP_1) | instskip(SKIP_4) | instid1(VALU_DEP_1)
	v_fmac_f32_e32 v33, v28, v11
	ds_load_2addr_b32 v[27:28], v22 offset1:32
	ds_load_b128 v[8:11], v16 offset:96
	s_wait_dscnt 0x3
	v_fmac_f32_e32 v33, v29, v23
	v_fmac_f32_e32 v33, v30, v24
	ds_load_2addr_b32 v[29:30], v22 offset0:64 offset1:96
	s_wait_dscnt 0x3
	v_fmac_f32_e32 v33, v31, v25
	s_delay_alu instid0(VALU_DEP_1) | instskip(SKIP_4) | instid1(VALU_DEP_1)
	v_fmac_f32_e32 v33, v32, v26
	ds_load_2addr_b32 v[31:32], v22 offset0:128 offset1:160
	ds_load_b128 v[23:26], v16 offset:112
	s_wait_dscnt 0x3
	v_fmac_f32_e32 v33, v27, v8
	v_fmac_f32_e32 v33, v28, v9
	ds_load_2addr_b32 v[8:9], v22 offset0:192 offset1:224
	s_wait_dscnt 0x3
	v_fmac_f32_e32 v33, v29, v10
	s_delay_alu instid0(VALU_DEP_1) | instskip(SKIP_1) | instid1(VALU_DEP_1)
	v_fmac_f32_e32 v33, v30, v11
	s_wait_dscnt 0x1
	v_fmac_f32_e32 v33, v31, v23
	s_delay_alu instid0(VALU_DEP_1) | instskip(SKIP_1) | instid1(VALU_DEP_1)
	v_fmac_f32_e32 v33, v32, v24
	s_wait_dscnt 0x0
	v_fmac_f32_e32 v33, v8, v25
	s_delay_alu instid0(VALU_DEP_1) | instskip(NEXT) | instid1(VALU_DEP_1)
	v_fmac_f32_e32 v33, v9, v26
	v_mul_f32_e32 v8, s25, v33
	flat_store_b32 v[6:7], v8
	s_branch .LBB147_2
.LBB147_19:
	s_endpgm
	.section	.rodata,"a",@progbits
	.p2align	6, 0x0
	.amdhsa_kernel _ZL23rocblas_trmm_lTx_kernelILi32ELb0EffKPKfKPfEv13rocblas_fill_17rocblas_diagonal_iiT2_lPT3_llS9_llPT4_lli
		.amdhsa_group_segment_fixed_size 8192
		.amdhsa_private_segment_fixed_size 0
		.amdhsa_kernarg_size 108
		.amdhsa_user_sgpr_count 2
		.amdhsa_user_sgpr_dispatch_ptr 0
		.amdhsa_user_sgpr_queue_ptr 0
		.amdhsa_user_sgpr_kernarg_segment_ptr 1
		.amdhsa_user_sgpr_dispatch_id 0
		.amdhsa_user_sgpr_private_segment_size 0
		.amdhsa_wavefront_size32 1
		.amdhsa_uses_dynamic_stack 0
		.amdhsa_enable_private_segment 0
		.amdhsa_system_sgpr_workgroup_id_x 1
		.amdhsa_system_sgpr_workgroup_id_y 0
		.amdhsa_system_sgpr_workgroup_id_z 1
		.amdhsa_system_sgpr_workgroup_info 0
		.amdhsa_system_vgpr_workitem_id 1
		.amdhsa_next_free_vgpr 34
		.amdhsa_next_free_sgpr 36
		.amdhsa_reserve_vcc 1
		.amdhsa_float_round_mode_32 0
		.amdhsa_float_round_mode_16_64 0
		.amdhsa_float_denorm_mode_32 3
		.amdhsa_float_denorm_mode_16_64 3
		.amdhsa_fp16_overflow 0
		.amdhsa_workgroup_processor_mode 1
		.amdhsa_memory_ordered 1
		.amdhsa_forward_progress 1
		.amdhsa_inst_pref_size 12
		.amdhsa_round_robin_scheduling 0
		.amdhsa_exception_fp_ieee_invalid_op 0
		.amdhsa_exception_fp_denorm_src 0
		.amdhsa_exception_fp_ieee_div_zero 0
		.amdhsa_exception_fp_ieee_overflow 0
		.amdhsa_exception_fp_ieee_underflow 0
		.amdhsa_exception_fp_ieee_inexact 0
		.amdhsa_exception_int_div_zero 0
	.end_amdhsa_kernel
	.section	.text._ZL23rocblas_trmm_lTx_kernelILi32ELb0EffKPKfKPfEv13rocblas_fill_17rocblas_diagonal_iiT2_lPT3_llS9_llPT4_lli,"axG",@progbits,_ZL23rocblas_trmm_lTx_kernelILi32ELb0EffKPKfKPfEv13rocblas_fill_17rocblas_diagonal_iiT2_lPT3_llS9_llPT4_lli,comdat
.Lfunc_end147:
	.size	_ZL23rocblas_trmm_lTx_kernelILi32ELb0EffKPKfKPfEv13rocblas_fill_17rocblas_diagonal_iiT2_lPT3_llS9_llPT4_lli, .Lfunc_end147-_ZL23rocblas_trmm_lTx_kernelILi32ELb0EffKPKfKPfEv13rocblas_fill_17rocblas_diagonal_iiT2_lPT3_llS9_llPT4_lli
                                        ; -- End function
	.set _ZL23rocblas_trmm_lTx_kernelILi32ELb0EffKPKfKPfEv13rocblas_fill_17rocblas_diagonal_iiT2_lPT3_llS9_llPT4_lli.num_vgpr, 34
	.set _ZL23rocblas_trmm_lTx_kernelILi32ELb0EffKPKfKPfEv13rocblas_fill_17rocblas_diagonal_iiT2_lPT3_llS9_llPT4_lli.num_agpr, 0
	.set _ZL23rocblas_trmm_lTx_kernelILi32ELb0EffKPKfKPfEv13rocblas_fill_17rocblas_diagonal_iiT2_lPT3_llS9_llPT4_lli.numbered_sgpr, 36
	.set _ZL23rocblas_trmm_lTx_kernelILi32ELb0EffKPKfKPfEv13rocblas_fill_17rocblas_diagonal_iiT2_lPT3_llS9_llPT4_lli.num_named_barrier, 0
	.set _ZL23rocblas_trmm_lTx_kernelILi32ELb0EffKPKfKPfEv13rocblas_fill_17rocblas_diagonal_iiT2_lPT3_llS9_llPT4_lli.private_seg_size, 0
	.set _ZL23rocblas_trmm_lTx_kernelILi32ELb0EffKPKfKPfEv13rocblas_fill_17rocblas_diagonal_iiT2_lPT3_llS9_llPT4_lli.uses_vcc, 1
	.set _ZL23rocblas_trmm_lTx_kernelILi32ELb0EffKPKfKPfEv13rocblas_fill_17rocblas_diagonal_iiT2_lPT3_llS9_llPT4_lli.uses_flat_scratch, 0
	.set _ZL23rocblas_trmm_lTx_kernelILi32ELb0EffKPKfKPfEv13rocblas_fill_17rocblas_diagonal_iiT2_lPT3_llS9_llPT4_lli.has_dyn_sized_stack, 0
	.set _ZL23rocblas_trmm_lTx_kernelILi32ELb0EffKPKfKPfEv13rocblas_fill_17rocblas_diagonal_iiT2_lPT3_llS9_llPT4_lli.has_recursion, 0
	.set _ZL23rocblas_trmm_lTx_kernelILi32ELb0EffKPKfKPfEv13rocblas_fill_17rocblas_diagonal_iiT2_lPT3_llS9_llPT4_lli.has_indirect_call, 0
	.section	.AMDGPU.csdata,"",@progbits
; Kernel info:
; codeLenInByte = 1520
; TotalNumSgprs: 38
; NumVgprs: 34
; ScratchSize: 0
; MemoryBound: 0
; FloatMode: 240
; IeeeMode: 1
; LDSByteSize: 8192 bytes/workgroup (compile time only)
; SGPRBlocks: 0
; VGPRBlocks: 4
; NumSGPRsForWavesPerEU: 38
; NumVGPRsForWavesPerEU: 34
; Occupancy: 16
; WaveLimiterHint : 1
; COMPUTE_PGM_RSRC2:SCRATCH_EN: 0
; COMPUTE_PGM_RSRC2:USER_SGPR: 2
; COMPUTE_PGM_RSRC2:TRAP_HANDLER: 0
; COMPUTE_PGM_RSRC2:TGID_X_EN: 1
; COMPUTE_PGM_RSRC2:TGID_Y_EN: 0
; COMPUTE_PGM_RSRC2:TGID_Z_EN: 1
; COMPUTE_PGM_RSRC2:TIDIG_COMP_CNT: 1
	.section	.text._ZL23rocblas_trmm_lTx_kernelILi32ELb1EfPKfKS1_KPfEv13rocblas_fill_17rocblas_diagonal_iiT2_lPT3_llS9_llPT4_lli,"axG",@progbits,_ZL23rocblas_trmm_lTx_kernelILi32ELb1EfPKfKS1_KPfEv13rocblas_fill_17rocblas_diagonal_iiT2_lPT3_llS9_llPT4_lli,comdat
	.globl	_ZL23rocblas_trmm_lTx_kernelILi32ELb1EfPKfKS1_KPfEv13rocblas_fill_17rocblas_diagonal_iiT2_lPT3_llS9_llPT4_lli ; -- Begin function _ZL23rocblas_trmm_lTx_kernelILi32ELb1EfPKfKS1_KPfEv13rocblas_fill_17rocblas_diagonal_iiT2_lPT3_llS9_llPT4_lli
	.p2align	8
	.type	_ZL23rocblas_trmm_lTx_kernelILi32ELb1EfPKfKS1_KPfEv13rocblas_fill_17rocblas_diagonal_iiT2_lPT3_llS9_llPT4_lli,@function
_ZL23rocblas_trmm_lTx_kernelILi32ELb1EfPKfKS1_KPfEv13rocblas_fill_17rocblas_diagonal_iiT2_lPT3_llS9_llPT4_lli: ; @_ZL23rocblas_trmm_lTx_kernelILi32ELb1EfPKfKS1_KPfEv13rocblas_fill_17rocblas_diagonal_iiT2_lPT3_llS9_llPT4_lli
; %bb.0:
	s_load_b32 s28, s[0:1], 0x68
	s_lshr_b32 s2, ttmp7, 16
	s_wait_kmcnt 0x0
	s_cmp_ge_u32 s2, s28
	s_cbranch_scc1 .LBB148_19
; %bb.1:
	s_clause 0x3
	s_load_b128 s[24:27], s[0:1], 0x0
	s_load_b512 s[4:19], s[0:1], 0x10
	s_load_b128 s[20:23], s[0:1], 0x50
	s_load_b64 s[30:31], s[0:1], 0x60
	v_bfe_u32 v9, v0, 10, 10
	v_dual_mov_b32 v13, 0 :: v_dual_and_b32 v10, 0x3ff, v0
	s_delay_alu instid0(VALU_DEP_2) | instskip(SKIP_1) | instid1(VALU_DEP_3)
	v_dual_mov_b32 v18, 1.0 :: v_dual_lshlrev_b32 v11, 2, v9
	v_lshlrev_b32_e32 v0, 5, v9
	v_lshlrev_b32_e32 v15, 2, v10
	v_lshl_add_u32 v16, v9, 7, 0x1000
	v_lshlrev_b32_e32 v19, 2, v10
	s_delay_alu instid0(VALU_DEP_4) | instskip(NEXT) | instid1(VALU_DEP_4)
	v_add_lshl_u32 v12, v0, v10, 2
	v_add_nc_u32_e32 v20, 0x400, v15
	v_add_nc_u32_e32 v21, 0x800, v15
	;; [unrolled: 1-line block ×3, first 2 shown]
	s_wait_kmcnt 0x0
	s_add_co_i32 s1, s27, -1
	v_mad_co_u64_u32 v[0:1], null, s10, v9, 0
	v_mad_co_u64_u32 v[2:3], null, s16, v9, 0
	s_ashr_i32 s3, s1, 31
	v_mad_co_u64_u32 v[4:5], null, s22, v9, 0
	s_lshr_b32 s3, s3, 27
	v_cmp_gt_i32_e32 vcc_lo, s26, v9
	s_add_co_i32 s1, s1, s3
	v_mad_co_u64_u32 v[6:7], null, s11, v9, v[1:2]
	s_ashr_i32 s3, s1, 5
	s_and_not1_b32 s1, s1, 31
	v_cmp_gt_i32_e64 s0, s26, v10
	s_sub_co_i32 s1, s27, s1
	v_add_nc_u32_e32 v14, 0x1000, v12
	s_cmp_ge_i32 ttmp9, s3
	v_mad_co_u64_u32 v[7:8], null, s17, v9, v[3:4]
	v_mov_b32_e32 v3, v5
	s_cselect_b32 s1, s1, 32
	s_and_b32 s26, vcc_lo, s0
	v_cmp_gt_i32_e32 vcc_lo, s1, v9
	v_mov_b32_e32 v1, v6
	v_mad_co_u64_u32 v[5:6], null, s23, v9, v[3:4]
	s_lshl_b32 s10, ttmp9, 5
	v_dual_mov_b32 v3, v7 :: v_dual_lshlrev_b32 v8, 7, v10
	s_wait_alu 0xfffe
	s_ashr_i32 s11, s10, 31
	s_and_b32 s27, s0, vcc_lo
	v_cmp_eq_u32_e32 vcc_lo, v9, v10
	s_cmp_eq_u32 s25, 0x84
	v_lshlrev_b64_e32 v[0:1], 2, v[0:1]
	s_cselect_b32 s0, -1, 0
	v_lshlrev_b64_e32 v[2:3], 2, v[2:3]
	v_lshlrev_b64_e32 v[4:5], 2, v[4:5]
	s_wait_alu 0xfffe
	s_and_b32 s25, vcc_lo, s0
	v_cmp_lt_u32_e64 s0, v10, v9
	v_cmp_gt_u32_e64 s1, v10, v9
	v_add_nc_u32_e32 v17, v11, v8
	s_mul_u64 s[16:17], s[16:17], s[10:11]
	s_mul_u64 s[34:35], s[22:23], s[10:11]
	s_cmp_lg_u32 s24, 0x7a
	s_mov_b32 s3, 0
	s_cselect_b32 s24, -1, 0
	s_lshl_b64 s[10:11], s[12:13], 2
	s_lshl_b64 s[12:13], s[18:19], 2
	s_wait_alu 0xfffe
	s_lshl_b64 s[16:17], s[16:17], 2
	s_lshl_b64 s[18:19], s[30:31], 2
	;; [unrolled: 1-line block ×3, first 2 shown]
	s_branch .LBB148_4
.LBB148_2:                              ;   in Loop: Header=BB148_4 Depth=1
	s_or_b32 exec_lo, exec_lo, s29
.LBB148_3:                              ;   in Loop: Header=BB148_4 Depth=1
	s_add_co_i32 s2, s2, 0x10000
	s_delay_alu instid0(SALU_CYCLE_1)
	s_cmp_lt_u32 s2, s28
	s_cbranch_scc0 .LBB148_19
.LBB148_4:                              ; =>This Inner Loop Header: Depth=1
	s_mul_u64 s[30:31], s[6:7], s[2:3]
	s_delay_alu instid0(SALU_CYCLE_1) | instskip(NEXT) | instid1(SALU_CYCLE_1)
	s_lshl_b64 s[30:31], s[30:31], 2
	s_add_nc_u64 s[30:31], s[4:5], s[30:31]
	global_load_b32 v23, v13, s[30:31]
	s_wait_loadcnt 0x0
	v_cmp_eq_f32_e32 vcc_lo, 0, v23
	s_cbranch_vccnz .LBB148_3
; %bb.5:                                ;   in Loop: Header=BB148_4 Depth=1
	s_lshl_b64 s[30:31], s[2:3], 3
	s_delay_alu instid0(SALU_CYCLE_1)
	s_add_nc_u64 s[34:35], s[8:9], s[30:31]
	s_add_nc_u64 s[36:37], s[14:15], s[30:31]
	;; [unrolled: 1-line block ×3, first 2 shown]
	s_clause 0x2
	global_load_b64 v[10:11], v13, s[34:35]
	global_load_b64 v[8:9], v13, s[36:37]
	global_load_b64 v[6:7], v13, s[30:31]
	ds_store_b32 v12, v13
	ds_store_b32 v14, v13
	s_wait_loadcnt_dscnt 0x0
	s_barrier_signal -1
	s_barrier_wait -1
	global_inv scope:SCOPE_SE
	s_and_saveexec_b32 s29, s26
	s_cbranch_execnz .LBB148_11
; %bb.6:                                ;   in Loop: Header=BB148_4 Depth=1
	s_or_b32 exec_lo, exec_lo, s29
	s_and_saveexec_b32 s29, s27
	s_cbranch_execnz .LBB148_12
.LBB148_7:                              ;   in Loop: Header=BB148_4 Depth=1
	s_or_b32 exec_lo, exec_lo, s29
	s_and_saveexec_b32 s29, s25
.LBB148_8:                              ;   in Loop: Header=BB148_4 Depth=1
	ds_store_b32 v12, v18
.LBB148_9:                              ;   in Loop: Header=BB148_4 Depth=1
	s_or_b32 exec_lo, exec_lo, s29
	s_delay_alu instid0(SALU_CYCLE_1)
	s_and_b32 vcc_lo, exec_lo, s24
	s_wait_loadcnt_dscnt 0x0
	s_barrier_signal -1
	s_barrier_wait -1
	global_inv scope:SCOPE_SE
	s_wait_alu 0xfffe
	s_cbranch_vccz .LBB148_13
; %bb.10:                               ;   in Loop: Header=BB148_4 Depth=1
	s_and_b32 s29, s0, exec_lo
	s_cbranch_execz .LBB148_14
	s_branch .LBB148_15
.LBB148_11:                             ;   in Loop: Header=BB148_4 Depth=1
	v_add_co_u32 v10, vcc_lo, v10, s10
	s_wait_alu 0xfffd
	v_add_co_ci_u32_e64 v11, null, s11, v11, vcc_lo
	s_delay_alu instid0(VALU_DEP_2) | instskip(SKIP_1) | instid1(VALU_DEP_2)
	v_add_co_u32 v10, vcc_lo, v10, v0
	s_wait_alu 0xfffd
	v_add_co_ci_u32_e64 v11, null, v11, v1, vcc_lo
	s_delay_alu instid0(VALU_DEP_2) | instskip(SKIP_1) | instid1(VALU_DEP_2)
	v_add_co_u32 v10, vcc_lo, v10, v19
	s_wait_alu 0xfffd
	v_add_co_ci_u32_e64 v11, null, 0, v11, vcc_lo
	flat_load_b32 v10, v[10:11]
	s_wait_loadcnt_dscnt 0x0
	ds_store_b32 v17, v10
	s_or_b32 exec_lo, exec_lo, s29
	s_and_saveexec_b32 s29, s27
	s_cbranch_execz .LBB148_7
.LBB148_12:                             ;   in Loop: Header=BB148_4 Depth=1
	v_add_co_u32 v8, vcc_lo, v8, s12
	s_wait_alu 0xfffd
	v_add_co_ci_u32_e64 v9, null, s13, v9, vcc_lo
	s_wait_alu 0xfffe
	s_delay_alu instid0(VALU_DEP_2) | instskip(SKIP_1) | instid1(VALU_DEP_2)
	v_add_co_u32 v8, vcc_lo, v8, s16
	s_wait_alu 0xfffd
	v_add_co_ci_u32_e64 v9, null, s17, v9, vcc_lo
	s_delay_alu instid0(VALU_DEP_2) | instskip(SKIP_1) | instid1(VALU_DEP_2)
	v_add_co_u32 v8, vcc_lo, v8, v2
	s_wait_alu 0xfffd
	v_add_co_ci_u32_e64 v9, null, v9, v3, vcc_lo
	s_delay_alu instid0(VALU_DEP_2) | instskip(SKIP_1) | instid1(VALU_DEP_2)
	v_add_co_u32 v8, vcc_lo, v8, v19
	s_wait_alu 0xfffd
	v_add_co_ci_u32_e64 v9, null, 0, v9, vcc_lo
	flat_load_b32 v8, v[8:9]
	s_wait_loadcnt_dscnt 0x0
	ds_store_b32 v14, v8
	s_or_b32 exec_lo, exec_lo, s29
	s_and_saveexec_b32 s29, s25
	s_cbranch_execnz .LBB148_8
	s_branch .LBB148_9
.LBB148_13:                             ;   in Loop: Header=BB148_4 Depth=1
	s_mov_b32 s29, 0
.LBB148_14:                             ;   in Loop: Header=BB148_4 Depth=1
	s_delay_alu instid0(SALU_CYCLE_1) | instskip(SKIP_1) | instid1(SALU_CYCLE_1)
	s_and_not1_b32 s29, s29, exec_lo
	s_and_b32 s30, s1, exec_lo
	s_or_b32 s29, s29, s30
.LBB148_15:                             ;   in Loop: Header=BB148_4 Depth=1
	s_delay_alu instid0(SALU_CYCLE_1)
	s_and_saveexec_b32 s30, s29
; %bb.16:                               ;   in Loop: Header=BB148_4 Depth=1
	ds_store_b32 v12, v13
; %bb.17:                               ;   in Loop: Header=BB148_4 Depth=1
	s_or_b32 exec_lo, exec_lo, s30
	s_wait_loadcnt_dscnt 0x0
	s_barrier_signal -1
	s_barrier_wait -1
	global_inv scope:SCOPE_SE
	s_and_saveexec_b32 s29, s27
	s_cbranch_execz .LBB148_2
; %bb.18:                               ;   in Loop: Header=BB148_4 Depth=1
	ds_load_2addr_b32 v[28:29], v15 offset1:32
	ds_load_b128 v[8:11], v16
	ds_load_2addr_b32 v[30:31], v15 offset0:64 offset1:96
	ds_load_b128 v[24:27], v16 offset:16
	ds_load_2addr_b32 v[32:33], v15 offset0:128 offset1:160
	v_add_co_u32 v6, vcc_lo, v6, s18
	s_wait_alu 0xfffd
	v_add_co_ci_u32_e64 v7, null, s19, v7, vcc_lo
	s_wait_alu 0xfffe
	s_delay_alu instid0(VALU_DEP_2) | instskip(SKIP_1) | instid1(VALU_DEP_2)
	v_add_co_u32 v6, vcc_lo, v6, s22
	s_wait_alu 0xfffd
	v_add_co_ci_u32_e64 v7, null, s23, v7, vcc_lo
	s_delay_alu instid0(VALU_DEP_2) | instskip(SKIP_1) | instid1(VALU_DEP_2)
	v_add_co_u32 v6, vcc_lo, v6, v4
	s_wait_alu 0xfffd
	v_add_co_ci_u32_e64 v7, null, v7, v5, vcc_lo
	s_delay_alu instid0(VALU_DEP_2) | instskip(SKIP_4) | instid1(VALU_DEP_2)
	v_add_co_u32 v6, vcc_lo, v6, v19
	s_wait_dscnt 0x3
	v_fma_f32 v34, v28, v8, 0
	s_wait_alu 0xfffd
	v_add_co_ci_u32_e64 v7, null, 0, v7, vcc_lo
	v_fmac_f32_e32 v34, v29, v9
	ds_load_2addr_b32 v[28:29], v15 offset0:192 offset1:224
	s_wait_dscnt 0x3
	v_fmac_f32_e32 v34, v30, v10
	s_delay_alu instid0(VALU_DEP_1) | instskip(SKIP_4) | instid1(VALU_DEP_1)
	v_fmac_f32_e32 v34, v31, v11
	ds_load_b128 v[8:11], v16 offset:32
	ds_load_2addr_b32 v[30:31], v20 offset1:32
	s_wait_dscnt 0x3
	v_fmac_f32_e32 v34, v32, v24
	v_fmac_f32_e32 v34, v33, v25
	ds_load_2addr_b32 v[32:33], v20 offset0:64 offset1:96
	s_wait_dscnt 0x3
	v_fmac_f32_e32 v34, v28, v26
	s_delay_alu instid0(VALU_DEP_1) | instskip(SKIP_4) | instid1(VALU_DEP_1)
	v_fmac_f32_e32 v34, v29, v27
	ds_load_b128 v[24:27], v16 offset:48
	ds_load_2addr_b32 v[28:29], v20 offset0:128 offset1:160
	s_wait_dscnt 0x3
	v_fmac_f32_e32 v34, v30, v8
	v_fmac_f32_e32 v34, v31, v9
	ds_load_2addr_b32 v[30:31], v20 offset0:192 offset1:224
	s_wait_dscnt 0x3
	v_fmac_f32_e32 v34, v32, v10
	s_delay_alu instid0(VALU_DEP_1) | instskip(SKIP_4) | instid1(VALU_DEP_1)
	v_fmac_f32_e32 v34, v33, v11
	ds_load_2addr_b32 v[32:33], v21 offset1:32
	ds_load_b128 v[8:11], v16 offset:64
	s_wait_dscnt 0x3
	v_fmac_f32_e32 v34, v28, v24
	v_fmac_f32_e32 v34, v29, v25
	ds_load_2addr_b32 v[28:29], v21 offset0:64 offset1:96
	s_wait_dscnt 0x3
	v_fmac_f32_e32 v34, v30, v26
	s_delay_alu instid0(VALU_DEP_1) | instskip(SKIP_4) | instid1(VALU_DEP_1)
	v_fmac_f32_e32 v34, v31, v27
	ds_load_2addr_b32 v[30:31], v21 offset0:128 offset1:160
	ds_load_b128 v[24:27], v16 offset:80
	s_wait_dscnt 0x3
	v_fmac_f32_e32 v34, v32, v8
	v_fmac_f32_e32 v34, v33, v9
	ds_load_2addr_b32 v[32:33], v21 offset0:192 offset1:224
	s_wait_dscnt 0x3
	v_fmac_f32_e32 v34, v28, v10
	s_delay_alu instid0(VALU_DEP_1) | instskip(SKIP_4) | instid1(VALU_DEP_1)
	v_fmac_f32_e32 v34, v29, v11
	ds_load_2addr_b32 v[28:29], v22 offset1:32
	ds_load_b128 v[8:11], v16 offset:96
	s_wait_dscnt 0x3
	v_fmac_f32_e32 v34, v30, v24
	v_fmac_f32_e32 v34, v31, v25
	ds_load_2addr_b32 v[30:31], v22 offset0:64 offset1:96
	s_wait_dscnt 0x3
	v_fmac_f32_e32 v34, v32, v26
	s_delay_alu instid0(VALU_DEP_1) | instskip(SKIP_4) | instid1(VALU_DEP_1)
	v_fmac_f32_e32 v34, v33, v27
	ds_load_2addr_b32 v[32:33], v22 offset0:128 offset1:160
	ds_load_b128 v[24:27], v16 offset:112
	s_wait_dscnt 0x3
	v_fmac_f32_e32 v34, v28, v8
	v_fmac_f32_e32 v34, v29, v9
	ds_load_2addr_b32 v[8:9], v22 offset0:192 offset1:224
	s_wait_dscnt 0x3
	v_fmac_f32_e32 v34, v30, v10
	s_delay_alu instid0(VALU_DEP_1) | instskip(SKIP_1) | instid1(VALU_DEP_1)
	v_fmac_f32_e32 v34, v31, v11
	s_wait_dscnt 0x1
	v_fmac_f32_e32 v34, v32, v24
	s_delay_alu instid0(VALU_DEP_1) | instskip(SKIP_1) | instid1(VALU_DEP_1)
	v_fmac_f32_e32 v34, v33, v25
	s_wait_dscnt 0x0
	v_fmac_f32_e32 v34, v8, v26
	s_delay_alu instid0(VALU_DEP_1) | instskip(NEXT) | instid1(VALU_DEP_1)
	v_fmac_f32_e32 v34, v9, v27
	v_mul_f32_e32 v8, v23, v34
	flat_store_b32 v[6:7], v8
	s_branch .LBB148_2
.LBB148_19:
	s_endpgm
	.section	.rodata,"a",@progbits
	.p2align	6, 0x0
	.amdhsa_kernel _ZL23rocblas_trmm_lTx_kernelILi32ELb1EfPKfKS1_KPfEv13rocblas_fill_17rocblas_diagonal_iiT2_lPT3_llS9_llPT4_lli
		.amdhsa_group_segment_fixed_size 8192
		.amdhsa_private_segment_fixed_size 0
		.amdhsa_kernarg_size 108
		.amdhsa_user_sgpr_count 2
		.amdhsa_user_sgpr_dispatch_ptr 0
		.amdhsa_user_sgpr_queue_ptr 0
		.amdhsa_user_sgpr_kernarg_segment_ptr 1
		.amdhsa_user_sgpr_dispatch_id 0
		.amdhsa_user_sgpr_private_segment_size 0
		.amdhsa_wavefront_size32 1
		.amdhsa_uses_dynamic_stack 0
		.amdhsa_enable_private_segment 0
		.amdhsa_system_sgpr_workgroup_id_x 1
		.amdhsa_system_sgpr_workgroup_id_y 0
		.amdhsa_system_sgpr_workgroup_id_z 1
		.amdhsa_system_sgpr_workgroup_info 0
		.amdhsa_system_vgpr_workitem_id 1
		.amdhsa_next_free_vgpr 35
		.amdhsa_next_free_sgpr 38
		.amdhsa_reserve_vcc 1
		.amdhsa_float_round_mode_32 0
		.amdhsa_float_round_mode_16_64 0
		.amdhsa_float_denorm_mode_32 3
		.amdhsa_float_denorm_mode_16_64 3
		.amdhsa_fp16_overflow 0
		.amdhsa_workgroup_processor_mode 1
		.amdhsa_memory_ordered 1
		.amdhsa_forward_progress 1
		.amdhsa_inst_pref_size 12
		.amdhsa_round_robin_scheduling 0
		.amdhsa_exception_fp_ieee_invalid_op 0
		.amdhsa_exception_fp_denorm_src 0
		.amdhsa_exception_fp_ieee_div_zero 0
		.amdhsa_exception_fp_ieee_overflow 0
		.amdhsa_exception_fp_ieee_underflow 0
		.amdhsa_exception_fp_ieee_inexact 0
		.amdhsa_exception_int_div_zero 0
	.end_amdhsa_kernel
	.section	.text._ZL23rocblas_trmm_lTx_kernelILi32ELb1EfPKfKS1_KPfEv13rocblas_fill_17rocblas_diagonal_iiT2_lPT3_llS9_llPT4_lli,"axG",@progbits,_ZL23rocblas_trmm_lTx_kernelILi32ELb1EfPKfKS1_KPfEv13rocblas_fill_17rocblas_diagonal_iiT2_lPT3_llS9_llPT4_lli,comdat
.Lfunc_end148:
	.size	_ZL23rocblas_trmm_lTx_kernelILi32ELb1EfPKfKS1_KPfEv13rocblas_fill_17rocblas_diagonal_iiT2_lPT3_llS9_llPT4_lli, .Lfunc_end148-_ZL23rocblas_trmm_lTx_kernelILi32ELb1EfPKfKS1_KPfEv13rocblas_fill_17rocblas_diagonal_iiT2_lPT3_llS9_llPT4_lli
                                        ; -- End function
	.set _ZL23rocblas_trmm_lTx_kernelILi32ELb1EfPKfKS1_KPfEv13rocblas_fill_17rocblas_diagonal_iiT2_lPT3_llS9_llPT4_lli.num_vgpr, 35
	.set _ZL23rocblas_trmm_lTx_kernelILi32ELb1EfPKfKS1_KPfEv13rocblas_fill_17rocblas_diagonal_iiT2_lPT3_llS9_llPT4_lli.num_agpr, 0
	.set _ZL23rocblas_trmm_lTx_kernelILi32ELb1EfPKfKS1_KPfEv13rocblas_fill_17rocblas_diagonal_iiT2_lPT3_llS9_llPT4_lli.numbered_sgpr, 38
	.set _ZL23rocblas_trmm_lTx_kernelILi32ELb1EfPKfKS1_KPfEv13rocblas_fill_17rocblas_diagonal_iiT2_lPT3_llS9_llPT4_lli.num_named_barrier, 0
	.set _ZL23rocblas_trmm_lTx_kernelILi32ELb1EfPKfKS1_KPfEv13rocblas_fill_17rocblas_diagonal_iiT2_lPT3_llS9_llPT4_lli.private_seg_size, 0
	.set _ZL23rocblas_trmm_lTx_kernelILi32ELb1EfPKfKS1_KPfEv13rocblas_fill_17rocblas_diagonal_iiT2_lPT3_llS9_llPT4_lli.uses_vcc, 1
	.set _ZL23rocblas_trmm_lTx_kernelILi32ELb1EfPKfKS1_KPfEv13rocblas_fill_17rocblas_diagonal_iiT2_lPT3_llS9_llPT4_lli.uses_flat_scratch, 0
	.set _ZL23rocblas_trmm_lTx_kernelILi32ELb1EfPKfKS1_KPfEv13rocblas_fill_17rocblas_diagonal_iiT2_lPT3_llS9_llPT4_lli.has_dyn_sized_stack, 0
	.set _ZL23rocblas_trmm_lTx_kernelILi32ELb1EfPKfKS1_KPfEv13rocblas_fill_17rocblas_diagonal_iiT2_lPT3_llS9_llPT4_lli.has_recursion, 0
	.set _ZL23rocblas_trmm_lTx_kernelILi32ELb1EfPKfKS1_KPfEv13rocblas_fill_17rocblas_diagonal_iiT2_lPT3_llS9_llPT4_lli.has_indirect_call, 0
	.section	.AMDGPU.csdata,"",@progbits
; Kernel info:
; codeLenInByte = 1520
; TotalNumSgprs: 40
; NumVgprs: 35
; ScratchSize: 0
; MemoryBound: 0
; FloatMode: 240
; IeeeMode: 1
; LDSByteSize: 8192 bytes/workgroup (compile time only)
; SGPRBlocks: 0
; VGPRBlocks: 4
; NumSGPRsForWavesPerEU: 40
; NumVGPRsForWavesPerEU: 35
; Occupancy: 16
; WaveLimiterHint : 1
; COMPUTE_PGM_RSRC2:SCRATCH_EN: 0
; COMPUTE_PGM_RSRC2:USER_SGPR: 2
; COMPUTE_PGM_RSRC2:TRAP_HANDLER: 0
; COMPUTE_PGM_RSRC2:TGID_X_EN: 1
; COMPUTE_PGM_RSRC2:TGID_Y_EN: 0
; COMPUTE_PGM_RSRC2:TGID_Z_EN: 1
; COMPUTE_PGM_RSRC2:TIDIG_COMP_CNT: 1
	.section	.text._ZL23rocblas_trmm_lTx_kernelILi32ELb1EffKPKfKPfEv13rocblas_fill_17rocblas_diagonal_iiT2_lPT3_llS9_llPT4_lli,"axG",@progbits,_ZL23rocblas_trmm_lTx_kernelILi32ELb1EffKPKfKPfEv13rocblas_fill_17rocblas_diagonal_iiT2_lPT3_llS9_llPT4_lli,comdat
	.globl	_ZL23rocblas_trmm_lTx_kernelILi32ELb1EffKPKfKPfEv13rocblas_fill_17rocblas_diagonal_iiT2_lPT3_llS9_llPT4_lli ; -- Begin function _ZL23rocblas_trmm_lTx_kernelILi32ELb1EffKPKfKPfEv13rocblas_fill_17rocblas_diagonal_iiT2_lPT3_llS9_llPT4_lli
	.p2align	8
	.type	_ZL23rocblas_trmm_lTx_kernelILi32ELb1EffKPKfKPfEv13rocblas_fill_17rocblas_diagonal_iiT2_lPT3_llS9_llPT4_lli,@function
_ZL23rocblas_trmm_lTx_kernelILi32ELb1EffKPKfKPfEv13rocblas_fill_17rocblas_diagonal_iiT2_lPT3_llS9_llPT4_lli: ; @_ZL23rocblas_trmm_lTx_kernelILi32ELb1EffKPKfKPfEv13rocblas_fill_17rocblas_diagonal_iiT2_lPT3_llS9_llPT4_lli
; %bb.0:
	s_load_b32 s24, s[0:1], 0x68
	s_lshr_b32 s2, ttmp7, 16
	s_wait_kmcnt 0x0
	s_cmp_ge_u32 s2, s24
	s_cbranch_scc1 .LBB149_19
; %bb.1:
	s_clause 0x2
	s_load_b32 s25, s[0:1], 0x10
	s_load_b128 s[20:23], s[0:1], 0x0
	s_load_b512 s[4:19], s[0:1], 0x20
	v_bfe_u32 v9, v0, 10, 10
	v_dual_mov_b32 v13, 0 :: v_dual_and_b32 v10, 0x3ff, v0
	s_load_b64 s[28:29], s[0:1], 0x60
	s_delay_alu instid0(VALU_DEP_2) | instskip(SKIP_1) | instid1(VALU_DEP_3)
	v_dual_mov_b32 v18, 1.0 :: v_dual_lshlrev_b32 v11, 2, v9
	v_lshlrev_b32_e32 v0, 5, v9
	v_lshlrev_b32_e32 v15, 2, v10
	v_lshl_add_u32 v16, v9, 7, 0x1000
	v_lshlrev_b32_e32 v19, 2, v10
	s_mov_b32 s3, 0
	v_add_lshl_u32 v12, v0, v10, 2
	v_add_nc_u32_e32 v20, 0x400, v15
	v_add_nc_u32_e32 v21, 0x800, v15
	;; [unrolled: 1-line block ×3, first 2 shown]
	s_wait_kmcnt 0x0
	s_cmp_neq_f32 s25, 0
	v_cmp_gt_i32_e32 vcc_lo, s22, v9
	v_mad_co_u64_u32 v[0:1], null, s6, v9, 0
	v_mad_co_u64_u32 v[2:3], null, s12, v9, 0
	s_cselect_b32 s26, -1, 0
	s_add_co_i32 s1, s23, -1
	v_mad_co_u64_u32 v[4:5], null, s18, v9, 0
	s_ashr_i32 s6, s1, 31
	v_add_nc_u32_e32 v14, 0x1000, v12
	s_wait_alu 0xfffe
	s_lshr_b32 s6, s6, 27
	v_mad_co_u64_u32 v[6:7], null, s7, v9, v[1:2]
	s_wait_alu 0xfffe
	s_add_co_i32 s1, s1, s6
	v_mad_co_u64_u32 v[7:8], null, s13, v9, v[3:4]
	s_and_b32 s6, s1, 0xffffffe0
	s_ashr_i32 s1, s1, 5
	s_wait_alu 0xfffe
	s_sub_co_i32 s6, s23, s6
	s_cmp_ge_i32 ttmp9, s1
	v_mov_b32_e32 v3, v5
	s_wait_alu 0xfffe
	s_cselect_b32 s1, s6, 32
	v_cmp_gt_i32_e64 s0, s22, v10
	v_cmp_gt_i32_e64 s1, s1, v9
	v_mov_b32_e32 v1, v6
	v_mad_co_u64_u32 v[5:6], null, s19, v9, v[3:4]
	s_lshl_b32 s6, ttmp9, 5
	v_dual_mov_b32 v3, v7 :: v_dual_lshlrev_b32 v8, 7, v10
	s_wait_alu 0xfffe
	s_ashr_i32 s7, s6, 31
	s_and_b32 s22, vcc_lo, s0
	s_and_b32 s23, s0, s1
	v_cmp_eq_u32_e32 vcc_lo, v9, v10
	s_cmp_eq_u32 s21, 0x84
	v_lshlrev_b64_e32 v[0:1], 2, v[0:1]
	s_cselect_b32 s0, -1, 0
	v_lshlrev_b64_e32 v[2:3], 2, v[2:3]
	v_lshlrev_b64_e32 v[4:5], 2, v[4:5]
	s_wait_alu 0xfffe
	s_and_b32 s21, vcc_lo, s0
	v_cmp_lt_u32_e64 s0, v10, v9
	v_cmp_gt_u32_e64 s1, v10, v9
	v_add_nc_u32_e32 v17, v11, v8
	s_mul_u64 s[12:13], s[12:13], s[6:7]
	s_mul_u64 s[30:31], s[18:19], s[6:7]
	s_cmp_lg_u32 s20, 0x7a
	s_cselect_b32 s20, -1, 0
	s_lshl_b64 s[6:7], s[8:9], 2
	s_lshl_b64 s[8:9], s[14:15], 2
	s_wait_alu 0xfffe
	s_lshl_b64 s[12:13], s[12:13], 2
	s_lshl_b64 s[14:15], s[28:29], 2
	;; [unrolled: 1-line block ×3, first 2 shown]
	s_branch .LBB149_4
.LBB149_2:                              ;   in Loop: Header=BB149_4 Depth=1
	s_or_b32 exec_lo, exec_lo, s27
.LBB149_3:                              ;   in Loop: Header=BB149_4 Depth=1
	s_add_co_i32 s2, s2, 0x10000
	s_delay_alu instid0(SALU_CYCLE_1)
	s_cmp_lt_u32 s2, s24
	s_cbranch_scc0 .LBB149_19
.LBB149_4:                              ; =>This Inner Loop Header: Depth=1
	s_and_not1_b32 vcc_lo, exec_lo, s26
	s_wait_alu 0xfffe
	s_cbranch_vccnz .LBB149_3
; %bb.5:                                ;   in Loop: Header=BB149_4 Depth=1
	s_lshl_b64 s[28:29], s[2:3], 3
	s_delay_alu instid0(SALU_CYCLE_1)
	s_add_nc_u64 s[30:31], s[4:5], s[28:29]
	s_add_nc_u64 s[34:35], s[10:11], s[28:29]
	;; [unrolled: 1-line block ×3, first 2 shown]
	s_clause 0x2
	global_load_b64 v[10:11], v13, s[30:31]
	global_load_b64 v[8:9], v13, s[34:35]
	global_load_b64 v[6:7], v13, s[28:29]
	ds_store_b32 v12, v13
	ds_store_b32 v14, v13
	s_wait_loadcnt_dscnt 0x0
	s_barrier_signal -1
	s_barrier_wait -1
	global_inv scope:SCOPE_SE
	s_and_saveexec_b32 s27, s22
	s_cbranch_execnz .LBB149_11
; %bb.6:                                ;   in Loop: Header=BB149_4 Depth=1
	s_or_b32 exec_lo, exec_lo, s27
	s_and_saveexec_b32 s27, s23
	s_cbranch_execnz .LBB149_12
.LBB149_7:                              ;   in Loop: Header=BB149_4 Depth=1
	s_or_b32 exec_lo, exec_lo, s27
	s_and_saveexec_b32 s27, s21
.LBB149_8:                              ;   in Loop: Header=BB149_4 Depth=1
	ds_store_b32 v12, v18
.LBB149_9:                              ;   in Loop: Header=BB149_4 Depth=1
	s_or_b32 exec_lo, exec_lo, s27
	s_delay_alu instid0(SALU_CYCLE_1)
	s_and_b32 vcc_lo, exec_lo, s20
	s_wait_loadcnt_dscnt 0x0
	s_barrier_signal -1
	s_barrier_wait -1
	global_inv scope:SCOPE_SE
	s_wait_alu 0xfffe
	s_cbranch_vccz .LBB149_13
; %bb.10:                               ;   in Loop: Header=BB149_4 Depth=1
	s_and_b32 s27, s0, exec_lo
	s_cbranch_execz .LBB149_14
	s_branch .LBB149_15
.LBB149_11:                             ;   in Loop: Header=BB149_4 Depth=1
	v_add_co_u32 v10, vcc_lo, v10, s6
	s_wait_alu 0xfffd
	v_add_co_ci_u32_e64 v11, null, s7, v11, vcc_lo
	s_delay_alu instid0(VALU_DEP_2) | instskip(SKIP_1) | instid1(VALU_DEP_2)
	v_add_co_u32 v10, vcc_lo, v10, v0
	s_wait_alu 0xfffd
	v_add_co_ci_u32_e64 v11, null, v11, v1, vcc_lo
	s_delay_alu instid0(VALU_DEP_2) | instskip(SKIP_1) | instid1(VALU_DEP_2)
	v_add_co_u32 v10, vcc_lo, v10, v19
	s_wait_alu 0xfffd
	v_add_co_ci_u32_e64 v11, null, 0, v11, vcc_lo
	flat_load_b32 v10, v[10:11]
	s_wait_loadcnt_dscnt 0x0
	ds_store_b32 v17, v10
	s_or_b32 exec_lo, exec_lo, s27
	s_and_saveexec_b32 s27, s23
	s_cbranch_execz .LBB149_7
.LBB149_12:                             ;   in Loop: Header=BB149_4 Depth=1
	v_add_co_u32 v8, vcc_lo, v8, s8
	s_wait_alu 0xfffd
	v_add_co_ci_u32_e64 v9, null, s9, v9, vcc_lo
	s_wait_alu 0xfffe
	s_delay_alu instid0(VALU_DEP_2) | instskip(SKIP_1) | instid1(VALU_DEP_2)
	v_add_co_u32 v8, vcc_lo, v8, s12
	s_wait_alu 0xfffd
	v_add_co_ci_u32_e64 v9, null, s13, v9, vcc_lo
	s_delay_alu instid0(VALU_DEP_2) | instskip(SKIP_1) | instid1(VALU_DEP_2)
	v_add_co_u32 v8, vcc_lo, v8, v2
	s_wait_alu 0xfffd
	v_add_co_ci_u32_e64 v9, null, v9, v3, vcc_lo
	;; [unrolled: 4-line block ×3, first 2 shown]
	flat_load_b32 v8, v[8:9]
	s_wait_loadcnt_dscnt 0x0
	ds_store_b32 v14, v8
	s_or_b32 exec_lo, exec_lo, s27
	s_and_saveexec_b32 s27, s21
	s_cbranch_execnz .LBB149_8
	s_branch .LBB149_9
.LBB149_13:                             ;   in Loop: Header=BB149_4 Depth=1
	s_mov_b32 s27, 0
.LBB149_14:                             ;   in Loop: Header=BB149_4 Depth=1
	s_delay_alu instid0(SALU_CYCLE_1) | instskip(SKIP_1) | instid1(SALU_CYCLE_1)
	s_and_not1_b32 s27, s27, exec_lo
	s_and_b32 s28, s1, exec_lo
	s_or_b32 s27, s27, s28
.LBB149_15:                             ;   in Loop: Header=BB149_4 Depth=1
	s_delay_alu instid0(SALU_CYCLE_1)
	s_and_saveexec_b32 s28, s27
; %bb.16:                               ;   in Loop: Header=BB149_4 Depth=1
	ds_store_b32 v12, v13
; %bb.17:                               ;   in Loop: Header=BB149_4 Depth=1
	s_or_b32 exec_lo, exec_lo, s28
	s_wait_loadcnt_dscnt 0x0
	s_barrier_signal -1
	s_barrier_wait -1
	global_inv scope:SCOPE_SE
	s_and_saveexec_b32 s27, s23
	s_cbranch_execz .LBB149_2
; %bb.18:                               ;   in Loop: Header=BB149_4 Depth=1
	ds_load_2addr_b32 v[27:28], v15 offset1:32
	ds_load_b128 v[8:11], v16
	ds_load_2addr_b32 v[29:30], v15 offset0:64 offset1:96
	ds_load_b128 v[23:26], v16 offset:16
	ds_load_2addr_b32 v[31:32], v15 offset0:128 offset1:160
	v_add_co_u32 v6, vcc_lo, v6, s14
	s_wait_alu 0xfffd
	v_add_co_ci_u32_e64 v7, null, s15, v7, vcc_lo
	s_wait_alu 0xfffe
	s_delay_alu instid0(VALU_DEP_2) | instskip(SKIP_1) | instid1(VALU_DEP_2)
	v_add_co_u32 v6, vcc_lo, v6, s18
	s_wait_alu 0xfffd
	v_add_co_ci_u32_e64 v7, null, s19, v7, vcc_lo
	s_delay_alu instid0(VALU_DEP_2) | instskip(SKIP_1) | instid1(VALU_DEP_2)
	v_add_co_u32 v6, vcc_lo, v6, v4
	s_wait_alu 0xfffd
	v_add_co_ci_u32_e64 v7, null, v7, v5, vcc_lo
	s_delay_alu instid0(VALU_DEP_2) | instskip(SKIP_4) | instid1(VALU_DEP_2)
	v_add_co_u32 v6, vcc_lo, v6, v19
	s_wait_dscnt 0x3
	v_fma_f32 v33, v27, v8, 0
	s_wait_alu 0xfffd
	v_add_co_ci_u32_e64 v7, null, 0, v7, vcc_lo
	v_fmac_f32_e32 v33, v28, v9
	ds_load_2addr_b32 v[27:28], v15 offset0:192 offset1:224
	s_wait_dscnt 0x3
	v_fmac_f32_e32 v33, v29, v10
	s_delay_alu instid0(VALU_DEP_1) | instskip(SKIP_4) | instid1(VALU_DEP_1)
	v_fmac_f32_e32 v33, v30, v11
	ds_load_b128 v[8:11], v16 offset:32
	ds_load_2addr_b32 v[29:30], v20 offset1:32
	s_wait_dscnt 0x3
	v_fmac_f32_e32 v33, v31, v23
	v_fmac_f32_e32 v33, v32, v24
	ds_load_2addr_b32 v[31:32], v20 offset0:64 offset1:96
	s_wait_dscnt 0x3
	v_fmac_f32_e32 v33, v27, v25
	s_delay_alu instid0(VALU_DEP_1) | instskip(SKIP_4) | instid1(VALU_DEP_1)
	v_fmac_f32_e32 v33, v28, v26
	ds_load_b128 v[23:26], v16 offset:48
	ds_load_2addr_b32 v[27:28], v20 offset0:128 offset1:160
	s_wait_dscnt 0x3
	v_fmac_f32_e32 v33, v29, v8
	v_fmac_f32_e32 v33, v30, v9
	ds_load_2addr_b32 v[29:30], v20 offset0:192 offset1:224
	s_wait_dscnt 0x3
	v_fmac_f32_e32 v33, v31, v10
	s_delay_alu instid0(VALU_DEP_1) | instskip(SKIP_4) | instid1(VALU_DEP_1)
	v_fmac_f32_e32 v33, v32, v11
	ds_load_2addr_b32 v[31:32], v21 offset1:32
	ds_load_b128 v[8:11], v16 offset:64
	s_wait_dscnt 0x3
	v_fmac_f32_e32 v33, v27, v23
	v_fmac_f32_e32 v33, v28, v24
	ds_load_2addr_b32 v[27:28], v21 offset0:64 offset1:96
	s_wait_dscnt 0x3
	v_fmac_f32_e32 v33, v29, v25
	s_delay_alu instid0(VALU_DEP_1) | instskip(SKIP_4) | instid1(VALU_DEP_1)
	v_fmac_f32_e32 v33, v30, v26
	ds_load_2addr_b32 v[29:30], v21 offset0:128 offset1:160
	ds_load_b128 v[23:26], v16 offset:80
	s_wait_dscnt 0x3
	v_fmac_f32_e32 v33, v31, v8
	v_fmac_f32_e32 v33, v32, v9
	ds_load_2addr_b32 v[31:32], v21 offset0:192 offset1:224
	s_wait_dscnt 0x3
	v_fmac_f32_e32 v33, v27, v10
	s_delay_alu instid0(VALU_DEP_1) | instskip(SKIP_4) | instid1(VALU_DEP_1)
	v_fmac_f32_e32 v33, v28, v11
	ds_load_2addr_b32 v[27:28], v22 offset1:32
	ds_load_b128 v[8:11], v16 offset:96
	s_wait_dscnt 0x3
	v_fmac_f32_e32 v33, v29, v23
	v_fmac_f32_e32 v33, v30, v24
	ds_load_2addr_b32 v[29:30], v22 offset0:64 offset1:96
	s_wait_dscnt 0x3
	v_fmac_f32_e32 v33, v31, v25
	s_delay_alu instid0(VALU_DEP_1) | instskip(SKIP_4) | instid1(VALU_DEP_1)
	v_fmac_f32_e32 v33, v32, v26
	ds_load_2addr_b32 v[31:32], v22 offset0:128 offset1:160
	ds_load_b128 v[23:26], v16 offset:112
	s_wait_dscnt 0x3
	v_fmac_f32_e32 v33, v27, v8
	v_fmac_f32_e32 v33, v28, v9
	ds_load_2addr_b32 v[8:9], v22 offset0:192 offset1:224
	s_wait_dscnt 0x3
	v_fmac_f32_e32 v33, v29, v10
	s_delay_alu instid0(VALU_DEP_1) | instskip(SKIP_1) | instid1(VALU_DEP_1)
	v_fmac_f32_e32 v33, v30, v11
	s_wait_dscnt 0x1
	v_fmac_f32_e32 v33, v31, v23
	s_delay_alu instid0(VALU_DEP_1) | instskip(SKIP_1) | instid1(VALU_DEP_1)
	v_fmac_f32_e32 v33, v32, v24
	s_wait_dscnt 0x0
	v_fmac_f32_e32 v33, v8, v25
	s_delay_alu instid0(VALU_DEP_1) | instskip(NEXT) | instid1(VALU_DEP_1)
	v_fmac_f32_e32 v33, v9, v26
	v_mul_f32_e32 v8, s25, v33
	flat_store_b32 v[6:7], v8
	s_branch .LBB149_2
.LBB149_19:
	s_endpgm
	.section	.rodata,"a",@progbits
	.p2align	6, 0x0
	.amdhsa_kernel _ZL23rocblas_trmm_lTx_kernelILi32ELb1EffKPKfKPfEv13rocblas_fill_17rocblas_diagonal_iiT2_lPT3_llS9_llPT4_lli
		.amdhsa_group_segment_fixed_size 8192
		.amdhsa_private_segment_fixed_size 0
		.amdhsa_kernarg_size 108
		.amdhsa_user_sgpr_count 2
		.amdhsa_user_sgpr_dispatch_ptr 0
		.amdhsa_user_sgpr_queue_ptr 0
		.amdhsa_user_sgpr_kernarg_segment_ptr 1
		.amdhsa_user_sgpr_dispatch_id 0
		.amdhsa_user_sgpr_private_segment_size 0
		.amdhsa_wavefront_size32 1
		.amdhsa_uses_dynamic_stack 0
		.amdhsa_enable_private_segment 0
		.amdhsa_system_sgpr_workgroup_id_x 1
		.amdhsa_system_sgpr_workgroup_id_y 0
		.amdhsa_system_sgpr_workgroup_id_z 1
		.amdhsa_system_sgpr_workgroup_info 0
		.amdhsa_system_vgpr_workitem_id 1
		.amdhsa_next_free_vgpr 34
		.amdhsa_next_free_sgpr 36
		.amdhsa_reserve_vcc 1
		.amdhsa_float_round_mode_32 0
		.amdhsa_float_round_mode_16_64 0
		.amdhsa_float_denorm_mode_32 3
		.amdhsa_float_denorm_mode_16_64 3
		.amdhsa_fp16_overflow 0
		.amdhsa_workgroup_processor_mode 1
		.amdhsa_memory_ordered 1
		.amdhsa_forward_progress 1
		.amdhsa_inst_pref_size 12
		.amdhsa_round_robin_scheduling 0
		.amdhsa_exception_fp_ieee_invalid_op 0
		.amdhsa_exception_fp_denorm_src 0
		.amdhsa_exception_fp_ieee_div_zero 0
		.amdhsa_exception_fp_ieee_overflow 0
		.amdhsa_exception_fp_ieee_underflow 0
		.amdhsa_exception_fp_ieee_inexact 0
		.amdhsa_exception_int_div_zero 0
	.end_amdhsa_kernel
	.section	.text._ZL23rocblas_trmm_lTx_kernelILi32ELb1EffKPKfKPfEv13rocblas_fill_17rocblas_diagonal_iiT2_lPT3_llS9_llPT4_lli,"axG",@progbits,_ZL23rocblas_trmm_lTx_kernelILi32ELb1EffKPKfKPfEv13rocblas_fill_17rocblas_diagonal_iiT2_lPT3_llS9_llPT4_lli,comdat
.Lfunc_end149:
	.size	_ZL23rocblas_trmm_lTx_kernelILi32ELb1EffKPKfKPfEv13rocblas_fill_17rocblas_diagonal_iiT2_lPT3_llS9_llPT4_lli, .Lfunc_end149-_ZL23rocblas_trmm_lTx_kernelILi32ELb1EffKPKfKPfEv13rocblas_fill_17rocblas_diagonal_iiT2_lPT3_llS9_llPT4_lli
                                        ; -- End function
	.set _ZL23rocblas_trmm_lTx_kernelILi32ELb1EffKPKfKPfEv13rocblas_fill_17rocblas_diagonal_iiT2_lPT3_llS9_llPT4_lli.num_vgpr, 34
	.set _ZL23rocblas_trmm_lTx_kernelILi32ELb1EffKPKfKPfEv13rocblas_fill_17rocblas_diagonal_iiT2_lPT3_llS9_llPT4_lli.num_agpr, 0
	.set _ZL23rocblas_trmm_lTx_kernelILi32ELb1EffKPKfKPfEv13rocblas_fill_17rocblas_diagonal_iiT2_lPT3_llS9_llPT4_lli.numbered_sgpr, 36
	.set _ZL23rocblas_trmm_lTx_kernelILi32ELb1EffKPKfKPfEv13rocblas_fill_17rocblas_diagonal_iiT2_lPT3_llS9_llPT4_lli.num_named_barrier, 0
	.set _ZL23rocblas_trmm_lTx_kernelILi32ELb1EffKPKfKPfEv13rocblas_fill_17rocblas_diagonal_iiT2_lPT3_llS9_llPT4_lli.private_seg_size, 0
	.set _ZL23rocblas_trmm_lTx_kernelILi32ELb1EffKPKfKPfEv13rocblas_fill_17rocblas_diagonal_iiT2_lPT3_llS9_llPT4_lli.uses_vcc, 1
	.set _ZL23rocblas_trmm_lTx_kernelILi32ELb1EffKPKfKPfEv13rocblas_fill_17rocblas_diagonal_iiT2_lPT3_llS9_llPT4_lli.uses_flat_scratch, 0
	.set _ZL23rocblas_trmm_lTx_kernelILi32ELb1EffKPKfKPfEv13rocblas_fill_17rocblas_diagonal_iiT2_lPT3_llS9_llPT4_lli.has_dyn_sized_stack, 0
	.set _ZL23rocblas_trmm_lTx_kernelILi32ELb1EffKPKfKPfEv13rocblas_fill_17rocblas_diagonal_iiT2_lPT3_llS9_llPT4_lli.has_recursion, 0
	.set _ZL23rocblas_trmm_lTx_kernelILi32ELb1EffKPKfKPfEv13rocblas_fill_17rocblas_diagonal_iiT2_lPT3_llS9_llPT4_lli.has_indirect_call, 0
	.section	.AMDGPU.csdata,"",@progbits
; Kernel info:
; codeLenInByte = 1520
; TotalNumSgprs: 38
; NumVgprs: 34
; ScratchSize: 0
; MemoryBound: 0
; FloatMode: 240
; IeeeMode: 1
; LDSByteSize: 8192 bytes/workgroup (compile time only)
; SGPRBlocks: 0
; VGPRBlocks: 4
; NumSGPRsForWavesPerEU: 38
; NumVGPRsForWavesPerEU: 34
; Occupancy: 16
; WaveLimiterHint : 1
; COMPUTE_PGM_RSRC2:SCRATCH_EN: 0
; COMPUTE_PGM_RSRC2:USER_SGPR: 2
; COMPUTE_PGM_RSRC2:TRAP_HANDLER: 0
; COMPUTE_PGM_RSRC2:TGID_X_EN: 1
; COMPUTE_PGM_RSRC2:TGID_Y_EN: 0
; COMPUTE_PGM_RSRC2:TGID_Z_EN: 1
; COMPUTE_PGM_RSRC2:TIDIG_COMP_CNT: 1
	.section	.text._ZL23rocblas_trmm_rNx_kernelILi32EfPKfKS1_KPfEv13rocblas_fill_17rocblas_diagonal_iiT1_lPT2_llS9_llPT3_lli,"axG",@progbits,_ZL23rocblas_trmm_rNx_kernelILi32EfPKfKS1_KPfEv13rocblas_fill_17rocblas_diagonal_iiT1_lPT2_llS9_llPT3_lli,comdat
	.globl	_ZL23rocblas_trmm_rNx_kernelILi32EfPKfKS1_KPfEv13rocblas_fill_17rocblas_diagonal_iiT1_lPT2_llS9_llPT3_lli ; -- Begin function _ZL23rocblas_trmm_rNx_kernelILi32EfPKfKS1_KPfEv13rocblas_fill_17rocblas_diagonal_iiT1_lPT2_llS9_llPT3_lli
	.p2align	8
	.type	_ZL23rocblas_trmm_rNx_kernelILi32EfPKfKS1_KPfEv13rocblas_fill_17rocblas_diagonal_iiT1_lPT2_llS9_llPT3_lli,@function
_ZL23rocblas_trmm_rNx_kernelILi32EfPKfKS1_KPfEv13rocblas_fill_17rocblas_diagonal_iiT1_lPT2_llS9_llPT3_lli: ; @_ZL23rocblas_trmm_rNx_kernelILi32EfPKfKS1_KPfEv13rocblas_fill_17rocblas_diagonal_iiT1_lPT2_llS9_llPT3_lli
; %bb.0:
	s_load_b32 s28, s[0:1], 0x68
	s_lshr_b32 s2, ttmp7, 16
	s_wait_kmcnt 0x0
	s_cmp_ge_u32 s2, s28
	s_cbranch_scc1 .LBB150_19
; %bb.1:
	s_clause 0x3
	s_load_b128 s[24:27], s[0:1], 0x0
	s_load_b512 s[4:19], s[0:1], 0x10
	s_load_b128 s[20:23], s[0:1], 0x50
	s_load_b64 s[30:31], s[0:1], 0x60
	v_bfe_u32 v14, v0, 10, 10
	v_dual_mov_b32 v11, 0 :: v_dual_and_b32 v16, 0x3ff, v0
	s_delay_alu instid0(VALU_DEP_2) | instskip(NEXT) | instid1(VALU_DEP_2)
	v_dual_mov_b32 v15, 1.0 :: v_dual_lshlrev_b32 v0, 5, v14
	v_cmp_eq_u32_e32 vcc_lo, v14, v16
	v_lshl_add_u32 v13, v16, 2, 0x1000
	s_delay_alu instid0(VALU_DEP_3) | instskip(NEXT) | instid1(VALU_DEP_2)
	v_add_lshl_u32 v10, v0, v16, 2
	v_add_nc_u32_e32 v17, 0x400, v13
	v_add_nc_u32_e32 v18, 0x800, v13
	;; [unrolled: 1-line block ×3, first 2 shown]
	s_wait_kmcnt 0x0
	s_add_co_i32 s1, s26, -1
	v_mad_co_u64_u32 v[0:1], null, s10, v14, 0
	v_mad_co_u64_u32 v[2:3], null, s16, v14, 0
	s_ashr_i32 s3, s1, 31
	v_mad_co_u64_u32 v[4:5], null, s22, v14, 0
	s_lshr_b32 s3, s3, 27
	v_cmp_gt_i32_e64 s0, s27, v14
	s_add_co_i32 s3, s1, s3
	v_mad_co_u64_u32 v[6:7], null, s11, v14, v[1:2]
	s_ashr_i32 s10, s3, 5
	s_and_not1_b32 s3, s3, 31
	v_cmp_gt_i32_e64 s1, s27, v16
	s_sub_co_i32 s3, s26, s3
	s_wait_alu 0xfffe
	s_cmp_ge_i32 ttmp9, s10
	v_mad_co_u64_u32 v[7:8], null, s17, v14, v[3:4]
	s_cselect_b32 s3, s3, 32
	s_and_b32 s26, s0, s1
	v_cmp_gt_i32_e64 s1, s3, v16
	v_mad_co_u64_u32 v[8:9], null, s23, v14, v[5:6]
	s_lshl_b32 s16, ttmp9, 5
	v_dual_mov_b32 v3, v7 :: v_dual_add_nc_u32 v12, 0x1000, v10
	s_wait_alu 0xfffe
	s_ashr_i32 s17, s16, 31
	s_and_b32 s27, s0, s1
	s_cmp_eq_u32 s25, 0x84
	v_mov_b32_e32 v1, v6
	s_cselect_b32 s0, -1, 0
	v_cmp_gt_u32_e64 s1, v16, v14
	s_and_b32 s25, vcc_lo, s0
	v_cmp_lt_u32_e64 s0, v16, v14
	v_dual_mov_b32 v5, v8 :: v_dual_lshlrev_b32 v14, 7, v14
	v_lshlrev_b64_e32 v[0:1], 2, v[0:1]
	v_lshlrev_b64_e32 v[2:3], 2, v[2:3]
	v_lshlrev_b32_e32 v16, 2, v16
	s_cmp_lg_u32 s24, 0x79
	v_lshlrev_b64_e32 v[4:5], 2, v[4:5]
	s_cselect_b32 s24, -1, 0
	s_mov_b32 s3, 0
	s_lshl_b64 s[10:11], s[12:13], 2
	s_lshl_b64 s[12:13], s[18:19], 2
	s_wait_alu 0xfffe
	s_lshl_b64 s[16:17], s[16:17], 2
	s_lshl_b64 s[18:19], s[30:31], 2
	s_branch .LBB150_4
.LBB150_2:                              ;   in Loop: Header=BB150_4 Depth=1
	s_wait_alu 0xfffe
	s_or_b32 exec_lo, exec_lo, s22
.LBB150_3:                              ;   in Loop: Header=BB150_4 Depth=1
	s_add_co_i32 s2, s2, 0x10000
	s_wait_alu 0xfffe
	s_cmp_lt_u32 s2, s28
	s_cbranch_scc0 .LBB150_19
.LBB150_4:                              ; =>This Inner Loop Header: Depth=1
	s_mul_u64 s[22:23], s[6:7], s[2:3]
	s_wait_alu 0xfffe
	s_lshl_b64 s[22:23], s[22:23], 2
	s_wait_alu 0xfffe
	s_add_nc_u64 s[22:23], s[4:5], s[22:23]
	global_load_b32 v20, v11, s[22:23]
	s_wait_loadcnt 0x0
	v_cmp_eq_f32_e32 vcc_lo, 0, v20
	s_cbranch_vccnz .LBB150_3
; %bb.5:                                ;   in Loop: Header=BB150_4 Depth=1
	s_lshl_b64 s[22:23], s[2:3], 3
	s_wait_alu 0xfffe
	s_add_nc_u64 s[30:31], s[14:15], s[22:23]
	s_add_nc_u64 s[34:35], s[20:21], s[22:23]
	s_clause 0x1
	global_load_b64 v[8:9], v11, s[30:31]
	global_load_b64 v[6:7], v11, s[34:35]
	ds_store_b32 v10, v11
	ds_store_b32 v12, v11
	s_and_saveexec_b32 s29, s26
	s_cbranch_execnz .LBB150_10
; %bb.6:                                ;   in Loop: Header=BB150_4 Depth=1
	s_or_b32 exec_lo, exec_lo, s29
	s_and_saveexec_b32 s22, s27
	s_cbranch_execnz .LBB150_11
.LBB150_7:                              ;   in Loop: Header=BB150_4 Depth=1
	s_wait_alu 0xfffe
	s_or_b32 exec_lo, exec_lo, s22
	s_and_saveexec_b32 s22, s25
	s_cbranch_execnz .LBB150_12
.LBB150_8:                              ;   in Loop: Header=BB150_4 Depth=1
	s_wait_alu 0xfffe
	s_or_b32 exec_lo, exec_lo, s22
	s_delay_alu instid0(SALU_CYCLE_1)
	s_and_b32 vcc_lo, exec_lo, s24
	s_wait_alu 0xfffe
	s_cbranch_vccz .LBB150_13
.LBB150_9:                              ;   in Loop: Header=BB150_4 Depth=1
	s_and_b32 s22, s0, exec_lo
	s_cbranch_execz .LBB150_14
	s_branch .LBB150_15
.LBB150_10:                             ;   in Loop: Header=BB150_4 Depth=1
	s_add_nc_u64 s[22:23], s[8:9], s[22:23]
	global_load_b64 v[21:22], v11, s[22:23]
	s_wait_loadcnt 0x0
	v_add_co_u32 v21, vcc_lo, v21, s10
	s_wait_alu 0xfffd
	v_add_co_ci_u32_e64 v22, null, s11, v22, vcc_lo
	s_delay_alu instid0(VALU_DEP_2) | instskip(SKIP_1) | instid1(VALU_DEP_2)
	v_add_co_u32 v21, vcc_lo, v21, v0
	s_wait_alu 0xfffd
	v_add_co_ci_u32_e64 v22, null, v22, v1, vcc_lo
	s_delay_alu instid0(VALU_DEP_2) | instskip(SKIP_1) | instid1(VALU_DEP_2)
	v_add_co_u32 v21, vcc_lo, v21, v16
	s_wait_alu 0xfffd
	v_add_co_ci_u32_e64 v22, null, 0, v22, vcc_lo
	flat_load_b32 v21, v[21:22]
	s_wait_loadcnt_dscnt 0x0
	ds_store_b32 v10, v21
	s_or_b32 exec_lo, exec_lo, s29
	s_and_saveexec_b32 s22, s27
	s_cbranch_execz .LBB150_7
.LBB150_11:                             ;   in Loop: Header=BB150_4 Depth=1
	s_wait_loadcnt 0x1
	v_add_co_u32 v8, vcc_lo, v8, s12
	s_wait_alu 0xfffd
	v_add_co_ci_u32_e64 v9, null, s13, v9, vcc_lo
	s_delay_alu instid0(VALU_DEP_2) | instskip(SKIP_1) | instid1(VALU_DEP_2)
	v_add_co_u32 v8, vcc_lo, v8, s16
	s_wait_alu 0xfffd
	v_add_co_ci_u32_e64 v9, null, s17, v9, vcc_lo
	s_delay_alu instid0(VALU_DEP_2) | instskip(SKIP_1) | instid1(VALU_DEP_2)
	;; [unrolled: 4-line block ×3, first 2 shown]
	v_add_co_u32 v8, vcc_lo, v8, v16
	s_wait_alu 0xfffd
	v_add_co_ci_u32_e64 v9, null, 0, v9, vcc_lo
	flat_load_b32 v8, v[8:9]
	s_wait_loadcnt_dscnt 0x0
	ds_store_b32 v12, v8
	s_wait_alu 0xfffe
	s_or_b32 exec_lo, exec_lo, s22
	s_and_saveexec_b32 s22, s25
	s_cbranch_execz .LBB150_8
.LBB150_12:                             ;   in Loop: Header=BB150_4 Depth=1
	ds_store_b32 v10, v15
	s_wait_alu 0xfffe
	s_or_b32 exec_lo, exec_lo, s22
	s_delay_alu instid0(SALU_CYCLE_1)
	s_and_b32 vcc_lo, exec_lo, s24
	s_wait_alu 0xfffe
	s_cbranch_vccnz .LBB150_9
.LBB150_13:                             ;   in Loop: Header=BB150_4 Depth=1
	s_mov_b32 s22, 0
.LBB150_14:                             ;   in Loop: Header=BB150_4 Depth=1
	s_wait_alu 0xfffe
	s_and_not1_b32 s22, s22, exec_lo
	s_and_b32 s23, s1, exec_lo
	s_wait_alu 0xfffe
	s_or_b32 s22, s22, s23
.LBB150_15:                             ;   in Loop: Header=BB150_4 Depth=1
	s_wait_alu 0xfffe
	s_and_saveexec_b32 s23, s22
; %bb.16:                               ;   in Loop: Header=BB150_4 Depth=1
	ds_store_b32 v10, v11
; %bb.17:                               ;   in Loop: Header=BB150_4 Depth=1
	s_wait_alu 0xfffe
	s_or_b32 exec_lo, exec_lo, s23
	s_wait_loadcnt_dscnt 0x0
	s_barrier_signal -1
	s_barrier_wait -1
	global_inv scope:SCOPE_SE
	s_and_saveexec_b32 s22, s27
	s_cbranch_execz .LBB150_2
; %bb.18:                               ;   in Loop: Header=BB150_4 Depth=1
	ds_load_2addr_b32 v[8:9], v13 offset1:32
	ds_load_b128 v[21:24], v14
	ds_load_2addr_b32 v[29:30], v13 offset0:64 offset1:96
	ds_load_b128 v[25:28], v14 offset:16
	ds_load_2addr_b32 v[31:32], v13 offset0:128 offset1:160
	v_add_co_u32 v6, vcc_lo, v6, s18
	s_wait_alu 0xfffd
	v_add_co_ci_u32_e64 v7, null, s19, v7, vcc_lo
	s_delay_alu instid0(VALU_DEP_2) | instskip(SKIP_1) | instid1(VALU_DEP_2)
	v_add_co_u32 v6, vcc_lo, v6, s16
	s_wait_alu 0xfffd
	v_add_co_ci_u32_e64 v7, null, s17, v7, vcc_lo
	s_delay_alu instid0(VALU_DEP_2) | instskip(SKIP_1) | instid1(VALU_DEP_2)
	v_add_co_u32 v6, vcc_lo, v6, v4
	s_wait_alu 0xfffd
	v_add_co_ci_u32_e64 v7, null, v7, v5, vcc_lo
	s_delay_alu instid0(VALU_DEP_2) | instskip(SKIP_4) | instid1(VALU_DEP_2)
	v_add_co_u32 v6, vcc_lo, v6, v16
	s_wait_dscnt 0x3
	v_fma_f32 v33, v8, v21, 0
	s_wait_alu 0xfffd
	v_add_co_ci_u32_e64 v7, null, 0, v7, vcc_lo
	v_fmac_f32_e32 v33, v9, v22
	ds_load_2addr_b32 v[8:9], v13 offset0:192 offset1:224
	s_wait_dscnt 0x3
	v_fmac_f32_e32 v33, v29, v23
	s_delay_alu instid0(VALU_DEP_1) | instskip(SKIP_4) | instid1(VALU_DEP_1)
	v_fmac_f32_e32 v33, v30, v24
	ds_load_b128 v[21:24], v14 offset:32
	ds_load_2addr_b32 v[29:30], v17 offset1:32
	s_wait_dscnt 0x3
	v_fmac_f32_e32 v33, v31, v25
	v_fmac_f32_e32 v33, v32, v26
	ds_load_2addr_b32 v[31:32], v17 offset0:64 offset1:96
	s_wait_dscnt 0x3
	v_fmac_f32_e32 v33, v8, v27
	s_delay_alu instid0(VALU_DEP_1) | instskip(SKIP_4) | instid1(VALU_DEP_1)
	v_fmac_f32_e32 v33, v9, v28
	ds_load_b128 v[25:28], v14 offset:48
	ds_load_2addr_b32 v[8:9], v17 offset0:128 offset1:160
	s_wait_dscnt 0x3
	v_fmac_f32_e32 v33, v29, v21
	v_fmac_f32_e32 v33, v30, v22
	ds_load_2addr_b32 v[29:30], v17 offset0:192 offset1:224
	s_wait_dscnt 0x3
	v_fmac_f32_e32 v33, v31, v23
	s_delay_alu instid0(VALU_DEP_1) | instskip(SKIP_4) | instid1(VALU_DEP_1)
	v_fmac_f32_e32 v33, v32, v24
	ds_load_2addr_b32 v[31:32], v18 offset1:32
	ds_load_b128 v[21:24], v14 offset:64
	s_wait_dscnt 0x3
	v_fmac_f32_e32 v33, v8, v25
	v_fmac_f32_e32 v33, v9, v26
	ds_load_2addr_b32 v[8:9], v18 offset0:64 offset1:96
	s_wait_dscnt 0x3
	v_fmac_f32_e32 v33, v29, v27
	s_delay_alu instid0(VALU_DEP_1) | instskip(SKIP_4) | instid1(VALU_DEP_1)
	v_fmac_f32_e32 v33, v30, v28
	ds_load_2addr_b32 v[29:30], v18 offset0:128 offset1:160
	ds_load_b128 v[25:28], v14 offset:80
	s_wait_dscnt 0x3
	v_fmac_f32_e32 v33, v31, v21
	v_fmac_f32_e32 v33, v32, v22
	ds_load_2addr_b32 v[31:32], v18 offset0:192 offset1:224
	s_wait_dscnt 0x3
	v_fmac_f32_e32 v33, v8, v23
	s_delay_alu instid0(VALU_DEP_1) | instskip(SKIP_4) | instid1(VALU_DEP_1)
	v_fmac_f32_e32 v33, v9, v24
	ds_load_2addr_b32 v[8:9], v19 offset1:32
	ds_load_b128 v[21:24], v14 offset:96
	s_wait_dscnt 0x3
	v_fmac_f32_e32 v33, v29, v25
	v_fmac_f32_e32 v33, v30, v26
	ds_load_2addr_b32 v[29:30], v19 offset0:64 offset1:96
	s_wait_dscnt 0x3
	v_fmac_f32_e32 v33, v31, v27
	s_delay_alu instid0(VALU_DEP_1) | instskip(SKIP_4) | instid1(VALU_DEP_1)
	v_fmac_f32_e32 v33, v32, v28
	ds_load_2addr_b32 v[31:32], v19 offset0:128 offset1:160
	ds_load_b128 v[25:28], v14 offset:112
	s_wait_dscnt 0x3
	v_fmac_f32_e32 v33, v8, v21
	v_fmac_f32_e32 v33, v9, v22
	ds_load_2addr_b32 v[8:9], v19 offset0:192 offset1:224
	s_wait_dscnt 0x3
	v_fmac_f32_e32 v33, v29, v23
	s_delay_alu instid0(VALU_DEP_1) | instskip(SKIP_1) | instid1(VALU_DEP_1)
	v_fmac_f32_e32 v33, v30, v24
	s_wait_dscnt 0x1
	v_fmac_f32_e32 v33, v31, v25
	s_delay_alu instid0(VALU_DEP_1) | instskip(SKIP_1) | instid1(VALU_DEP_1)
	v_fmac_f32_e32 v33, v32, v26
	s_wait_dscnt 0x0
	v_fmac_f32_e32 v33, v8, v27
	s_delay_alu instid0(VALU_DEP_1) | instskip(NEXT) | instid1(VALU_DEP_1)
	v_fmac_f32_e32 v33, v9, v28
	v_mul_f32_e32 v8, v20, v33
	flat_store_b32 v[6:7], v8
	s_branch .LBB150_2
.LBB150_19:
	s_endpgm
	.section	.rodata,"a",@progbits
	.p2align	6, 0x0
	.amdhsa_kernel _ZL23rocblas_trmm_rNx_kernelILi32EfPKfKS1_KPfEv13rocblas_fill_17rocblas_diagonal_iiT1_lPT2_llS9_llPT3_lli
		.amdhsa_group_segment_fixed_size 8192
		.amdhsa_private_segment_fixed_size 0
		.amdhsa_kernarg_size 108
		.amdhsa_user_sgpr_count 2
		.amdhsa_user_sgpr_dispatch_ptr 0
		.amdhsa_user_sgpr_queue_ptr 0
		.amdhsa_user_sgpr_kernarg_segment_ptr 1
		.amdhsa_user_sgpr_dispatch_id 0
		.amdhsa_user_sgpr_private_segment_size 0
		.amdhsa_wavefront_size32 1
		.amdhsa_uses_dynamic_stack 0
		.amdhsa_enable_private_segment 0
		.amdhsa_system_sgpr_workgroup_id_x 1
		.amdhsa_system_sgpr_workgroup_id_y 0
		.amdhsa_system_sgpr_workgroup_id_z 1
		.amdhsa_system_sgpr_workgroup_info 0
		.amdhsa_system_vgpr_workitem_id 1
		.amdhsa_next_free_vgpr 34
		.amdhsa_next_free_sgpr 36
		.amdhsa_reserve_vcc 1
		.amdhsa_float_round_mode_32 0
		.amdhsa_float_round_mode_16_64 0
		.amdhsa_float_denorm_mode_32 3
		.amdhsa_float_denorm_mode_16_64 3
		.amdhsa_fp16_overflow 0
		.amdhsa_workgroup_processor_mode 1
		.amdhsa_memory_ordered 1
		.amdhsa_forward_progress 1
		.amdhsa_inst_pref_size 12
		.amdhsa_round_robin_scheduling 0
		.amdhsa_exception_fp_ieee_invalid_op 0
		.amdhsa_exception_fp_denorm_src 0
		.amdhsa_exception_fp_ieee_div_zero 0
		.amdhsa_exception_fp_ieee_overflow 0
		.amdhsa_exception_fp_ieee_underflow 0
		.amdhsa_exception_fp_ieee_inexact 0
		.amdhsa_exception_int_div_zero 0
	.end_amdhsa_kernel
	.section	.text._ZL23rocblas_trmm_rNx_kernelILi32EfPKfKS1_KPfEv13rocblas_fill_17rocblas_diagonal_iiT1_lPT2_llS9_llPT3_lli,"axG",@progbits,_ZL23rocblas_trmm_rNx_kernelILi32EfPKfKS1_KPfEv13rocblas_fill_17rocblas_diagonal_iiT1_lPT2_llS9_llPT3_lli,comdat
.Lfunc_end150:
	.size	_ZL23rocblas_trmm_rNx_kernelILi32EfPKfKS1_KPfEv13rocblas_fill_17rocblas_diagonal_iiT1_lPT2_llS9_llPT3_lli, .Lfunc_end150-_ZL23rocblas_trmm_rNx_kernelILi32EfPKfKS1_KPfEv13rocblas_fill_17rocblas_diagonal_iiT1_lPT2_llS9_llPT3_lli
                                        ; -- End function
	.set _ZL23rocblas_trmm_rNx_kernelILi32EfPKfKS1_KPfEv13rocblas_fill_17rocblas_diagonal_iiT1_lPT2_llS9_llPT3_lli.num_vgpr, 34
	.set _ZL23rocblas_trmm_rNx_kernelILi32EfPKfKS1_KPfEv13rocblas_fill_17rocblas_diagonal_iiT1_lPT2_llS9_llPT3_lli.num_agpr, 0
	.set _ZL23rocblas_trmm_rNx_kernelILi32EfPKfKS1_KPfEv13rocblas_fill_17rocblas_diagonal_iiT1_lPT2_llS9_llPT3_lli.numbered_sgpr, 36
	.set _ZL23rocblas_trmm_rNx_kernelILi32EfPKfKS1_KPfEv13rocblas_fill_17rocblas_diagonal_iiT1_lPT2_llS9_llPT3_lli.num_named_barrier, 0
	.set _ZL23rocblas_trmm_rNx_kernelILi32EfPKfKS1_KPfEv13rocblas_fill_17rocblas_diagonal_iiT1_lPT2_llS9_llPT3_lli.private_seg_size, 0
	.set _ZL23rocblas_trmm_rNx_kernelILi32EfPKfKS1_KPfEv13rocblas_fill_17rocblas_diagonal_iiT1_lPT2_llS9_llPT3_lli.uses_vcc, 1
	.set _ZL23rocblas_trmm_rNx_kernelILi32EfPKfKS1_KPfEv13rocblas_fill_17rocblas_diagonal_iiT1_lPT2_llS9_llPT3_lli.uses_flat_scratch, 0
	.set _ZL23rocblas_trmm_rNx_kernelILi32EfPKfKS1_KPfEv13rocblas_fill_17rocblas_diagonal_iiT1_lPT2_llS9_llPT3_lli.has_dyn_sized_stack, 0
	.set _ZL23rocblas_trmm_rNx_kernelILi32EfPKfKS1_KPfEv13rocblas_fill_17rocblas_diagonal_iiT1_lPT2_llS9_llPT3_lli.has_recursion, 0
	.set _ZL23rocblas_trmm_rNx_kernelILi32EfPKfKS1_KPfEv13rocblas_fill_17rocblas_diagonal_iiT1_lPT2_llS9_llPT3_lli.has_indirect_call, 0
	.section	.AMDGPU.csdata,"",@progbits
; Kernel info:
; codeLenInByte = 1508
; TotalNumSgprs: 38
; NumVgprs: 34
; ScratchSize: 0
; MemoryBound: 0
; FloatMode: 240
; IeeeMode: 1
; LDSByteSize: 8192 bytes/workgroup (compile time only)
; SGPRBlocks: 0
; VGPRBlocks: 4
; NumSGPRsForWavesPerEU: 38
; NumVGPRsForWavesPerEU: 34
; Occupancy: 16
; WaveLimiterHint : 1
; COMPUTE_PGM_RSRC2:SCRATCH_EN: 0
; COMPUTE_PGM_RSRC2:USER_SGPR: 2
; COMPUTE_PGM_RSRC2:TRAP_HANDLER: 0
; COMPUTE_PGM_RSRC2:TGID_X_EN: 1
; COMPUTE_PGM_RSRC2:TGID_Y_EN: 0
; COMPUTE_PGM_RSRC2:TGID_Z_EN: 1
; COMPUTE_PGM_RSRC2:TIDIG_COMP_CNT: 1
	.section	.text._ZL23rocblas_trmm_rNx_kernelILi32EffKPKfKPfEv13rocblas_fill_17rocblas_diagonal_iiT1_lPT2_llS9_llPT3_lli,"axG",@progbits,_ZL23rocblas_trmm_rNx_kernelILi32EffKPKfKPfEv13rocblas_fill_17rocblas_diagonal_iiT1_lPT2_llS9_llPT3_lli,comdat
	.globl	_ZL23rocblas_trmm_rNx_kernelILi32EffKPKfKPfEv13rocblas_fill_17rocblas_diagonal_iiT1_lPT2_llS9_llPT3_lli ; -- Begin function _ZL23rocblas_trmm_rNx_kernelILi32EffKPKfKPfEv13rocblas_fill_17rocblas_diagonal_iiT1_lPT2_llS9_llPT3_lli
	.p2align	8
	.type	_ZL23rocblas_trmm_rNx_kernelILi32EffKPKfKPfEv13rocblas_fill_17rocblas_diagonal_iiT1_lPT2_llS9_llPT3_lli,@function
_ZL23rocblas_trmm_rNx_kernelILi32EffKPKfKPfEv13rocblas_fill_17rocblas_diagonal_iiT1_lPT2_llS9_llPT3_lli: ; @_ZL23rocblas_trmm_rNx_kernelILi32EffKPKfKPfEv13rocblas_fill_17rocblas_diagonal_iiT1_lPT2_llS9_llPT3_lli
; %bb.0:
	s_load_b32 s26, s[0:1], 0x68
	s_lshr_b32 s24, ttmp7, 16
	s_wait_kmcnt 0x0
	s_cmp_ge_u32 s24, s26
	s_cbranch_scc1 .LBB151_19
; %bb.1:
	s_clause 0x2
	s_load_b32 s27, s[0:1], 0x10
	s_load_b128 s[20:23], s[0:1], 0x0
	s_load_b512 s[4:19], s[0:1], 0x20
	v_bfe_u32 v14, v0, 10, 10
	v_dual_mov_b32 v11, 0 :: v_dual_and_b32 v16, 0x3ff, v0
	s_load_b64 s[30:31], s[0:1], 0x60
	s_delay_alu instid0(VALU_DEP_2) | instskip(NEXT) | instid1(VALU_DEP_2)
	v_dual_mov_b32 v15, 1.0 :: v_dual_lshlrev_b32 v0, 5, v14
	v_cmp_eq_u32_e32 vcc_lo, v14, v16
	v_cmp_lt_u32_e64 s0, v16, v14
	v_lshl_add_u32 v13, v16, 2, 0x1000
	s_mov_b32 s25, 0
	v_add_lshl_u32 v10, v0, v16, 2
	s_delay_alu instid0(VALU_DEP_2)
	v_add_nc_u32_e32 v17, 0x400, v13
	v_add_nc_u32_e32 v18, 0x800, v13
	v_add_nc_u32_e32 v19, 0xc00, v13
	s_wait_kmcnt 0x0
	s_cmp_neq_f32 s27, 0
	v_cmp_gt_i32_e64 s1, s23, v14
	v_mad_co_u64_u32 v[0:1], null, s6, v14, 0
	s_cselect_b32 s28, -1, 0
	s_add_co_i32 s3, s22, -1
	v_mad_co_u64_u32 v[2:3], null, s12, v14, 0
	s_ashr_i32 s6, s3, 31
	v_mad_co_u64_u32 v[4:5], null, s18, v14, 0
	s_wait_alu 0xfffe
	s_lshr_b32 s6, s6, 27
	v_cmp_gt_i32_e64 s2, s23, v16
	s_wait_alu 0xfffe
	s_add_co_i32 s3, s3, s6
	v_mad_co_u64_u32 v[6:7], null, s7, v14, v[1:2]
	s_and_b32 s6, s3, 0xffffffe0
	s_ashr_i32 s3, s3, 5
	s_wait_alu 0xfffe
	s_sub_co_i32 s6, s22, s6
	s_cmp_ge_i32 ttmp9, s3
	v_mad_co_u64_u32 v[7:8], null, s13, v14, v[3:4]
	s_wait_alu 0xfffe
	s_cselect_b32 s3, s6, 32
	v_mad_co_u64_u32 v[8:9], null, s19, v14, v[5:6]
	v_cmp_gt_i32_e64 s3, s3, v16
	s_lshl_b32 s12, ttmp9, 5
	s_and_b32 s18, s1, s2
	s_wait_alu 0xfffe
	s_ashr_i32 s13, s12, 31
	v_dual_mov_b32 v3, v7 :: v_dual_add_nc_u32 v12, 0x1000, v10
	s_and_b32 s22, s1, s3
	s_cmp_eq_u32 s21, 0x84
	v_mov_b32_e32 v1, v6
	s_cselect_b32 s1, -1, 0
	v_mov_b32_e32 v5, v8
	s_and_b32 s19, vcc_lo, s1
	v_cmp_gt_u32_e64 s1, v16, v14
	v_lshlrev_b32_e32 v14, 7, v14
	v_lshlrev_b64_e32 v[0:1], 2, v[0:1]
	v_lshlrev_b64_e32 v[2:3], 2, v[2:3]
	;; [unrolled: 1-line block ×3, first 2 shown]
	v_lshlrev_b32_e32 v16, 2, v16
	s_cmp_lg_u32 s20, 0x79
	s_cselect_b32 s20, -1, 0
	s_lshl_b64 s[2:3], s[8:9], 2
	s_lshl_b64 s[6:7], s[14:15], 2
	s_wait_alu 0xfffe
	s_lshl_b64 s[8:9], s[12:13], 2
	s_lshl_b64 s[12:13], s[30:31], 2
	s_branch .LBB151_4
.LBB151_2:                              ;   in Loop: Header=BB151_4 Depth=1
	s_or_b32 exec_lo, exec_lo, s14
.LBB151_3:                              ;   in Loop: Header=BB151_4 Depth=1
	s_add_co_i32 s24, s24, 0x10000
	s_delay_alu instid0(SALU_CYCLE_1)
	s_cmp_lt_u32 s24, s26
	s_cbranch_scc0 .LBB151_19
.LBB151_4:                              ; =>This Inner Loop Header: Depth=1
	s_and_not1_b32 vcc_lo, exec_lo, s28
	s_wait_alu 0xfffe
	s_cbranch_vccnz .LBB151_3
; %bb.5:                                ;   in Loop: Header=BB151_4 Depth=1
	s_lshl_b64 s[14:15], s[24:25], 3
	s_delay_alu instid0(SALU_CYCLE_1)
	s_add_nc_u64 s[30:31], s[10:11], s[14:15]
	s_add_nc_u64 s[34:35], s[16:17], s[14:15]
	s_clause 0x1
	global_load_b64 v[8:9], v11, s[30:31]
	global_load_b64 v[6:7], v11, s[34:35]
	ds_store_b32 v10, v11
	ds_store_b32 v12, v11
	s_and_saveexec_b32 s21, s18
	s_cbranch_execnz .LBB151_10
; %bb.6:                                ;   in Loop: Header=BB151_4 Depth=1
	s_or_b32 exec_lo, exec_lo, s21
	s_and_saveexec_b32 s14, s22
	s_cbranch_execnz .LBB151_11
.LBB151_7:                              ;   in Loop: Header=BB151_4 Depth=1
	s_or_b32 exec_lo, exec_lo, s14
	s_and_saveexec_b32 s14, s19
	s_cbranch_execnz .LBB151_12
.LBB151_8:                              ;   in Loop: Header=BB151_4 Depth=1
	s_or_b32 exec_lo, exec_lo, s14
	s_delay_alu instid0(SALU_CYCLE_1)
	s_and_b32 vcc_lo, exec_lo, s20
	s_wait_alu 0xfffe
	s_cbranch_vccz .LBB151_13
.LBB151_9:                              ;   in Loop: Header=BB151_4 Depth=1
	s_and_b32 s14, s0, exec_lo
	s_cbranch_execz .LBB151_14
	s_branch .LBB151_15
.LBB151_10:                             ;   in Loop: Header=BB151_4 Depth=1
	s_add_nc_u64 s[14:15], s[4:5], s[14:15]
	global_load_b64 v[20:21], v11, s[14:15]
	s_wait_loadcnt 0x0
	v_add_co_u32 v20, vcc_lo, v20, s2
	s_wait_alu 0xfffd
	v_add_co_ci_u32_e64 v21, null, s3, v21, vcc_lo
	s_delay_alu instid0(VALU_DEP_2) | instskip(SKIP_1) | instid1(VALU_DEP_2)
	v_add_co_u32 v20, vcc_lo, v20, v0
	s_wait_alu 0xfffd
	v_add_co_ci_u32_e64 v21, null, v21, v1, vcc_lo
	s_delay_alu instid0(VALU_DEP_2) | instskip(SKIP_1) | instid1(VALU_DEP_2)
	v_add_co_u32 v20, vcc_lo, v20, v16
	s_wait_alu 0xfffd
	v_add_co_ci_u32_e64 v21, null, 0, v21, vcc_lo
	flat_load_b32 v20, v[20:21]
	s_wait_loadcnt_dscnt 0x0
	ds_store_b32 v10, v20
	s_or_b32 exec_lo, exec_lo, s21
	s_and_saveexec_b32 s14, s22
	s_cbranch_execz .LBB151_7
.LBB151_11:                             ;   in Loop: Header=BB151_4 Depth=1
	s_wait_loadcnt 0x1
	v_add_co_u32 v8, vcc_lo, v8, s6
	s_wait_alu 0xfffd
	v_add_co_ci_u32_e64 v9, null, s7, v9, vcc_lo
	s_delay_alu instid0(VALU_DEP_2) | instskip(SKIP_1) | instid1(VALU_DEP_2)
	v_add_co_u32 v8, vcc_lo, v8, s8
	s_wait_alu 0xfffd
	v_add_co_ci_u32_e64 v9, null, s9, v9, vcc_lo
	s_delay_alu instid0(VALU_DEP_2) | instskip(SKIP_1) | instid1(VALU_DEP_2)
	;; [unrolled: 4-line block ×3, first 2 shown]
	v_add_co_u32 v8, vcc_lo, v8, v16
	s_wait_alu 0xfffd
	v_add_co_ci_u32_e64 v9, null, 0, v9, vcc_lo
	flat_load_b32 v8, v[8:9]
	s_wait_loadcnt_dscnt 0x0
	ds_store_b32 v12, v8
	s_or_b32 exec_lo, exec_lo, s14
	s_and_saveexec_b32 s14, s19
	s_cbranch_execz .LBB151_8
.LBB151_12:                             ;   in Loop: Header=BB151_4 Depth=1
	ds_store_b32 v10, v15
	s_or_b32 exec_lo, exec_lo, s14
	s_delay_alu instid0(SALU_CYCLE_1)
	s_and_b32 vcc_lo, exec_lo, s20
	s_wait_alu 0xfffe
	s_cbranch_vccnz .LBB151_9
.LBB151_13:                             ;   in Loop: Header=BB151_4 Depth=1
	s_mov_b32 s14, 0
.LBB151_14:                             ;   in Loop: Header=BB151_4 Depth=1
	s_delay_alu instid0(SALU_CYCLE_1) | instskip(SKIP_1) | instid1(SALU_CYCLE_1)
	s_and_not1_b32 s14, s14, exec_lo
	s_and_b32 s15, s1, exec_lo
	s_or_b32 s14, s14, s15
.LBB151_15:                             ;   in Loop: Header=BB151_4 Depth=1
	s_delay_alu instid0(SALU_CYCLE_1)
	s_and_saveexec_b32 s15, s14
; %bb.16:                               ;   in Loop: Header=BB151_4 Depth=1
	ds_store_b32 v10, v11
; %bb.17:                               ;   in Loop: Header=BB151_4 Depth=1
	s_or_b32 exec_lo, exec_lo, s15
	s_wait_loadcnt_dscnt 0x0
	s_barrier_signal -1
	s_barrier_wait -1
	global_inv scope:SCOPE_SE
	s_and_saveexec_b32 s14, s22
	s_cbranch_execz .LBB151_2
; %bb.18:                               ;   in Loop: Header=BB151_4 Depth=1
	ds_load_2addr_b32 v[8:9], v13 offset1:32
	ds_load_b128 v[20:23], v14
	ds_load_2addr_b32 v[28:29], v13 offset0:64 offset1:96
	ds_load_b128 v[24:27], v14 offset:16
	ds_load_2addr_b32 v[30:31], v13 offset0:128 offset1:160
	s_wait_alu 0xfffe
	v_add_co_u32 v6, vcc_lo, v6, s12
	s_wait_alu 0xfffd
	v_add_co_ci_u32_e64 v7, null, s13, v7, vcc_lo
	s_delay_alu instid0(VALU_DEP_2) | instskip(SKIP_1) | instid1(VALU_DEP_2)
	v_add_co_u32 v6, vcc_lo, v6, s8
	s_wait_alu 0xfffd
	v_add_co_ci_u32_e64 v7, null, s9, v7, vcc_lo
	s_delay_alu instid0(VALU_DEP_2) | instskip(SKIP_1) | instid1(VALU_DEP_2)
	v_add_co_u32 v6, vcc_lo, v6, v4
	s_wait_alu 0xfffd
	v_add_co_ci_u32_e64 v7, null, v7, v5, vcc_lo
	s_delay_alu instid0(VALU_DEP_2) | instskip(SKIP_4) | instid1(VALU_DEP_2)
	v_add_co_u32 v6, vcc_lo, v6, v16
	s_wait_dscnt 0x3
	v_fma_f32 v32, v8, v20, 0
	s_wait_alu 0xfffd
	v_add_co_ci_u32_e64 v7, null, 0, v7, vcc_lo
	v_fmac_f32_e32 v32, v9, v21
	ds_load_2addr_b32 v[8:9], v13 offset0:192 offset1:224
	s_wait_dscnt 0x3
	v_fmac_f32_e32 v32, v28, v22
	s_delay_alu instid0(VALU_DEP_1) | instskip(SKIP_4) | instid1(VALU_DEP_1)
	v_fmac_f32_e32 v32, v29, v23
	ds_load_b128 v[20:23], v14 offset:32
	ds_load_2addr_b32 v[28:29], v17 offset1:32
	s_wait_dscnt 0x3
	v_fmac_f32_e32 v32, v30, v24
	v_fmac_f32_e32 v32, v31, v25
	ds_load_2addr_b32 v[30:31], v17 offset0:64 offset1:96
	s_wait_dscnt 0x3
	v_fmac_f32_e32 v32, v8, v26
	s_delay_alu instid0(VALU_DEP_1) | instskip(SKIP_4) | instid1(VALU_DEP_1)
	v_fmac_f32_e32 v32, v9, v27
	ds_load_b128 v[24:27], v14 offset:48
	ds_load_2addr_b32 v[8:9], v17 offset0:128 offset1:160
	s_wait_dscnt 0x3
	v_fmac_f32_e32 v32, v28, v20
	v_fmac_f32_e32 v32, v29, v21
	ds_load_2addr_b32 v[28:29], v17 offset0:192 offset1:224
	s_wait_dscnt 0x3
	v_fmac_f32_e32 v32, v30, v22
	s_delay_alu instid0(VALU_DEP_1) | instskip(SKIP_4) | instid1(VALU_DEP_1)
	v_fmac_f32_e32 v32, v31, v23
	ds_load_2addr_b32 v[30:31], v18 offset1:32
	ds_load_b128 v[20:23], v14 offset:64
	s_wait_dscnt 0x3
	v_fmac_f32_e32 v32, v8, v24
	v_fmac_f32_e32 v32, v9, v25
	ds_load_2addr_b32 v[8:9], v18 offset0:64 offset1:96
	s_wait_dscnt 0x3
	v_fmac_f32_e32 v32, v28, v26
	s_delay_alu instid0(VALU_DEP_1) | instskip(SKIP_4) | instid1(VALU_DEP_1)
	v_fmac_f32_e32 v32, v29, v27
	ds_load_2addr_b32 v[28:29], v18 offset0:128 offset1:160
	ds_load_b128 v[24:27], v14 offset:80
	s_wait_dscnt 0x3
	v_fmac_f32_e32 v32, v30, v20
	v_fmac_f32_e32 v32, v31, v21
	ds_load_2addr_b32 v[30:31], v18 offset0:192 offset1:224
	s_wait_dscnt 0x3
	v_fmac_f32_e32 v32, v8, v22
	s_delay_alu instid0(VALU_DEP_1) | instskip(SKIP_4) | instid1(VALU_DEP_1)
	v_fmac_f32_e32 v32, v9, v23
	ds_load_2addr_b32 v[8:9], v19 offset1:32
	ds_load_b128 v[20:23], v14 offset:96
	s_wait_dscnt 0x3
	v_fmac_f32_e32 v32, v28, v24
	v_fmac_f32_e32 v32, v29, v25
	ds_load_2addr_b32 v[28:29], v19 offset0:64 offset1:96
	s_wait_dscnt 0x3
	v_fmac_f32_e32 v32, v30, v26
	s_delay_alu instid0(VALU_DEP_1) | instskip(SKIP_4) | instid1(VALU_DEP_1)
	v_fmac_f32_e32 v32, v31, v27
	ds_load_2addr_b32 v[30:31], v19 offset0:128 offset1:160
	ds_load_b128 v[24:27], v14 offset:112
	s_wait_dscnt 0x3
	v_fmac_f32_e32 v32, v8, v20
	v_fmac_f32_e32 v32, v9, v21
	ds_load_2addr_b32 v[8:9], v19 offset0:192 offset1:224
	s_wait_dscnt 0x3
	v_fmac_f32_e32 v32, v28, v22
	s_delay_alu instid0(VALU_DEP_1) | instskip(SKIP_1) | instid1(VALU_DEP_1)
	v_fmac_f32_e32 v32, v29, v23
	s_wait_dscnt 0x1
	v_fmac_f32_e32 v32, v30, v24
	s_delay_alu instid0(VALU_DEP_1) | instskip(SKIP_1) | instid1(VALU_DEP_1)
	v_fmac_f32_e32 v32, v31, v25
	s_wait_dscnt 0x0
	v_fmac_f32_e32 v32, v8, v26
	s_delay_alu instid0(VALU_DEP_1) | instskip(NEXT) | instid1(VALU_DEP_1)
	v_fmac_f32_e32 v32, v9, v27
	v_mul_f32_e32 v8, s27, v32
	flat_store_b32 v[6:7], v8
	s_branch .LBB151_2
.LBB151_19:
	s_endpgm
	.section	.rodata,"a",@progbits
	.p2align	6, 0x0
	.amdhsa_kernel _ZL23rocblas_trmm_rNx_kernelILi32EffKPKfKPfEv13rocblas_fill_17rocblas_diagonal_iiT1_lPT2_llS9_llPT3_lli
		.amdhsa_group_segment_fixed_size 8192
		.amdhsa_private_segment_fixed_size 0
		.amdhsa_kernarg_size 108
		.amdhsa_user_sgpr_count 2
		.amdhsa_user_sgpr_dispatch_ptr 0
		.amdhsa_user_sgpr_queue_ptr 0
		.amdhsa_user_sgpr_kernarg_segment_ptr 1
		.amdhsa_user_sgpr_dispatch_id 0
		.amdhsa_user_sgpr_private_segment_size 0
		.amdhsa_wavefront_size32 1
		.amdhsa_uses_dynamic_stack 0
		.amdhsa_enable_private_segment 0
		.amdhsa_system_sgpr_workgroup_id_x 1
		.amdhsa_system_sgpr_workgroup_id_y 0
		.amdhsa_system_sgpr_workgroup_id_z 1
		.amdhsa_system_sgpr_workgroup_info 0
		.amdhsa_system_vgpr_workitem_id 1
		.amdhsa_next_free_vgpr 33
		.amdhsa_next_free_sgpr 36
		.amdhsa_reserve_vcc 1
		.amdhsa_float_round_mode_32 0
		.amdhsa_float_round_mode_16_64 0
		.amdhsa_float_denorm_mode_32 3
		.amdhsa_float_denorm_mode_16_64 3
		.amdhsa_fp16_overflow 0
		.amdhsa_workgroup_processor_mode 1
		.amdhsa_memory_ordered 1
		.amdhsa_forward_progress 1
		.amdhsa_inst_pref_size 12
		.amdhsa_round_robin_scheduling 0
		.amdhsa_exception_fp_ieee_invalid_op 0
		.amdhsa_exception_fp_denorm_src 0
		.amdhsa_exception_fp_ieee_div_zero 0
		.amdhsa_exception_fp_ieee_overflow 0
		.amdhsa_exception_fp_ieee_underflow 0
		.amdhsa_exception_fp_ieee_inexact 0
		.amdhsa_exception_int_div_zero 0
	.end_amdhsa_kernel
	.section	.text._ZL23rocblas_trmm_rNx_kernelILi32EffKPKfKPfEv13rocblas_fill_17rocblas_diagonal_iiT1_lPT2_llS9_llPT3_lli,"axG",@progbits,_ZL23rocblas_trmm_rNx_kernelILi32EffKPKfKPfEv13rocblas_fill_17rocblas_diagonal_iiT1_lPT2_llS9_llPT3_lli,comdat
.Lfunc_end151:
	.size	_ZL23rocblas_trmm_rNx_kernelILi32EffKPKfKPfEv13rocblas_fill_17rocblas_diagonal_iiT1_lPT2_llS9_llPT3_lli, .Lfunc_end151-_ZL23rocblas_trmm_rNx_kernelILi32EffKPKfKPfEv13rocblas_fill_17rocblas_diagonal_iiT1_lPT2_llS9_llPT3_lli
                                        ; -- End function
	.set _ZL23rocblas_trmm_rNx_kernelILi32EffKPKfKPfEv13rocblas_fill_17rocblas_diagonal_iiT1_lPT2_llS9_llPT3_lli.num_vgpr, 33
	.set _ZL23rocblas_trmm_rNx_kernelILi32EffKPKfKPfEv13rocblas_fill_17rocblas_diagonal_iiT1_lPT2_llS9_llPT3_lli.num_agpr, 0
	.set _ZL23rocblas_trmm_rNx_kernelILi32EffKPKfKPfEv13rocblas_fill_17rocblas_diagonal_iiT1_lPT2_llS9_llPT3_lli.numbered_sgpr, 36
	.set _ZL23rocblas_trmm_rNx_kernelILi32EffKPKfKPfEv13rocblas_fill_17rocblas_diagonal_iiT1_lPT2_llS9_llPT3_lli.num_named_barrier, 0
	.set _ZL23rocblas_trmm_rNx_kernelILi32EffKPKfKPfEv13rocblas_fill_17rocblas_diagonal_iiT1_lPT2_llS9_llPT3_lli.private_seg_size, 0
	.set _ZL23rocblas_trmm_rNx_kernelILi32EffKPKfKPfEv13rocblas_fill_17rocblas_diagonal_iiT1_lPT2_llS9_llPT3_lli.uses_vcc, 1
	.set _ZL23rocblas_trmm_rNx_kernelILi32EffKPKfKPfEv13rocblas_fill_17rocblas_diagonal_iiT1_lPT2_llS9_llPT3_lli.uses_flat_scratch, 0
	.set _ZL23rocblas_trmm_rNx_kernelILi32EffKPKfKPfEv13rocblas_fill_17rocblas_diagonal_iiT1_lPT2_llS9_llPT3_lli.has_dyn_sized_stack, 0
	.set _ZL23rocblas_trmm_rNx_kernelILi32EffKPKfKPfEv13rocblas_fill_17rocblas_diagonal_iiT1_lPT2_llS9_llPT3_lli.has_recursion, 0
	.set _ZL23rocblas_trmm_rNx_kernelILi32EffKPKfKPfEv13rocblas_fill_17rocblas_diagonal_iiT1_lPT2_llS9_llPT3_lli.has_indirect_call, 0
	.section	.AMDGPU.csdata,"",@progbits
; Kernel info:
; codeLenInByte = 1476
; TotalNumSgprs: 38
; NumVgprs: 33
; ScratchSize: 0
; MemoryBound: 0
; FloatMode: 240
; IeeeMode: 1
; LDSByteSize: 8192 bytes/workgroup (compile time only)
; SGPRBlocks: 0
; VGPRBlocks: 4
; NumSGPRsForWavesPerEU: 38
; NumVGPRsForWavesPerEU: 33
; Occupancy: 16
; WaveLimiterHint : 1
; COMPUTE_PGM_RSRC2:SCRATCH_EN: 0
; COMPUTE_PGM_RSRC2:USER_SGPR: 2
; COMPUTE_PGM_RSRC2:TRAP_HANDLER: 0
; COMPUTE_PGM_RSRC2:TGID_X_EN: 1
; COMPUTE_PGM_RSRC2:TGID_Y_EN: 0
; COMPUTE_PGM_RSRC2:TGID_Z_EN: 1
; COMPUTE_PGM_RSRC2:TIDIG_COMP_CNT: 1
	.section	.text._ZL23rocblas_trmm_rTx_kernelILi32ELb0EfPKfKS1_KPfEv13rocblas_fill_17rocblas_diagonal_iiT2_lPT3_llS9_llPT4_lli,"axG",@progbits,_ZL23rocblas_trmm_rTx_kernelILi32ELb0EfPKfKS1_KPfEv13rocblas_fill_17rocblas_diagonal_iiT2_lPT3_llS9_llPT4_lli,comdat
	.globl	_ZL23rocblas_trmm_rTx_kernelILi32ELb0EfPKfKS1_KPfEv13rocblas_fill_17rocblas_diagonal_iiT2_lPT3_llS9_llPT4_lli ; -- Begin function _ZL23rocblas_trmm_rTx_kernelILi32ELb0EfPKfKS1_KPfEv13rocblas_fill_17rocblas_diagonal_iiT2_lPT3_llS9_llPT4_lli
	.p2align	8
	.type	_ZL23rocblas_trmm_rTx_kernelILi32ELb0EfPKfKS1_KPfEv13rocblas_fill_17rocblas_diagonal_iiT2_lPT3_llS9_llPT4_lli,@function
_ZL23rocblas_trmm_rTx_kernelILi32ELb0EfPKfKS1_KPfEv13rocblas_fill_17rocblas_diagonal_iiT2_lPT3_llS9_llPT4_lli: ; @_ZL23rocblas_trmm_rTx_kernelILi32ELb0EfPKfKS1_KPfEv13rocblas_fill_17rocblas_diagonal_iiT2_lPT3_llS9_llPT4_lli
; %bb.0:
	s_load_b32 s28, s[0:1], 0x68
	s_lshr_b32 s2, ttmp7, 16
	s_wait_kmcnt 0x0
	s_cmp_ge_u32 s2, s28
	s_cbranch_scc1 .LBB152_19
; %bb.1:
	s_clause 0x3
	s_load_b128 s[24:27], s[0:1], 0x0
	s_load_b512 s[4:19], s[0:1], 0x10
	s_load_b128 s[20:23], s[0:1], 0x50
	s_load_b64 s[30:31], s[0:1], 0x60
	v_bfe_u32 v14, v0, 10, 10
	v_dual_mov_b32 v11, 0 :: v_dual_and_b32 v16, 0x3ff, v0
	s_delay_alu instid0(VALU_DEP_2) | instskip(NEXT) | instid1(VALU_DEP_2)
	v_dual_mov_b32 v15, 1.0 :: v_dual_lshlrev_b32 v0, 5, v14
	v_cmp_eq_u32_e32 vcc_lo, v14, v16
	v_lshl_add_u32 v13, v16, 2, 0x1000
	s_delay_alu instid0(VALU_DEP_3) | instskip(NEXT) | instid1(VALU_DEP_2)
	v_add_lshl_u32 v10, v0, v16, 2
	v_add_nc_u32_e32 v17, 0x400, v13
	v_add_nc_u32_e32 v19, 0x800, v13
	;; [unrolled: 1-line block ×3, first 2 shown]
	s_wait_kmcnt 0x0
	s_add_co_i32 s1, s26, -1
	v_mad_co_u64_u32 v[0:1], null, s10, v14, 0
	v_mad_co_u64_u32 v[2:3], null, s16, v14, 0
	s_ashr_i32 s3, s1, 31
	v_mad_co_u64_u32 v[4:5], null, s22, v14, 0
	s_lshr_b32 s3, s3, 27
	v_cmp_gt_i32_e64 s0, s27, v14
	s_add_co_i32 s3, s1, s3
	v_mad_co_u64_u32 v[6:7], null, s11, v14, v[1:2]
	s_ashr_i32 s10, s3, 5
	s_and_not1_b32 s3, s3, 31
	v_cmp_gt_i32_e64 s1, s27, v16
	s_sub_co_i32 s3, s26, s3
	s_wait_alu 0xfffe
	s_cmp_ge_i32 ttmp9, s10
	v_mad_co_u64_u32 v[7:8], null, s17, v14, v[3:4]
	s_cselect_b32 s3, s3, 32
	s_and_b32 s26, s0, s1
	v_cmp_gt_i32_e64 s1, s3, v16
	v_mad_co_u64_u32 v[8:9], null, s23, v14, v[5:6]
	s_lshl_b32 s16, ttmp9, 5
	v_dual_mov_b32 v3, v7 :: v_dual_add_nc_u32 v12, 0x1000, v10
	s_wait_alu 0xfffe
	s_ashr_i32 s17, s16, 31
	s_and_b32 s27, s0, s1
	s_cmp_eq_u32 s25, 0x84
	v_mov_b32_e32 v1, v6
	s_cselect_b32 s0, -1, 0
	v_cmp_gt_u32_e64 s1, v16, v14
	s_and_b32 s25, vcc_lo, s0
	v_cmp_lt_u32_e64 s0, v16, v14
	v_dual_mov_b32 v5, v8 :: v_dual_lshlrev_b32 v14, 2, v14
	v_lshlrev_b64_e32 v[0:1], 2, v[0:1]
	v_lshlrev_b64_e32 v[2:3], 2, v[2:3]
	v_lshlrev_b32_e32 v16, 2, v16
	s_delay_alu instid0(VALU_DEP_4)
	v_add_nc_u32_e32 v18, 0x400, v14
	v_lshlrev_b64_e32 v[4:5], 2, v[4:5]
	v_add_nc_u32_e32 v20, 0x800, v14
	v_add_nc_u32_e32 v22, 0xc00, v14
	s_cmp_lg_u32 s24, 0x79
	s_mov_b32 s3, 0
	s_cselect_b32 s24, -1, 0
	s_lshl_b64 s[10:11], s[12:13], 2
	s_lshl_b64 s[12:13], s[18:19], 2
	s_wait_alu 0xfffe
	s_lshl_b64 s[16:17], s[16:17], 2
	s_lshl_b64 s[18:19], s[30:31], 2
	s_branch .LBB152_4
.LBB152_2:                              ;   in Loop: Header=BB152_4 Depth=1
	s_wait_alu 0xfffe
	s_or_b32 exec_lo, exec_lo, s22
.LBB152_3:                              ;   in Loop: Header=BB152_4 Depth=1
	s_add_co_i32 s2, s2, 0x10000
	s_wait_alu 0xfffe
	s_cmp_lt_u32 s2, s28
	s_cbranch_scc0 .LBB152_19
.LBB152_4:                              ; =>This Inner Loop Header: Depth=1
	s_mul_u64 s[22:23], s[6:7], s[2:3]
	s_wait_alu 0xfffe
	s_lshl_b64 s[22:23], s[22:23], 2
	s_wait_alu 0xfffe
	s_add_nc_u64 s[22:23], s[4:5], s[22:23]
	global_load_b32 v23, v11, s[22:23]
	s_wait_loadcnt 0x0
	v_cmp_eq_f32_e32 vcc_lo, 0, v23
	s_cbranch_vccnz .LBB152_3
; %bb.5:                                ;   in Loop: Header=BB152_4 Depth=1
	s_lshl_b64 s[22:23], s[2:3], 3
	s_wait_alu 0xfffe
	s_add_nc_u64 s[30:31], s[14:15], s[22:23]
	s_add_nc_u64 s[34:35], s[20:21], s[22:23]
	s_clause 0x1
	global_load_b64 v[8:9], v11, s[30:31]
	global_load_b64 v[6:7], v11, s[34:35]
	ds_store_b32 v10, v11
	ds_store_b32 v12, v11
	s_and_saveexec_b32 s29, s26
	s_cbranch_execnz .LBB152_10
; %bb.6:                                ;   in Loop: Header=BB152_4 Depth=1
	s_or_b32 exec_lo, exec_lo, s29
	s_and_saveexec_b32 s22, s27
	s_cbranch_execnz .LBB152_11
.LBB152_7:                              ;   in Loop: Header=BB152_4 Depth=1
	s_wait_alu 0xfffe
	s_or_b32 exec_lo, exec_lo, s22
	s_and_saveexec_b32 s22, s25
	s_cbranch_execnz .LBB152_12
.LBB152_8:                              ;   in Loop: Header=BB152_4 Depth=1
	s_wait_alu 0xfffe
	s_or_b32 exec_lo, exec_lo, s22
	s_delay_alu instid0(SALU_CYCLE_1)
	s_and_b32 vcc_lo, exec_lo, s24
	s_wait_alu 0xfffe
	s_cbranch_vccz .LBB152_13
.LBB152_9:                              ;   in Loop: Header=BB152_4 Depth=1
	s_and_b32 s22, s0, exec_lo
	s_cbranch_execz .LBB152_14
	s_branch .LBB152_15
.LBB152_10:                             ;   in Loop: Header=BB152_4 Depth=1
	s_add_nc_u64 s[22:23], s[8:9], s[22:23]
	global_load_b64 v[24:25], v11, s[22:23]
	s_wait_loadcnt 0x0
	v_add_co_u32 v24, vcc_lo, v24, s10
	s_wait_alu 0xfffd
	v_add_co_ci_u32_e64 v25, null, s11, v25, vcc_lo
	s_delay_alu instid0(VALU_DEP_2) | instskip(SKIP_1) | instid1(VALU_DEP_2)
	v_add_co_u32 v24, vcc_lo, v24, v0
	s_wait_alu 0xfffd
	v_add_co_ci_u32_e64 v25, null, v25, v1, vcc_lo
	s_delay_alu instid0(VALU_DEP_2) | instskip(SKIP_1) | instid1(VALU_DEP_2)
	v_add_co_u32 v24, vcc_lo, v24, v16
	s_wait_alu 0xfffd
	v_add_co_ci_u32_e64 v25, null, 0, v25, vcc_lo
	flat_load_b32 v24, v[24:25]
	s_wait_loadcnt_dscnt 0x0
	ds_store_b32 v10, v24
	s_or_b32 exec_lo, exec_lo, s29
	s_and_saveexec_b32 s22, s27
	s_cbranch_execz .LBB152_7
.LBB152_11:                             ;   in Loop: Header=BB152_4 Depth=1
	s_wait_loadcnt 0x1
	v_add_co_u32 v8, vcc_lo, v8, s12
	s_wait_alu 0xfffd
	v_add_co_ci_u32_e64 v9, null, s13, v9, vcc_lo
	s_delay_alu instid0(VALU_DEP_2) | instskip(SKIP_1) | instid1(VALU_DEP_2)
	v_add_co_u32 v8, vcc_lo, v8, s16
	s_wait_alu 0xfffd
	v_add_co_ci_u32_e64 v9, null, s17, v9, vcc_lo
	s_delay_alu instid0(VALU_DEP_2) | instskip(SKIP_1) | instid1(VALU_DEP_2)
	;; [unrolled: 4-line block ×3, first 2 shown]
	v_add_co_u32 v8, vcc_lo, v8, v16
	s_wait_alu 0xfffd
	v_add_co_ci_u32_e64 v9, null, 0, v9, vcc_lo
	flat_load_b32 v8, v[8:9]
	s_wait_loadcnt_dscnt 0x0
	ds_store_b32 v12, v8
	s_wait_alu 0xfffe
	s_or_b32 exec_lo, exec_lo, s22
	s_and_saveexec_b32 s22, s25
	s_cbranch_execz .LBB152_8
.LBB152_12:                             ;   in Loop: Header=BB152_4 Depth=1
	ds_store_b32 v10, v15
	s_wait_alu 0xfffe
	s_or_b32 exec_lo, exec_lo, s22
	s_delay_alu instid0(SALU_CYCLE_1)
	s_and_b32 vcc_lo, exec_lo, s24
	s_wait_alu 0xfffe
	s_cbranch_vccnz .LBB152_9
.LBB152_13:                             ;   in Loop: Header=BB152_4 Depth=1
	s_mov_b32 s22, 0
.LBB152_14:                             ;   in Loop: Header=BB152_4 Depth=1
	s_wait_alu 0xfffe
	s_and_not1_b32 s22, s22, exec_lo
	s_and_b32 s23, s1, exec_lo
	s_wait_alu 0xfffe
	s_or_b32 s22, s22, s23
.LBB152_15:                             ;   in Loop: Header=BB152_4 Depth=1
	s_wait_alu 0xfffe
	s_and_saveexec_b32 s23, s22
; %bb.16:                               ;   in Loop: Header=BB152_4 Depth=1
	ds_store_b32 v10, v11
; %bb.17:                               ;   in Loop: Header=BB152_4 Depth=1
	s_wait_alu 0xfffe
	s_or_b32 exec_lo, exec_lo, s23
	s_wait_loadcnt_dscnt 0x0
	s_barrier_signal -1
	s_barrier_wait -1
	global_inv scope:SCOPE_SE
	s_and_saveexec_b32 s22, s27
	s_cbranch_execz .LBB152_2
; %bb.18:                               ;   in Loop: Header=BB152_4 Depth=1
	ds_load_2addr_b32 v[8:9], v13 offset1:32
	ds_load_2addr_b32 v[24:25], v14 offset1:32
	ds_load_2addr_b32 v[26:27], v13 offset0:64 offset1:96
	ds_load_2addr_b32 v[28:29], v14 offset0:64 offset1:96
	;; [unrolled: 1-line block ×4, first 2 shown]
	v_add_co_u32 v6, vcc_lo, v6, s18
	s_wait_alu 0xfffd
	v_add_co_ci_u32_e64 v7, null, s19, v7, vcc_lo
	s_delay_alu instid0(VALU_DEP_2) | instskip(SKIP_1) | instid1(VALU_DEP_2)
	v_add_co_u32 v6, vcc_lo, v6, s16
	s_wait_alu 0xfffd
	v_add_co_ci_u32_e64 v7, null, s17, v7, vcc_lo
	s_delay_alu instid0(VALU_DEP_2) | instskip(SKIP_1) | instid1(VALU_DEP_2)
	v_add_co_u32 v6, vcc_lo, v6, v4
	s_wait_alu 0xfffd
	v_add_co_ci_u32_e64 v7, null, v7, v5, vcc_lo
	s_delay_alu instid0(VALU_DEP_2) | instskip(SKIP_4) | instid1(VALU_DEP_2)
	v_add_co_u32 v6, vcc_lo, v6, v16
	s_wait_dscnt 0x4
	v_fma_f32 v34, v8, v24, 0
	s_wait_alu 0xfffd
	v_add_co_ci_u32_e64 v7, null, 0, v7, vcc_lo
	v_fmac_f32_e32 v34, v9, v25
	ds_load_2addr_b32 v[8:9], v13 offset0:192 offset1:224
	ds_load_2addr_b32 v[24:25], v14 offset0:192 offset1:224
	s_wait_dscnt 0x4
	v_fmac_f32_e32 v34, v26, v28
	s_delay_alu instid0(VALU_DEP_1) | instskip(SKIP_4) | instid1(VALU_DEP_1)
	v_fmac_f32_e32 v34, v27, v29
	ds_load_2addr_b32 v[26:27], v17 offset1:32
	ds_load_2addr_b32 v[28:29], v18 offset1:32
	s_wait_dscnt 0x4
	v_fmac_f32_e32 v34, v30, v32
	v_fmac_f32_e32 v34, v31, v33
	ds_load_2addr_b32 v[30:31], v17 offset0:64 offset1:96
	ds_load_2addr_b32 v[32:33], v18 offset0:64 offset1:96
	s_wait_dscnt 0x4
	v_fmac_f32_e32 v34, v8, v24
	s_delay_alu instid0(VALU_DEP_1) | instskip(SKIP_4) | instid1(VALU_DEP_1)
	v_fmac_f32_e32 v34, v9, v25
	ds_load_2addr_b32 v[8:9], v17 offset0:128 offset1:160
	ds_load_2addr_b32 v[24:25], v18 offset0:128 offset1:160
	s_wait_dscnt 0x4
	v_fmac_f32_e32 v34, v26, v28
	v_fmac_f32_e32 v34, v27, v29
	ds_load_2addr_b32 v[26:27], v17 offset0:192 offset1:224
	ds_load_2addr_b32 v[28:29], v18 offset0:192 offset1:224
	s_wait_dscnt 0x4
	v_fmac_f32_e32 v34, v30, v32
	s_delay_alu instid0(VALU_DEP_1) | instskip(SKIP_4) | instid1(VALU_DEP_1)
	v_fmac_f32_e32 v34, v31, v33
	ds_load_2addr_b32 v[30:31], v19 offset1:32
	ds_load_2addr_b32 v[32:33], v20 offset1:32
	s_wait_dscnt 0x4
	v_fmac_f32_e32 v34, v8, v24
	v_fmac_f32_e32 v34, v9, v25
	ds_load_2addr_b32 v[8:9], v19 offset0:64 offset1:96
	ds_load_2addr_b32 v[24:25], v20 offset0:64 offset1:96
	s_wait_dscnt 0x4
	v_fmac_f32_e32 v34, v26, v28
	s_delay_alu instid0(VALU_DEP_1) | instskip(SKIP_4) | instid1(VALU_DEP_1)
	v_fmac_f32_e32 v34, v27, v29
	ds_load_2addr_b32 v[26:27], v19 offset0:128 offset1:160
	ds_load_2addr_b32 v[28:29], v20 offset0:128 offset1:160
	s_wait_dscnt 0x4
	v_fmac_f32_e32 v34, v30, v32
	;; [unrolled: 22-line block ×3, first 2 shown]
	v_fmac_f32_e32 v34, v9, v25
	ds_load_2addr_b32 v[8:9], v21 offset0:192 offset1:224
	ds_load_2addr_b32 v[24:25], v22 offset0:192 offset1:224
	s_wait_dscnt 0x4
	v_fmac_f32_e32 v34, v26, v28
	s_delay_alu instid0(VALU_DEP_1) | instskip(SKIP_1) | instid1(VALU_DEP_1)
	v_fmac_f32_e32 v34, v27, v29
	s_wait_dscnt 0x2
	v_fmac_f32_e32 v34, v30, v32
	s_delay_alu instid0(VALU_DEP_1) | instskip(SKIP_1) | instid1(VALU_DEP_1)
	v_fmac_f32_e32 v34, v31, v33
	s_wait_dscnt 0x0
	v_fmac_f32_e32 v34, v8, v24
	s_delay_alu instid0(VALU_DEP_1) | instskip(NEXT) | instid1(VALU_DEP_1)
	v_fmac_f32_e32 v34, v9, v25
	v_mul_f32_e32 v8, v23, v34
	flat_store_b32 v[6:7], v8
	s_branch .LBB152_2
.LBB152_19:
	s_endpgm
	.section	.rodata,"a",@progbits
	.p2align	6, 0x0
	.amdhsa_kernel _ZL23rocblas_trmm_rTx_kernelILi32ELb0EfPKfKS1_KPfEv13rocblas_fill_17rocblas_diagonal_iiT2_lPT3_llS9_llPT4_lli
		.amdhsa_group_segment_fixed_size 8192
		.amdhsa_private_segment_fixed_size 0
		.amdhsa_kernarg_size 108
		.amdhsa_user_sgpr_count 2
		.amdhsa_user_sgpr_dispatch_ptr 0
		.amdhsa_user_sgpr_queue_ptr 0
		.amdhsa_user_sgpr_kernarg_segment_ptr 1
		.amdhsa_user_sgpr_dispatch_id 0
		.amdhsa_user_sgpr_private_segment_size 0
		.amdhsa_wavefront_size32 1
		.amdhsa_uses_dynamic_stack 0
		.amdhsa_enable_private_segment 0
		.amdhsa_system_sgpr_workgroup_id_x 1
		.amdhsa_system_sgpr_workgroup_id_y 0
		.amdhsa_system_sgpr_workgroup_id_z 1
		.amdhsa_system_sgpr_workgroup_info 0
		.amdhsa_system_vgpr_workitem_id 1
		.amdhsa_next_free_vgpr 35
		.amdhsa_next_free_sgpr 36
		.amdhsa_reserve_vcc 1
		.amdhsa_float_round_mode_32 0
		.amdhsa_float_round_mode_16_64 0
		.amdhsa_float_denorm_mode_32 3
		.amdhsa_float_denorm_mode_16_64 3
		.amdhsa_fp16_overflow 0
		.amdhsa_workgroup_processor_mode 1
		.amdhsa_memory_ordered 1
		.amdhsa_forward_progress 1
		.amdhsa_inst_pref_size 13
		.amdhsa_round_robin_scheduling 0
		.amdhsa_exception_fp_ieee_invalid_op 0
		.amdhsa_exception_fp_denorm_src 0
		.amdhsa_exception_fp_ieee_div_zero 0
		.amdhsa_exception_fp_ieee_overflow 0
		.amdhsa_exception_fp_ieee_underflow 0
		.amdhsa_exception_fp_ieee_inexact 0
		.amdhsa_exception_int_div_zero 0
	.end_amdhsa_kernel
	.section	.text._ZL23rocblas_trmm_rTx_kernelILi32ELb0EfPKfKS1_KPfEv13rocblas_fill_17rocblas_diagonal_iiT2_lPT3_llS9_llPT4_lli,"axG",@progbits,_ZL23rocblas_trmm_rTx_kernelILi32ELb0EfPKfKS1_KPfEv13rocblas_fill_17rocblas_diagonal_iiT2_lPT3_llS9_llPT4_lli,comdat
.Lfunc_end152:
	.size	_ZL23rocblas_trmm_rTx_kernelILi32ELb0EfPKfKS1_KPfEv13rocblas_fill_17rocblas_diagonal_iiT2_lPT3_llS9_llPT4_lli, .Lfunc_end152-_ZL23rocblas_trmm_rTx_kernelILi32ELb0EfPKfKS1_KPfEv13rocblas_fill_17rocblas_diagonal_iiT2_lPT3_llS9_llPT4_lli
                                        ; -- End function
	.set _ZL23rocblas_trmm_rTx_kernelILi32ELb0EfPKfKS1_KPfEv13rocblas_fill_17rocblas_diagonal_iiT2_lPT3_llS9_llPT4_lli.num_vgpr, 35
	.set _ZL23rocblas_trmm_rTx_kernelILi32ELb0EfPKfKS1_KPfEv13rocblas_fill_17rocblas_diagonal_iiT2_lPT3_llS9_llPT4_lli.num_agpr, 0
	.set _ZL23rocblas_trmm_rTx_kernelILi32ELb0EfPKfKS1_KPfEv13rocblas_fill_17rocblas_diagonal_iiT2_lPT3_llS9_llPT4_lli.numbered_sgpr, 36
	.set _ZL23rocblas_trmm_rTx_kernelILi32ELb0EfPKfKS1_KPfEv13rocblas_fill_17rocblas_diagonal_iiT2_lPT3_llS9_llPT4_lli.num_named_barrier, 0
	.set _ZL23rocblas_trmm_rTx_kernelILi32ELb0EfPKfKS1_KPfEv13rocblas_fill_17rocblas_diagonal_iiT2_lPT3_llS9_llPT4_lli.private_seg_size, 0
	.set _ZL23rocblas_trmm_rTx_kernelILi32ELb0EfPKfKS1_KPfEv13rocblas_fill_17rocblas_diagonal_iiT2_lPT3_llS9_llPT4_lli.uses_vcc, 1
	.set _ZL23rocblas_trmm_rTx_kernelILi32ELb0EfPKfKS1_KPfEv13rocblas_fill_17rocblas_diagonal_iiT2_lPT3_llS9_llPT4_lli.uses_flat_scratch, 0
	.set _ZL23rocblas_trmm_rTx_kernelILi32ELb0EfPKfKS1_KPfEv13rocblas_fill_17rocblas_diagonal_iiT2_lPT3_llS9_llPT4_lli.has_dyn_sized_stack, 0
	.set _ZL23rocblas_trmm_rTx_kernelILi32ELb0EfPKfKS1_KPfEv13rocblas_fill_17rocblas_diagonal_iiT2_lPT3_llS9_llPT4_lli.has_recursion, 0
	.set _ZL23rocblas_trmm_rTx_kernelILi32ELb0EfPKfKS1_KPfEv13rocblas_fill_17rocblas_diagonal_iiT2_lPT3_llS9_llPT4_lli.has_indirect_call, 0
	.section	.AMDGPU.csdata,"",@progbits
; Kernel info:
; codeLenInByte = 1600
; TotalNumSgprs: 38
; NumVgprs: 35
; ScratchSize: 0
; MemoryBound: 0
; FloatMode: 240
; IeeeMode: 1
; LDSByteSize: 8192 bytes/workgroup (compile time only)
; SGPRBlocks: 0
; VGPRBlocks: 4
; NumSGPRsForWavesPerEU: 38
; NumVGPRsForWavesPerEU: 35
; Occupancy: 16
; WaveLimiterHint : 1
; COMPUTE_PGM_RSRC2:SCRATCH_EN: 0
; COMPUTE_PGM_RSRC2:USER_SGPR: 2
; COMPUTE_PGM_RSRC2:TRAP_HANDLER: 0
; COMPUTE_PGM_RSRC2:TGID_X_EN: 1
; COMPUTE_PGM_RSRC2:TGID_Y_EN: 0
; COMPUTE_PGM_RSRC2:TGID_Z_EN: 1
; COMPUTE_PGM_RSRC2:TIDIG_COMP_CNT: 1
	.section	.text._ZL23rocblas_trmm_rTx_kernelILi32ELb0EffKPKfKPfEv13rocblas_fill_17rocblas_diagonal_iiT2_lPT3_llS9_llPT4_lli,"axG",@progbits,_ZL23rocblas_trmm_rTx_kernelILi32ELb0EffKPKfKPfEv13rocblas_fill_17rocblas_diagonal_iiT2_lPT3_llS9_llPT4_lli,comdat
	.globl	_ZL23rocblas_trmm_rTx_kernelILi32ELb0EffKPKfKPfEv13rocblas_fill_17rocblas_diagonal_iiT2_lPT3_llS9_llPT4_lli ; -- Begin function _ZL23rocblas_trmm_rTx_kernelILi32ELb0EffKPKfKPfEv13rocblas_fill_17rocblas_diagonal_iiT2_lPT3_llS9_llPT4_lli
	.p2align	8
	.type	_ZL23rocblas_trmm_rTx_kernelILi32ELb0EffKPKfKPfEv13rocblas_fill_17rocblas_diagonal_iiT2_lPT3_llS9_llPT4_lli,@function
_ZL23rocblas_trmm_rTx_kernelILi32ELb0EffKPKfKPfEv13rocblas_fill_17rocblas_diagonal_iiT2_lPT3_llS9_llPT4_lli: ; @_ZL23rocblas_trmm_rTx_kernelILi32ELb0EffKPKfKPfEv13rocblas_fill_17rocblas_diagonal_iiT2_lPT3_llS9_llPT4_lli
; %bb.0:
	s_load_b32 s26, s[0:1], 0x68
	s_lshr_b32 s24, ttmp7, 16
	s_wait_kmcnt 0x0
	s_cmp_ge_u32 s24, s26
	s_cbranch_scc1 .LBB153_19
; %bb.1:
	s_clause 0x2
	s_load_b32 s27, s[0:1], 0x10
	s_load_b128 s[20:23], s[0:1], 0x0
	s_load_b512 s[4:19], s[0:1], 0x20
	v_bfe_u32 v14, v0, 10, 10
	v_dual_mov_b32 v11, 0 :: v_dual_and_b32 v16, 0x3ff, v0
	s_load_b64 s[30:31], s[0:1], 0x60
	s_delay_alu instid0(VALU_DEP_2) | instskip(NEXT) | instid1(VALU_DEP_2)
	v_dual_mov_b32 v15, 1.0 :: v_dual_lshlrev_b32 v0, 5, v14
	v_cmp_eq_u32_e32 vcc_lo, v14, v16
	v_cmp_lt_u32_e64 s0, v16, v14
	v_lshl_add_u32 v13, v16, 2, 0x1000
	s_mov_b32 s25, 0
	v_add_lshl_u32 v10, v0, v16, 2
	s_delay_alu instid0(VALU_DEP_2)
	v_add_nc_u32_e32 v17, 0x400, v13
	v_add_nc_u32_e32 v19, 0x800, v13
	v_add_nc_u32_e32 v21, 0xc00, v13
	s_wait_kmcnt 0x0
	s_cmp_neq_f32 s27, 0
	v_cmp_gt_i32_e64 s1, s23, v14
	v_mad_co_u64_u32 v[0:1], null, s6, v14, 0
	s_cselect_b32 s28, -1, 0
	s_add_co_i32 s3, s22, -1
	v_mad_co_u64_u32 v[2:3], null, s12, v14, 0
	s_ashr_i32 s6, s3, 31
	v_mad_co_u64_u32 v[4:5], null, s18, v14, 0
	s_wait_alu 0xfffe
	s_lshr_b32 s6, s6, 27
	v_cmp_gt_i32_e64 s2, s23, v16
	s_wait_alu 0xfffe
	s_add_co_i32 s3, s3, s6
	v_mad_co_u64_u32 v[6:7], null, s7, v14, v[1:2]
	s_and_b32 s6, s3, 0xffffffe0
	s_ashr_i32 s3, s3, 5
	s_wait_alu 0xfffe
	s_sub_co_i32 s6, s22, s6
	s_cmp_ge_i32 ttmp9, s3
	v_mad_co_u64_u32 v[7:8], null, s13, v14, v[3:4]
	s_wait_alu 0xfffe
	s_cselect_b32 s3, s6, 32
	v_mad_co_u64_u32 v[8:9], null, s19, v14, v[5:6]
	v_cmp_gt_i32_e64 s3, s3, v16
	s_lshl_b32 s12, ttmp9, 5
	s_and_b32 s18, s1, s2
	s_wait_alu 0xfffe
	s_ashr_i32 s13, s12, 31
	v_dual_mov_b32 v3, v7 :: v_dual_add_nc_u32 v12, 0x1000, v10
	s_and_b32 s22, s1, s3
	s_cmp_eq_u32 s21, 0x84
	v_mov_b32_e32 v1, v6
	s_cselect_b32 s1, -1, 0
	v_mov_b32_e32 v5, v8
	s_and_b32 s19, vcc_lo, s1
	v_cmp_gt_u32_e64 s1, v16, v14
	v_lshlrev_b32_e32 v14, 2, v14
	v_lshlrev_b64_e32 v[0:1], 2, v[0:1]
	v_lshlrev_b64_e32 v[2:3], 2, v[2:3]
	;; [unrolled: 1-line block ×3, first 2 shown]
	v_lshlrev_b32_e32 v16, 2, v16
	v_add_nc_u32_e32 v18, 0x400, v14
	v_add_nc_u32_e32 v20, 0x800, v14
	;; [unrolled: 1-line block ×3, first 2 shown]
	s_cmp_lg_u32 s20, 0x79
	s_cselect_b32 s20, -1, 0
	s_lshl_b64 s[2:3], s[8:9], 2
	s_lshl_b64 s[6:7], s[14:15], 2
	s_wait_alu 0xfffe
	s_lshl_b64 s[8:9], s[12:13], 2
	s_lshl_b64 s[12:13], s[30:31], 2
	s_branch .LBB153_4
.LBB153_2:                              ;   in Loop: Header=BB153_4 Depth=1
	s_or_b32 exec_lo, exec_lo, s14
.LBB153_3:                              ;   in Loop: Header=BB153_4 Depth=1
	s_add_co_i32 s24, s24, 0x10000
	s_delay_alu instid0(SALU_CYCLE_1)
	s_cmp_lt_u32 s24, s26
	s_cbranch_scc0 .LBB153_19
.LBB153_4:                              ; =>This Inner Loop Header: Depth=1
	s_and_not1_b32 vcc_lo, exec_lo, s28
	s_wait_alu 0xfffe
	s_cbranch_vccnz .LBB153_3
; %bb.5:                                ;   in Loop: Header=BB153_4 Depth=1
	s_lshl_b64 s[14:15], s[24:25], 3
	s_delay_alu instid0(SALU_CYCLE_1)
	s_add_nc_u64 s[30:31], s[10:11], s[14:15]
	s_add_nc_u64 s[34:35], s[16:17], s[14:15]
	s_clause 0x1
	global_load_b64 v[8:9], v11, s[30:31]
	global_load_b64 v[6:7], v11, s[34:35]
	ds_store_b32 v10, v11
	ds_store_b32 v12, v11
	s_and_saveexec_b32 s21, s18
	s_cbranch_execnz .LBB153_10
; %bb.6:                                ;   in Loop: Header=BB153_4 Depth=1
	s_or_b32 exec_lo, exec_lo, s21
	s_and_saveexec_b32 s14, s22
	s_cbranch_execnz .LBB153_11
.LBB153_7:                              ;   in Loop: Header=BB153_4 Depth=1
	s_or_b32 exec_lo, exec_lo, s14
	s_and_saveexec_b32 s14, s19
	s_cbranch_execnz .LBB153_12
.LBB153_8:                              ;   in Loop: Header=BB153_4 Depth=1
	s_or_b32 exec_lo, exec_lo, s14
	s_delay_alu instid0(SALU_CYCLE_1)
	s_and_b32 vcc_lo, exec_lo, s20
	s_wait_alu 0xfffe
	s_cbranch_vccz .LBB153_13
.LBB153_9:                              ;   in Loop: Header=BB153_4 Depth=1
	s_and_b32 s14, s0, exec_lo
	s_cbranch_execz .LBB153_14
	s_branch .LBB153_15
.LBB153_10:                             ;   in Loop: Header=BB153_4 Depth=1
	s_add_nc_u64 s[14:15], s[4:5], s[14:15]
	global_load_b64 v[23:24], v11, s[14:15]
	s_wait_loadcnt 0x0
	v_add_co_u32 v23, vcc_lo, v23, s2
	s_wait_alu 0xfffd
	v_add_co_ci_u32_e64 v24, null, s3, v24, vcc_lo
	s_delay_alu instid0(VALU_DEP_2) | instskip(SKIP_1) | instid1(VALU_DEP_2)
	v_add_co_u32 v23, vcc_lo, v23, v0
	s_wait_alu 0xfffd
	v_add_co_ci_u32_e64 v24, null, v24, v1, vcc_lo
	s_delay_alu instid0(VALU_DEP_2) | instskip(SKIP_1) | instid1(VALU_DEP_2)
	v_add_co_u32 v23, vcc_lo, v23, v16
	s_wait_alu 0xfffd
	v_add_co_ci_u32_e64 v24, null, 0, v24, vcc_lo
	flat_load_b32 v23, v[23:24]
	s_wait_loadcnt_dscnt 0x0
	ds_store_b32 v10, v23
	s_or_b32 exec_lo, exec_lo, s21
	s_and_saveexec_b32 s14, s22
	s_cbranch_execz .LBB153_7
.LBB153_11:                             ;   in Loop: Header=BB153_4 Depth=1
	s_wait_loadcnt 0x1
	v_add_co_u32 v8, vcc_lo, v8, s6
	s_wait_alu 0xfffd
	v_add_co_ci_u32_e64 v9, null, s7, v9, vcc_lo
	s_delay_alu instid0(VALU_DEP_2) | instskip(SKIP_1) | instid1(VALU_DEP_2)
	v_add_co_u32 v8, vcc_lo, v8, s8
	s_wait_alu 0xfffd
	v_add_co_ci_u32_e64 v9, null, s9, v9, vcc_lo
	s_delay_alu instid0(VALU_DEP_2) | instskip(SKIP_1) | instid1(VALU_DEP_2)
	;; [unrolled: 4-line block ×3, first 2 shown]
	v_add_co_u32 v8, vcc_lo, v8, v16
	s_wait_alu 0xfffd
	v_add_co_ci_u32_e64 v9, null, 0, v9, vcc_lo
	flat_load_b32 v8, v[8:9]
	s_wait_loadcnt_dscnt 0x0
	ds_store_b32 v12, v8
	s_or_b32 exec_lo, exec_lo, s14
	s_and_saveexec_b32 s14, s19
	s_cbranch_execz .LBB153_8
.LBB153_12:                             ;   in Loop: Header=BB153_4 Depth=1
	ds_store_b32 v10, v15
	s_or_b32 exec_lo, exec_lo, s14
	s_delay_alu instid0(SALU_CYCLE_1)
	s_and_b32 vcc_lo, exec_lo, s20
	s_wait_alu 0xfffe
	s_cbranch_vccnz .LBB153_9
.LBB153_13:                             ;   in Loop: Header=BB153_4 Depth=1
	s_mov_b32 s14, 0
.LBB153_14:                             ;   in Loop: Header=BB153_4 Depth=1
	s_delay_alu instid0(SALU_CYCLE_1) | instskip(SKIP_1) | instid1(SALU_CYCLE_1)
	s_and_not1_b32 s14, s14, exec_lo
	s_and_b32 s15, s1, exec_lo
	s_or_b32 s14, s14, s15
.LBB153_15:                             ;   in Loop: Header=BB153_4 Depth=1
	s_delay_alu instid0(SALU_CYCLE_1)
	s_and_saveexec_b32 s15, s14
; %bb.16:                               ;   in Loop: Header=BB153_4 Depth=1
	ds_store_b32 v10, v11
; %bb.17:                               ;   in Loop: Header=BB153_4 Depth=1
	s_or_b32 exec_lo, exec_lo, s15
	s_wait_loadcnt_dscnt 0x0
	s_barrier_signal -1
	s_barrier_wait -1
	global_inv scope:SCOPE_SE
	s_and_saveexec_b32 s14, s22
	s_cbranch_execz .LBB153_2
; %bb.18:                               ;   in Loop: Header=BB153_4 Depth=1
	ds_load_2addr_b32 v[8:9], v13 offset1:32
	ds_load_2addr_b32 v[23:24], v14 offset1:32
	ds_load_2addr_b32 v[25:26], v13 offset0:64 offset1:96
	ds_load_2addr_b32 v[27:28], v14 offset0:64 offset1:96
	;; [unrolled: 1-line block ×4, first 2 shown]
	s_wait_alu 0xfffe
	v_add_co_u32 v6, vcc_lo, v6, s12
	s_wait_alu 0xfffd
	v_add_co_ci_u32_e64 v7, null, s13, v7, vcc_lo
	s_delay_alu instid0(VALU_DEP_2) | instskip(SKIP_1) | instid1(VALU_DEP_2)
	v_add_co_u32 v6, vcc_lo, v6, s8
	s_wait_alu 0xfffd
	v_add_co_ci_u32_e64 v7, null, s9, v7, vcc_lo
	s_delay_alu instid0(VALU_DEP_2) | instskip(SKIP_1) | instid1(VALU_DEP_2)
	v_add_co_u32 v6, vcc_lo, v6, v4
	s_wait_alu 0xfffd
	v_add_co_ci_u32_e64 v7, null, v7, v5, vcc_lo
	s_delay_alu instid0(VALU_DEP_2) | instskip(SKIP_4) | instid1(VALU_DEP_2)
	v_add_co_u32 v6, vcc_lo, v6, v16
	s_wait_dscnt 0x4
	v_fma_f32 v33, v8, v23, 0
	s_wait_alu 0xfffd
	v_add_co_ci_u32_e64 v7, null, 0, v7, vcc_lo
	v_fmac_f32_e32 v33, v9, v24
	ds_load_2addr_b32 v[8:9], v13 offset0:192 offset1:224
	ds_load_2addr_b32 v[23:24], v14 offset0:192 offset1:224
	s_wait_dscnt 0x4
	v_fmac_f32_e32 v33, v25, v27
	s_delay_alu instid0(VALU_DEP_1) | instskip(SKIP_4) | instid1(VALU_DEP_1)
	v_fmac_f32_e32 v33, v26, v28
	ds_load_2addr_b32 v[25:26], v17 offset1:32
	ds_load_2addr_b32 v[27:28], v18 offset1:32
	s_wait_dscnt 0x4
	v_fmac_f32_e32 v33, v29, v31
	v_fmac_f32_e32 v33, v30, v32
	ds_load_2addr_b32 v[29:30], v17 offset0:64 offset1:96
	ds_load_2addr_b32 v[31:32], v18 offset0:64 offset1:96
	s_wait_dscnt 0x4
	v_fmac_f32_e32 v33, v8, v23
	s_delay_alu instid0(VALU_DEP_1) | instskip(SKIP_4) | instid1(VALU_DEP_1)
	v_fmac_f32_e32 v33, v9, v24
	ds_load_2addr_b32 v[8:9], v17 offset0:128 offset1:160
	ds_load_2addr_b32 v[23:24], v18 offset0:128 offset1:160
	s_wait_dscnt 0x4
	v_fmac_f32_e32 v33, v25, v27
	v_fmac_f32_e32 v33, v26, v28
	ds_load_2addr_b32 v[25:26], v17 offset0:192 offset1:224
	ds_load_2addr_b32 v[27:28], v18 offset0:192 offset1:224
	s_wait_dscnt 0x4
	v_fmac_f32_e32 v33, v29, v31
	s_delay_alu instid0(VALU_DEP_1) | instskip(SKIP_4) | instid1(VALU_DEP_1)
	v_fmac_f32_e32 v33, v30, v32
	ds_load_2addr_b32 v[29:30], v19 offset1:32
	ds_load_2addr_b32 v[31:32], v20 offset1:32
	s_wait_dscnt 0x4
	v_fmac_f32_e32 v33, v8, v23
	v_fmac_f32_e32 v33, v9, v24
	ds_load_2addr_b32 v[8:9], v19 offset0:64 offset1:96
	ds_load_2addr_b32 v[23:24], v20 offset0:64 offset1:96
	s_wait_dscnt 0x4
	v_fmac_f32_e32 v33, v25, v27
	s_delay_alu instid0(VALU_DEP_1) | instskip(SKIP_4) | instid1(VALU_DEP_1)
	v_fmac_f32_e32 v33, v26, v28
	ds_load_2addr_b32 v[25:26], v19 offset0:128 offset1:160
	ds_load_2addr_b32 v[27:28], v20 offset0:128 offset1:160
	s_wait_dscnt 0x4
	v_fmac_f32_e32 v33, v29, v31
	;; [unrolled: 22-line block ×3, first 2 shown]
	v_fmac_f32_e32 v33, v9, v24
	ds_load_2addr_b32 v[8:9], v21 offset0:192 offset1:224
	ds_load_2addr_b32 v[23:24], v22 offset0:192 offset1:224
	s_wait_dscnt 0x4
	v_fmac_f32_e32 v33, v25, v27
	s_delay_alu instid0(VALU_DEP_1) | instskip(SKIP_1) | instid1(VALU_DEP_1)
	v_fmac_f32_e32 v33, v26, v28
	s_wait_dscnt 0x2
	v_fmac_f32_e32 v33, v29, v31
	s_delay_alu instid0(VALU_DEP_1) | instskip(SKIP_1) | instid1(VALU_DEP_1)
	v_fmac_f32_e32 v33, v30, v32
	s_wait_dscnt 0x0
	v_fmac_f32_e32 v33, v8, v23
	s_delay_alu instid0(VALU_DEP_1) | instskip(NEXT) | instid1(VALU_DEP_1)
	v_fmac_f32_e32 v33, v9, v24
	v_mul_f32_e32 v8, s27, v33
	flat_store_b32 v[6:7], v8
	s_branch .LBB153_2
.LBB153_19:
	s_endpgm
	.section	.rodata,"a",@progbits
	.p2align	6, 0x0
	.amdhsa_kernel _ZL23rocblas_trmm_rTx_kernelILi32ELb0EffKPKfKPfEv13rocblas_fill_17rocblas_diagonal_iiT2_lPT3_llS9_llPT4_lli
		.amdhsa_group_segment_fixed_size 8192
		.amdhsa_private_segment_fixed_size 0
		.amdhsa_kernarg_size 108
		.amdhsa_user_sgpr_count 2
		.amdhsa_user_sgpr_dispatch_ptr 0
		.amdhsa_user_sgpr_queue_ptr 0
		.amdhsa_user_sgpr_kernarg_segment_ptr 1
		.amdhsa_user_sgpr_dispatch_id 0
		.amdhsa_user_sgpr_private_segment_size 0
		.amdhsa_wavefront_size32 1
		.amdhsa_uses_dynamic_stack 0
		.amdhsa_enable_private_segment 0
		.amdhsa_system_sgpr_workgroup_id_x 1
		.amdhsa_system_sgpr_workgroup_id_y 0
		.amdhsa_system_sgpr_workgroup_id_z 1
		.amdhsa_system_sgpr_workgroup_info 0
		.amdhsa_system_vgpr_workitem_id 1
		.amdhsa_next_free_vgpr 34
		.amdhsa_next_free_sgpr 36
		.amdhsa_reserve_vcc 1
		.amdhsa_float_round_mode_32 0
		.amdhsa_float_round_mode_16_64 0
		.amdhsa_float_denorm_mode_32 3
		.amdhsa_float_denorm_mode_16_64 3
		.amdhsa_fp16_overflow 0
		.amdhsa_workgroup_processor_mode 1
		.amdhsa_memory_ordered 1
		.amdhsa_forward_progress 1
		.amdhsa_inst_pref_size 13
		.amdhsa_round_robin_scheduling 0
		.amdhsa_exception_fp_ieee_invalid_op 0
		.amdhsa_exception_fp_denorm_src 0
		.amdhsa_exception_fp_ieee_div_zero 0
		.amdhsa_exception_fp_ieee_overflow 0
		.amdhsa_exception_fp_ieee_underflow 0
		.amdhsa_exception_fp_ieee_inexact 0
		.amdhsa_exception_int_div_zero 0
	.end_amdhsa_kernel
	.section	.text._ZL23rocblas_trmm_rTx_kernelILi32ELb0EffKPKfKPfEv13rocblas_fill_17rocblas_diagonal_iiT2_lPT3_llS9_llPT4_lli,"axG",@progbits,_ZL23rocblas_trmm_rTx_kernelILi32ELb0EffKPKfKPfEv13rocblas_fill_17rocblas_diagonal_iiT2_lPT3_llS9_llPT4_lli,comdat
.Lfunc_end153:
	.size	_ZL23rocblas_trmm_rTx_kernelILi32ELb0EffKPKfKPfEv13rocblas_fill_17rocblas_diagonal_iiT2_lPT3_llS9_llPT4_lli, .Lfunc_end153-_ZL23rocblas_trmm_rTx_kernelILi32ELb0EffKPKfKPfEv13rocblas_fill_17rocblas_diagonal_iiT2_lPT3_llS9_llPT4_lli
                                        ; -- End function
	.set _ZL23rocblas_trmm_rTx_kernelILi32ELb0EffKPKfKPfEv13rocblas_fill_17rocblas_diagonal_iiT2_lPT3_llS9_llPT4_lli.num_vgpr, 34
	.set _ZL23rocblas_trmm_rTx_kernelILi32ELb0EffKPKfKPfEv13rocblas_fill_17rocblas_diagonal_iiT2_lPT3_llS9_llPT4_lli.num_agpr, 0
	.set _ZL23rocblas_trmm_rTx_kernelILi32ELb0EffKPKfKPfEv13rocblas_fill_17rocblas_diagonal_iiT2_lPT3_llS9_llPT4_lli.numbered_sgpr, 36
	.set _ZL23rocblas_trmm_rTx_kernelILi32ELb0EffKPKfKPfEv13rocblas_fill_17rocblas_diagonal_iiT2_lPT3_llS9_llPT4_lli.num_named_barrier, 0
	.set _ZL23rocblas_trmm_rTx_kernelILi32ELb0EffKPKfKPfEv13rocblas_fill_17rocblas_diagonal_iiT2_lPT3_llS9_llPT4_lli.private_seg_size, 0
	.set _ZL23rocblas_trmm_rTx_kernelILi32ELb0EffKPKfKPfEv13rocblas_fill_17rocblas_diagonal_iiT2_lPT3_llS9_llPT4_lli.uses_vcc, 1
	.set _ZL23rocblas_trmm_rTx_kernelILi32ELb0EffKPKfKPfEv13rocblas_fill_17rocblas_diagonal_iiT2_lPT3_llS9_llPT4_lli.uses_flat_scratch, 0
	.set _ZL23rocblas_trmm_rTx_kernelILi32ELb0EffKPKfKPfEv13rocblas_fill_17rocblas_diagonal_iiT2_lPT3_llS9_llPT4_lli.has_dyn_sized_stack, 0
	.set _ZL23rocblas_trmm_rTx_kernelILi32ELb0EffKPKfKPfEv13rocblas_fill_17rocblas_diagonal_iiT2_lPT3_llS9_llPT4_lli.has_recursion, 0
	.set _ZL23rocblas_trmm_rTx_kernelILi32ELb0EffKPKfKPfEv13rocblas_fill_17rocblas_diagonal_iiT2_lPT3_llS9_llPT4_lli.has_indirect_call, 0
	.section	.AMDGPU.csdata,"",@progbits
; Kernel info:
; codeLenInByte = 1564
; TotalNumSgprs: 38
; NumVgprs: 34
; ScratchSize: 0
; MemoryBound: 0
; FloatMode: 240
; IeeeMode: 1
; LDSByteSize: 8192 bytes/workgroup (compile time only)
; SGPRBlocks: 0
; VGPRBlocks: 4
; NumSGPRsForWavesPerEU: 38
; NumVGPRsForWavesPerEU: 34
; Occupancy: 16
; WaveLimiterHint : 1
; COMPUTE_PGM_RSRC2:SCRATCH_EN: 0
; COMPUTE_PGM_RSRC2:USER_SGPR: 2
; COMPUTE_PGM_RSRC2:TRAP_HANDLER: 0
; COMPUTE_PGM_RSRC2:TGID_X_EN: 1
; COMPUTE_PGM_RSRC2:TGID_Y_EN: 0
; COMPUTE_PGM_RSRC2:TGID_Z_EN: 1
; COMPUTE_PGM_RSRC2:TIDIG_COMP_CNT: 1
	.section	.text._ZL23rocblas_trmm_rTx_kernelILi32ELb1EfPKfKS1_KPfEv13rocblas_fill_17rocblas_diagonal_iiT2_lPT3_llS9_llPT4_lli,"axG",@progbits,_ZL23rocblas_trmm_rTx_kernelILi32ELb1EfPKfKS1_KPfEv13rocblas_fill_17rocblas_diagonal_iiT2_lPT3_llS9_llPT4_lli,comdat
	.globl	_ZL23rocblas_trmm_rTx_kernelILi32ELb1EfPKfKS1_KPfEv13rocblas_fill_17rocblas_diagonal_iiT2_lPT3_llS9_llPT4_lli ; -- Begin function _ZL23rocblas_trmm_rTx_kernelILi32ELb1EfPKfKS1_KPfEv13rocblas_fill_17rocblas_diagonal_iiT2_lPT3_llS9_llPT4_lli
	.p2align	8
	.type	_ZL23rocblas_trmm_rTx_kernelILi32ELb1EfPKfKS1_KPfEv13rocblas_fill_17rocblas_diagonal_iiT2_lPT3_llS9_llPT4_lli,@function
_ZL23rocblas_trmm_rTx_kernelILi32ELb1EfPKfKS1_KPfEv13rocblas_fill_17rocblas_diagonal_iiT2_lPT3_llS9_llPT4_lli: ; @_ZL23rocblas_trmm_rTx_kernelILi32ELb1EfPKfKS1_KPfEv13rocblas_fill_17rocblas_diagonal_iiT2_lPT3_llS9_llPT4_lli
; %bb.0:
	s_load_b32 s28, s[0:1], 0x68
	s_lshr_b32 s2, ttmp7, 16
	s_wait_kmcnt 0x0
	s_cmp_ge_u32 s2, s28
	s_cbranch_scc1 .LBB154_19
; %bb.1:
	s_clause 0x3
	s_load_b128 s[24:27], s[0:1], 0x0
	s_load_b512 s[4:19], s[0:1], 0x10
	s_load_b128 s[20:23], s[0:1], 0x50
	s_load_b64 s[30:31], s[0:1], 0x60
	v_bfe_u32 v14, v0, 10, 10
	v_dual_mov_b32 v11, 0 :: v_dual_and_b32 v16, 0x3ff, v0
	s_delay_alu instid0(VALU_DEP_2) | instskip(NEXT) | instid1(VALU_DEP_2)
	v_dual_mov_b32 v15, 1.0 :: v_dual_lshlrev_b32 v0, 5, v14
	v_cmp_eq_u32_e32 vcc_lo, v14, v16
	v_lshl_add_u32 v13, v16, 2, 0x1000
	s_delay_alu instid0(VALU_DEP_3) | instskip(NEXT) | instid1(VALU_DEP_2)
	v_add_lshl_u32 v10, v0, v16, 2
	v_add_nc_u32_e32 v17, 0x400, v13
	v_add_nc_u32_e32 v19, 0x800, v13
	;; [unrolled: 1-line block ×3, first 2 shown]
	s_wait_kmcnt 0x0
	s_add_co_i32 s1, s26, -1
	v_mad_co_u64_u32 v[0:1], null, s10, v14, 0
	v_mad_co_u64_u32 v[2:3], null, s16, v14, 0
	s_ashr_i32 s3, s1, 31
	v_mad_co_u64_u32 v[4:5], null, s22, v14, 0
	s_lshr_b32 s3, s3, 27
	v_cmp_gt_i32_e64 s0, s27, v14
	s_add_co_i32 s3, s1, s3
	v_mad_co_u64_u32 v[6:7], null, s11, v14, v[1:2]
	s_ashr_i32 s10, s3, 5
	s_and_not1_b32 s3, s3, 31
	v_cmp_gt_i32_e64 s1, s27, v16
	s_sub_co_i32 s3, s26, s3
	s_wait_alu 0xfffe
	s_cmp_ge_i32 ttmp9, s10
	v_mad_co_u64_u32 v[7:8], null, s17, v14, v[3:4]
	s_cselect_b32 s3, s3, 32
	s_and_b32 s26, s0, s1
	v_cmp_gt_i32_e64 s1, s3, v16
	v_mad_co_u64_u32 v[8:9], null, s23, v14, v[5:6]
	s_lshl_b32 s16, ttmp9, 5
	v_dual_mov_b32 v3, v7 :: v_dual_add_nc_u32 v12, 0x1000, v10
	s_wait_alu 0xfffe
	s_ashr_i32 s17, s16, 31
	s_and_b32 s27, s0, s1
	s_cmp_eq_u32 s25, 0x84
	v_mov_b32_e32 v1, v6
	s_cselect_b32 s0, -1, 0
	v_cmp_gt_u32_e64 s1, v16, v14
	s_and_b32 s25, vcc_lo, s0
	v_cmp_lt_u32_e64 s0, v16, v14
	v_dual_mov_b32 v5, v8 :: v_dual_lshlrev_b32 v14, 2, v14
	v_lshlrev_b64_e32 v[0:1], 2, v[0:1]
	v_lshlrev_b64_e32 v[2:3], 2, v[2:3]
	v_lshlrev_b32_e32 v16, 2, v16
	s_delay_alu instid0(VALU_DEP_4)
	v_add_nc_u32_e32 v18, 0x400, v14
	v_lshlrev_b64_e32 v[4:5], 2, v[4:5]
	v_add_nc_u32_e32 v20, 0x800, v14
	v_add_nc_u32_e32 v22, 0xc00, v14
	s_cmp_lg_u32 s24, 0x79
	s_mov_b32 s3, 0
	s_cselect_b32 s24, -1, 0
	s_lshl_b64 s[10:11], s[12:13], 2
	s_lshl_b64 s[12:13], s[18:19], 2
	s_wait_alu 0xfffe
	s_lshl_b64 s[16:17], s[16:17], 2
	s_lshl_b64 s[18:19], s[30:31], 2
	s_branch .LBB154_4
.LBB154_2:                              ;   in Loop: Header=BB154_4 Depth=1
	s_wait_alu 0xfffe
	s_or_b32 exec_lo, exec_lo, s22
.LBB154_3:                              ;   in Loop: Header=BB154_4 Depth=1
	s_add_co_i32 s2, s2, 0x10000
	s_wait_alu 0xfffe
	s_cmp_lt_u32 s2, s28
	s_cbranch_scc0 .LBB154_19
.LBB154_4:                              ; =>This Inner Loop Header: Depth=1
	s_mul_u64 s[22:23], s[6:7], s[2:3]
	s_wait_alu 0xfffe
	s_lshl_b64 s[22:23], s[22:23], 2
	s_wait_alu 0xfffe
	s_add_nc_u64 s[22:23], s[4:5], s[22:23]
	global_load_b32 v23, v11, s[22:23]
	s_wait_loadcnt 0x0
	v_cmp_eq_f32_e32 vcc_lo, 0, v23
	s_cbranch_vccnz .LBB154_3
; %bb.5:                                ;   in Loop: Header=BB154_4 Depth=1
	s_lshl_b64 s[22:23], s[2:3], 3
	s_wait_alu 0xfffe
	s_add_nc_u64 s[30:31], s[14:15], s[22:23]
	s_add_nc_u64 s[34:35], s[20:21], s[22:23]
	s_clause 0x1
	global_load_b64 v[8:9], v11, s[30:31]
	global_load_b64 v[6:7], v11, s[34:35]
	ds_store_b32 v10, v11
	ds_store_b32 v12, v11
	s_and_saveexec_b32 s29, s26
	s_cbranch_execnz .LBB154_10
; %bb.6:                                ;   in Loop: Header=BB154_4 Depth=1
	s_or_b32 exec_lo, exec_lo, s29
	s_and_saveexec_b32 s22, s27
	s_cbranch_execnz .LBB154_11
.LBB154_7:                              ;   in Loop: Header=BB154_4 Depth=1
	s_wait_alu 0xfffe
	s_or_b32 exec_lo, exec_lo, s22
	s_and_saveexec_b32 s22, s25
	s_cbranch_execnz .LBB154_12
.LBB154_8:                              ;   in Loop: Header=BB154_4 Depth=1
	s_wait_alu 0xfffe
	s_or_b32 exec_lo, exec_lo, s22
	s_delay_alu instid0(SALU_CYCLE_1)
	s_and_b32 vcc_lo, exec_lo, s24
	s_wait_alu 0xfffe
	s_cbranch_vccz .LBB154_13
.LBB154_9:                              ;   in Loop: Header=BB154_4 Depth=1
	s_and_b32 s22, s0, exec_lo
	s_cbranch_execz .LBB154_14
	s_branch .LBB154_15
.LBB154_10:                             ;   in Loop: Header=BB154_4 Depth=1
	s_add_nc_u64 s[22:23], s[8:9], s[22:23]
	global_load_b64 v[24:25], v11, s[22:23]
	s_wait_loadcnt 0x0
	v_add_co_u32 v24, vcc_lo, v24, s10
	s_wait_alu 0xfffd
	v_add_co_ci_u32_e64 v25, null, s11, v25, vcc_lo
	s_delay_alu instid0(VALU_DEP_2) | instskip(SKIP_1) | instid1(VALU_DEP_2)
	v_add_co_u32 v24, vcc_lo, v24, v0
	s_wait_alu 0xfffd
	v_add_co_ci_u32_e64 v25, null, v25, v1, vcc_lo
	s_delay_alu instid0(VALU_DEP_2) | instskip(SKIP_1) | instid1(VALU_DEP_2)
	v_add_co_u32 v24, vcc_lo, v24, v16
	s_wait_alu 0xfffd
	v_add_co_ci_u32_e64 v25, null, 0, v25, vcc_lo
	flat_load_b32 v24, v[24:25]
	s_wait_loadcnt_dscnt 0x0
	ds_store_b32 v10, v24
	s_or_b32 exec_lo, exec_lo, s29
	s_and_saveexec_b32 s22, s27
	s_cbranch_execz .LBB154_7
.LBB154_11:                             ;   in Loop: Header=BB154_4 Depth=1
	s_wait_loadcnt 0x1
	v_add_co_u32 v8, vcc_lo, v8, s12
	s_wait_alu 0xfffd
	v_add_co_ci_u32_e64 v9, null, s13, v9, vcc_lo
	s_delay_alu instid0(VALU_DEP_2) | instskip(SKIP_1) | instid1(VALU_DEP_2)
	v_add_co_u32 v8, vcc_lo, v8, s16
	s_wait_alu 0xfffd
	v_add_co_ci_u32_e64 v9, null, s17, v9, vcc_lo
	s_delay_alu instid0(VALU_DEP_2) | instskip(SKIP_1) | instid1(VALU_DEP_2)
	;; [unrolled: 4-line block ×3, first 2 shown]
	v_add_co_u32 v8, vcc_lo, v8, v16
	s_wait_alu 0xfffd
	v_add_co_ci_u32_e64 v9, null, 0, v9, vcc_lo
	flat_load_b32 v8, v[8:9]
	s_wait_loadcnt_dscnt 0x0
	ds_store_b32 v12, v8
	s_wait_alu 0xfffe
	s_or_b32 exec_lo, exec_lo, s22
	s_and_saveexec_b32 s22, s25
	s_cbranch_execz .LBB154_8
.LBB154_12:                             ;   in Loop: Header=BB154_4 Depth=1
	ds_store_b32 v10, v15
	s_wait_alu 0xfffe
	s_or_b32 exec_lo, exec_lo, s22
	s_delay_alu instid0(SALU_CYCLE_1)
	s_and_b32 vcc_lo, exec_lo, s24
	s_wait_alu 0xfffe
	s_cbranch_vccnz .LBB154_9
.LBB154_13:                             ;   in Loop: Header=BB154_4 Depth=1
	s_mov_b32 s22, 0
.LBB154_14:                             ;   in Loop: Header=BB154_4 Depth=1
	s_wait_alu 0xfffe
	s_and_not1_b32 s22, s22, exec_lo
	s_and_b32 s23, s1, exec_lo
	s_wait_alu 0xfffe
	s_or_b32 s22, s22, s23
.LBB154_15:                             ;   in Loop: Header=BB154_4 Depth=1
	s_wait_alu 0xfffe
	s_and_saveexec_b32 s23, s22
; %bb.16:                               ;   in Loop: Header=BB154_4 Depth=1
	ds_store_b32 v10, v11
; %bb.17:                               ;   in Loop: Header=BB154_4 Depth=1
	s_wait_alu 0xfffe
	s_or_b32 exec_lo, exec_lo, s23
	s_wait_loadcnt_dscnt 0x0
	s_barrier_signal -1
	s_barrier_wait -1
	global_inv scope:SCOPE_SE
	s_and_saveexec_b32 s22, s27
	s_cbranch_execz .LBB154_2
; %bb.18:                               ;   in Loop: Header=BB154_4 Depth=1
	ds_load_2addr_b32 v[8:9], v13 offset1:32
	ds_load_2addr_b32 v[24:25], v14 offset1:32
	ds_load_2addr_b32 v[26:27], v13 offset0:64 offset1:96
	ds_load_2addr_b32 v[28:29], v14 offset0:64 offset1:96
	;; [unrolled: 1-line block ×4, first 2 shown]
	v_add_co_u32 v6, vcc_lo, v6, s18
	s_wait_alu 0xfffd
	v_add_co_ci_u32_e64 v7, null, s19, v7, vcc_lo
	s_delay_alu instid0(VALU_DEP_2) | instskip(SKIP_1) | instid1(VALU_DEP_2)
	v_add_co_u32 v6, vcc_lo, v6, s16
	s_wait_alu 0xfffd
	v_add_co_ci_u32_e64 v7, null, s17, v7, vcc_lo
	s_delay_alu instid0(VALU_DEP_2) | instskip(SKIP_1) | instid1(VALU_DEP_2)
	v_add_co_u32 v6, vcc_lo, v6, v4
	s_wait_alu 0xfffd
	v_add_co_ci_u32_e64 v7, null, v7, v5, vcc_lo
	s_delay_alu instid0(VALU_DEP_2) | instskip(SKIP_4) | instid1(VALU_DEP_2)
	v_add_co_u32 v6, vcc_lo, v6, v16
	s_wait_dscnt 0x4
	v_fma_f32 v34, v8, v24, 0
	s_wait_alu 0xfffd
	v_add_co_ci_u32_e64 v7, null, 0, v7, vcc_lo
	v_fmac_f32_e32 v34, v9, v25
	ds_load_2addr_b32 v[8:9], v13 offset0:192 offset1:224
	ds_load_2addr_b32 v[24:25], v14 offset0:192 offset1:224
	s_wait_dscnt 0x4
	v_fmac_f32_e32 v34, v26, v28
	s_delay_alu instid0(VALU_DEP_1) | instskip(SKIP_4) | instid1(VALU_DEP_1)
	v_fmac_f32_e32 v34, v27, v29
	ds_load_2addr_b32 v[26:27], v17 offset1:32
	ds_load_2addr_b32 v[28:29], v18 offset1:32
	s_wait_dscnt 0x4
	v_fmac_f32_e32 v34, v30, v32
	v_fmac_f32_e32 v34, v31, v33
	ds_load_2addr_b32 v[30:31], v17 offset0:64 offset1:96
	ds_load_2addr_b32 v[32:33], v18 offset0:64 offset1:96
	s_wait_dscnt 0x4
	v_fmac_f32_e32 v34, v8, v24
	s_delay_alu instid0(VALU_DEP_1) | instskip(SKIP_4) | instid1(VALU_DEP_1)
	v_fmac_f32_e32 v34, v9, v25
	ds_load_2addr_b32 v[8:9], v17 offset0:128 offset1:160
	ds_load_2addr_b32 v[24:25], v18 offset0:128 offset1:160
	s_wait_dscnt 0x4
	v_fmac_f32_e32 v34, v26, v28
	v_fmac_f32_e32 v34, v27, v29
	ds_load_2addr_b32 v[26:27], v17 offset0:192 offset1:224
	ds_load_2addr_b32 v[28:29], v18 offset0:192 offset1:224
	s_wait_dscnt 0x4
	v_fmac_f32_e32 v34, v30, v32
	s_delay_alu instid0(VALU_DEP_1) | instskip(SKIP_4) | instid1(VALU_DEP_1)
	v_fmac_f32_e32 v34, v31, v33
	ds_load_2addr_b32 v[30:31], v19 offset1:32
	ds_load_2addr_b32 v[32:33], v20 offset1:32
	s_wait_dscnt 0x4
	v_fmac_f32_e32 v34, v8, v24
	v_fmac_f32_e32 v34, v9, v25
	ds_load_2addr_b32 v[8:9], v19 offset0:64 offset1:96
	ds_load_2addr_b32 v[24:25], v20 offset0:64 offset1:96
	s_wait_dscnt 0x4
	v_fmac_f32_e32 v34, v26, v28
	s_delay_alu instid0(VALU_DEP_1) | instskip(SKIP_4) | instid1(VALU_DEP_1)
	v_fmac_f32_e32 v34, v27, v29
	ds_load_2addr_b32 v[26:27], v19 offset0:128 offset1:160
	ds_load_2addr_b32 v[28:29], v20 offset0:128 offset1:160
	s_wait_dscnt 0x4
	v_fmac_f32_e32 v34, v30, v32
	;; [unrolled: 22-line block ×3, first 2 shown]
	v_fmac_f32_e32 v34, v9, v25
	ds_load_2addr_b32 v[8:9], v21 offset0:192 offset1:224
	ds_load_2addr_b32 v[24:25], v22 offset0:192 offset1:224
	s_wait_dscnt 0x4
	v_fmac_f32_e32 v34, v26, v28
	s_delay_alu instid0(VALU_DEP_1) | instskip(SKIP_1) | instid1(VALU_DEP_1)
	v_fmac_f32_e32 v34, v27, v29
	s_wait_dscnt 0x2
	v_fmac_f32_e32 v34, v30, v32
	s_delay_alu instid0(VALU_DEP_1) | instskip(SKIP_1) | instid1(VALU_DEP_1)
	v_fmac_f32_e32 v34, v31, v33
	s_wait_dscnt 0x0
	v_fmac_f32_e32 v34, v8, v24
	s_delay_alu instid0(VALU_DEP_1) | instskip(NEXT) | instid1(VALU_DEP_1)
	v_fmac_f32_e32 v34, v9, v25
	v_mul_f32_e32 v8, v23, v34
	flat_store_b32 v[6:7], v8
	s_branch .LBB154_2
.LBB154_19:
	s_endpgm
	.section	.rodata,"a",@progbits
	.p2align	6, 0x0
	.amdhsa_kernel _ZL23rocblas_trmm_rTx_kernelILi32ELb1EfPKfKS1_KPfEv13rocblas_fill_17rocblas_diagonal_iiT2_lPT3_llS9_llPT4_lli
		.amdhsa_group_segment_fixed_size 8192
		.amdhsa_private_segment_fixed_size 0
		.amdhsa_kernarg_size 108
		.amdhsa_user_sgpr_count 2
		.amdhsa_user_sgpr_dispatch_ptr 0
		.amdhsa_user_sgpr_queue_ptr 0
		.amdhsa_user_sgpr_kernarg_segment_ptr 1
		.amdhsa_user_sgpr_dispatch_id 0
		.amdhsa_user_sgpr_private_segment_size 0
		.amdhsa_wavefront_size32 1
		.amdhsa_uses_dynamic_stack 0
		.amdhsa_enable_private_segment 0
		.amdhsa_system_sgpr_workgroup_id_x 1
		.amdhsa_system_sgpr_workgroup_id_y 0
		.amdhsa_system_sgpr_workgroup_id_z 1
		.amdhsa_system_sgpr_workgroup_info 0
		.amdhsa_system_vgpr_workitem_id 1
		.amdhsa_next_free_vgpr 35
		.amdhsa_next_free_sgpr 36
		.amdhsa_reserve_vcc 1
		.amdhsa_float_round_mode_32 0
		.amdhsa_float_round_mode_16_64 0
		.amdhsa_float_denorm_mode_32 3
		.amdhsa_float_denorm_mode_16_64 3
		.amdhsa_fp16_overflow 0
		.amdhsa_workgroup_processor_mode 1
		.amdhsa_memory_ordered 1
		.amdhsa_forward_progress 1
		.amdhsa_inst_pref_size 13
		.amdhsa_round_robin_scheduling 0
		.amdhsa_exception_fp_ieee_invalid_op 0
		.amdhsa_exception_fp_denorm_src 0
		.amdhsa_exception_fp_ieee_div_zero 0
		.amdhsa_exception_fp_ieee_overflow 0
		.amdhsa_exception_fp_ieee_underflow 0
		.amdhsa_exception_fp_ieee_inexact 0
		.amdhsa_exception_int_div_zero 0
	.end_amdhsa_kernel
	.section	.text._ZL23rocblas_trmm_rTx_kernelILi32ELb1EfPKfKS1_KPfEv13rocblas_fill_17rocblas_diagonal_iiT2_lPT3_llS9_llPT4_lli,"axG",@progbits,_ZL23rocblas_trmm_rTx_kernelILi32ELb1EfPKfKS1_KPfEv13rocblas_fill_17rocblas_diagonal_iiT2_lPT3_llS9_llPT4_lli,comdat
.Lfunc_end154:
	.size	_ZL23rocblas_trmm_rTx_kernelILi32ELb1EfPKfKS1_KPfEv13rocblas_fill_17rocblas_diagonal_iiT2_lPT3_llS9_llPT4_lli, .Lfunc_end154-_ZL23rocblas_trmm_rTx_kernelILi32ELb1EfPKfKS1_KPfEv13rocblas_fill_17rocblas_diagonal_iiT2_lPT3_llS9_llPT4_lli
                                        ; -- End function
	.set _ZL23rocblas_trmm_rTx_kernelILi32ELb1EfPKfKS1_KPfEv13rocblas_fill_17rocblas_diagonal_iiT2_lPT3_llS9_llPT4_lli.num_vgpr, 35
	.set _ZL23rocblas_trmm_rTx_kernelILi32ELb1EfPKfKS1_KPfEv13rocblas_fill_17rocblas_diagonal_iiT2_lPT3_llS9_llPT4_lli.num_agpr, 0
	.set _ZL23rocblas_trmm_rTx_kernelILi32ELb1EfPKfKS1_KPfEv13rocblas_fill_17rocblas_diagonal_iiT2_lPT3_llS9_llPT4_lli.numbered_sgpr, 36
	.set _ZL23rocblas_trmm_rTx_kernelILi32ELb1EfPKfKS1_KPfEv13rocblas_fill_17rocblas_diagonal_iiT2_lPT3_llS9_llPT4_lli.num_named_barrier, 0
	.set _ZL23rocblas_trmm_rTx_kernelILi32ELb1EfPKfKS1_KPfEv13rocblas_fill_17rocblas_diagonal_iiT2_lPT3_llS9_llPT4_lli.private_seg_size, 0
	.set _ZL23rocblas_trmm_rTx_kernelILi32ELb1EfPKfKS1_KPfEv13rocblas_fill_17rocblas_diagonal_iiT2_lPT3_llS9_llPT4_lli.uses_vcc, 1
	.set _ZL23rocblas_trmm_rTx_kernelILi32ELb1EfPKfKS1_KPfEv13rocblas_fill_17rocblas_diagonal_iiT2_lPT3_llS9_llPT4_lli.uses_flat_scratch, 0
	.set _ZL23rocblas_trmm_rTx_kernelILi32ELb1EfPKfKS1_KPfEv13rocblas_fill_17rocblas_diagonal_iiT2_lPT3_llS9_llPT4_lli.has_dyn_sized_stack, 0
	.set _ZL23rocblas_trmm_rTx_kernelILi32ELb1EfPKfKS1_KPfEv13rocblas_fill_17rocblas_diagonal_iiT2_lPT3_llS9_llPT4_lli.has_recursion, 0
	.set _ZL23rocblas_trmm_rTx_kernelILi32ELb1EfPKfKS1_KPfEv13rocblas_fill_17rocblas_diagonal_iiT2_lPT3_llS9_llPT4_lli.has_indirect_call, 0
	.section	.AMDGPU.csdata,"",@progbits
; Kernel info:
; codeLenInByte = 1600
; TotalNumSgprs: 38
; NumVgprs: 35
; ScratchSize: 0
; MemoryBound: 0
; FloatMode: 240
; IeeeMode: 1
; LDSByteSize: 8192 bytes/workgroup (compile time only)
; SGPRBlocks: 0
; VGPRBlocks: 4
; NumSGPRsForWavesPerEU: 38
; NumVGPRsForWavesPerEU: 35
; Occupancy: 16
; WaveLimiterHint : 1
; COMPUTE_PGM_RSRC2:SCRATCH_EN: 0
; COMPUTE_PGM_RSRC2:USER_SGPR: 2
; COMPUTE_PGM_RSRC2:TRAP_HANDLER: 0
; COMPUTE_PGM_RSRC2:TGID_X_EN: 1
; COMPUTE_PGM_RSRC2:TGID_Y_EN: 0
; COMPUTE_PGM_RSRC2:TGID_Z_EN: 1
; COMPUTE_PGM_RSRC2:TIDIG_COMP_CNT: 1
	.section	.text._ZL23rocblas_trmm_rTx_kernelILi32ELb1EffKPKfKPfEv13rocblas_fill_17rocblas_diagonal_iiT2_lPT3_llS9_llPT4_lli,"axG",@progbits,_ZL23rocblas_trmm_rTx_kernelILi32ELb1EffKPKfKPfEv13rocblas_fill_17rocblas_diagonal_iiT2_lPT3_llS9_llPT4_lli,comdat
	.globl	_ZL23rocblas_trmm_rTx_kernelILi32ELb1EffKPKfKPfEv13rocblas_fill_17rocblas_diagonal_iiT2_lPT3_llS9_llPT4_lli ; -- Begin function _ZL23rocblas_trmm_rTx_kernelILi32ELb1EffKPKfKPfEv13rocblas_fill_17rocblas_diagonal_iiT2_lPT3_llS9_llPT4_lli
	.p2align	8
	.type	_ZL23rocblas_trmm_rTx_kernelILi32ELb1EffKPKfKPfEv13rocblas_fill_17rocblas_diagonal_iiT2_lPT3_llS9_llPT4_lli,@function
_ZL23rocblas_trmm_rTx_kernelILi32ELb1EffKPKfKPfEv13rocblas_fill_17rocblas_diagonal_iiT2_lPT3_llS9_llPT4_lli: ; @_ZL23rocblas_trmm_rTx_kernelILi32ELb1EffKPKfKPfEv13rocblas_fill_17rocblas_diagonal_iiT2_lPT3_llS9_llPT4_lli
; %bb.0:
	s_load_b32 s26, s[0:1], 0x68
	s_lshr_b32 s24, ttmp7, 16
	s_wait_kmcnt 0x0
	s_cmp_ge_u32 s24, s26
	s_cbranch_scc1 .LBB155_19
; %bb.1:
	s_clause 0x2
	s_load_b32 s27, s[0:1], 0x10
	s_load_b128 s[20:23], s[0:1], 0x0
	s_load_b512 s[4:19], s[0:1], 0x20
	v_bfe_u32 v14, v0, 10, 10
	v_dual_mov_b32 v11, 0 :: v_dual_and_b32 v16, 0x3ff, v0
	s_load_b64 s[30:31], s[0:1], 0x60
	s_delay_alu instid0(VALU_DEP_2) | instskip(NEXT) | instid1(VALU_DEP_2)
	v_dual_mov_b32 v15, 1.0 :: v_dual_lshlrev_b32 v0, 5, v14
	v_cmp_eq_u32_e32 vcc_lo, v14, v16
	v_cmp_lt_u32_e64 s0, v16, v14
	v_lshl_add_u32 v13, v16, 2, 0x1000
	s_mov_b32 s25, 0
	v_add_lshl_u32 v10, v0, v16, 2
	s_delay_alu instid0(VALU_DEP_2)
	v_add_nc_u32_e32 v17, 0x400, v13
	v_add_nc_u32_e32 v19, 0x800, v13
	;; [unrolled: 1-line block ×3, first 2 shown]
	s_wait_kmcnt 0x0
	s_cmp_neq_f32 s27, 0
	v_cmp_gt_i32_e64 s1, s23, v14
	v_mad_co_u64_u32 v[0:1], null, s6, v14, 0
	s_cselect_b32 s28, -1, 0
	s_add_co_i32 s3, s22, -1
	v_mad_co_u64_u32 v[2:3], null, s12, v14, 0
	s_ashr_i32 s6, s3, 31
	v_mad_co_u64_u32 v[4:5], null, s18, v14, 0
	s_wait_alu 0xfffe
	s_lshr_b32 s6, s6, 27
	v_cmp_gt_i32_e64 s2, s23, v16
	s_wait_alu 0xfffe
	s_add_co_i32 s3, s3, s6
	v_mad_co_u64_u32 v[6:7], null, s7, v14, v[1:2]
	s_and_b32 s6, s3, 0xffffffe0
	s_ashr_i32 s3, s3, 5
	s_wait_alu 0xfffe
	s_sub_co_i32 s6, s22, s6
	s_cmp_ge_i32 ttmp9, s3
	v_mad_co_u64_u32 v[7:8], null, s13, v14, v[3:4]
	s_wait_alu 0xfffe
	s_cselect_b32 s3, s6, 32
	v_mad_co_u64_u32 v[8:9], null, s19, v14, v[5:6]
	v_cmp_gt_i32_e64 s3, s3, v16
	s_lshl_b32 s12, ttmp9, 5
	s_and_b32 s18, s1, s2
	s_wait_alu 0xfffe
	s_ashr_i32 s13, s12, 31
	v_dual_mov_b32 v3, v7 :: v_dual_add_nc_u32 v12, 0x1000, v10
	s_and_b32 s22, s1, s3
	s_cmp_eq_u32 s21, 0x84
	v_mov_b32_e32 v1, v6
	s_cselect_b32 s1, -1, 0
	v_mov_b32_e32 v5, v8
	s_and_b32 s19, vcc_lo, s1
	v_cmp_gt_u32_e64 s1, v16, v14
	v_lshlrev_b32_e32 v14, 2, v14
	v_lshlrev_b64_e32 v[0:1], 2, v[0:1]
	v_lshlrev_b64_e32 v[2:3], 2, v[2:3]
	v_lshlrev_b64_e32 v[4:5], 2, v[4:5]
	v_lshlrev_b32_e32 v16, 2, v16
	v_add_nc_u32_e32 v18, 0x400, v14
	v_add_nc_u32_e32 v20, 0x800, v14
	v_add_nc_u32_e32 v22, 0xc00, v14
	s_cmp_lg_u32 s20, 0x79
	s_cselect_b32 s20, -1, 0
	s_lshl_b64 s[2:3], s[8:9], 2
	s_lshl_b64 s[6:7], s[14:15], 2
	s_wait_alu 0xfffe
	s_lshl_b64 s[8:9], s[12:13], 2
	s_lshl_b64 s[12:13], s[30:31], 2
	s_branch .LBB155_4
.LBB155_2:                              ;   in Loop: Header=BB155_4 Depth=1
	s_or_b32 exec_lo, exec_lo, s14
.LBB155_3:                              ;   in Loop: Header=BB155_4 Depth=1
	s_add_co_i32 s24, s24, 0x10000
	s_delay_alu instid0(SALU_CYCLE_1)
	s_cmp_lt_u32 s24, s26
	s_cbranch_scc0 .LBB155_19
.LBB155_4:                              ; =>This Inner Loop Header: Depth=1
	s_and_not1_b32 vcc_lo, exec_lo, s28
	s_wait_alu 0xfffe
	s_cbranch_vccnz .LBB155_3
; %bb.5:                                ;   in Loop: Header=BB155_4 Depth=1
	s_lshl_b64 s[14:15], s[24:25], 3
	s_delay_alu instid0(SALU_CYCLE_1)
	s_add_nc_u64 s[30:31], s[10:11], s[14:15]
	s_add_nc_u64 s[34:35], s[16:17], s[14:15]
	s_clause 0x1
	global_load_b64 v[8:9], v11, s[30:31]
	global_load_b64 v[6:7], v11, s[34:35]
	ds_store_b32 v10, v11
	ds_store_b32 v12, v11
	s_and_saveexec_b32 s21, s18
	s_cbranch_execnz .LBB155_10
; %bb.6:                                ;   in Loop: Header=BB155_4 Depth=1
	s_or_b32 exec_lo, exec_lo, s21
	s_and_saveexec_b32 s14, s22
	s_cbranch_execnz .LBB155_11
.LBB155_7:                              ;   in Loop: Header=BB155_4 Depth=1
	s_or_b32 exec_lo, exec_lo, s14
	s_and_saveexec_b32 s14, s19
	s_cbranch_execnz .LBB155_12
.LBB155_8:                              ;   in Loop: Header=BB155_4 Depth=1
	s_or_b32 exec_lo, exec_lo, s14
	s_delay_alu instid0(SALU_CYCLE_1)
	s_and_b32 vcc_lo, exec_lo, s20
	s_wait_alu 0xfffe
	s_cbranch_vccz .LBB155_13
.LBB155_9:                              ;   in Loop: Header=BB155_4 Depth=1
	s_and_b32 s14, s0, exec_lo
	s_cbranch_execz .LBB155_14
	s_branch .LBB155_15
.LBB155_10:                             ;   in Loop: Header=BB155_4 Depth=1
	s_add_nc_u64 s[14:15], s[4:5], s[14:15]
	global_load_b64 v[23:24], v11, s[14:15]
	s_wait_loadcnt 0x0
	v_add_co_u32 v23, vcc_lo, v23, s2
	s_wait_alu 0xfffd
	v_add_co_ci_u32_e64 v24, null, s3, v24, vcc_lo
	s_delay_alu instid0(VALU_DEP_2) | instskip(SKIP_1) | instid1(VALU_DEP_2)
	v_add_co_u32 v23, vcc_lo, v23, v0
	s_wait_alu 0xfffd
	v_add_co_ci_u32_e64 v24, null, v24, v1, vcc_lo
	s_delay_alu instid0(VALU_DEP_2) | instskip(SKIP_1) | instid1(VALU_DEP_2)
	v_add_co_u32 v23, vcc_lo, v23, v16
	s_wait_alu 0xfffd
	v_add_co_ci_u32_e64 v24, null, 0, v24, vcc_lo
	flat_load_b32 v23, v[23:24]
	s_wait_loadcnt_dscnt 0x0
	ds_store_b32 v10, v23
	s_or_b32 exec_lo, exec_lo, s21
	s_and_saveexec_b32 s14, s22
	s_cbranch_execz .LBB155_7
.LBB155_11:                             ;   in Loop: Header=BB155_4 Depth=1
	s_wait_loadcnt 0x1
	v_add_co_u32 v8, vcc_lo, v8, s6
	s_wait_alu 0xfffd
	v_add_co_ci_u32_e64 v9, null, s7, v9, vcc_lo
	s_delay_alu instid0(VALU_DEP_2) | instskip(SKIP_1) | instid1(VALU_DEP_2)
	v_add_co_u32 v8, vcc_lo, v8, s8
	s_wait_alu 0xfffd
	v_add_co_ci_u32_e64 v9, null, s9, v9, vcc_lo
	s_delay_alu instid0(VALU_DEP_2) | instskip(SKIP_1) | instid1(VALU_DEP_2)
	v_add_co_u32 v8, vcc_lo, v8, v2
	s_wait_alu 0xfffd
	v_add_co_ci_u32_e64 v9, null, v9, v3, vcc_lo
	s_delay_alu instid0(VALU_DEP_2) | instskip(SKIP_1) | instid1(VALU_DEP_2)
	v_add_co_u32 v8, vcc_lo, v8, v16
	s_wait_alu 0xfffd
	v_add_co_ci_u32_e64 v9, null, 0, v9, vcc_lo
	flat_load_b32 v8, v[8:9]
	s_wait_loadcnt_dscnt 0x0
	ds_store_b32 v12, v8
	s_or_b32 exec_lo, exec_lo, s14
	s_and_saveexec_b32 s14, s19
	s_cbranch_execz .LBB155_8
.LBB155_12:                             ;   in Loop: Header=BB155_4 Depth=1
	ds_store_b32 v10, v15
	s_or_b32 exec_lo, exec_lo, s14
	s_delay_alu instid0(SALU_CYCLE_1)
	s_and_b32 vcc_lo, exec_lo, s20
	s_wait_alu 0xfffe
	s_cbranch_vccnz .LBB155_9
.LBB155_13:                             ;   in Loop: Header=BB155_4 Depth=1
	s_mov_b32 s14, 0
.LBB155_14:                             ;   in Loop: Header=BB155_4 Depth=1
	s_delay_alu instid0(SALU_CYCLE_1) | instskip(SKIP_1) | instid1(SALU_CYCLE_1)
	s_and_not1_b32 s14, s14, exec_lo
	s_and_b32 s15, s1, exec_lo
	s_or_b32 s14, s14, s15
.LBB155_15:                             ;   in Loop: Header=BB155_4 Depth=1
	s_delay_alu instid0(SALU_CYCLE_1)
	s_and_saveexec_b32 s15, s14
; %bb.16:                               ;   in Loop: Header=BB155_4 Depth=1
	ds_store_b32 v10, v11
; %bb.17:                               ;   in Loop: Header=BB155_4 Depth=1
	s_or_b32 exec_lo, exec_lo, s15
	s_wait_loadcnt_dscnt 0x0
	s_barrier_signal -1
	s_barrier_wait -1
	global_inv scope:SCOPE_SE
	s_and_saveexec_b32 s14, s22
	s_cbranch_execz .LBB155_2
; %bb.18:                               ;   in Loop: Header=BB155_4 Depth=1
	ds_load_2addr_b32 v[8:9], v13 offset1:32
	ds_load_2addr_b32 v[23:24], v14 offset1:32
	ds_load_2addr_b32 v[25:26], v13 offset0:64 offset1:96
	ds_load_2addr_b32 v[27:28], v14 offset0:64 offset1:96
	;; [unrolled: 1-line block ×4, first 2 shown]
	s_wait_alu 0xfffe
	v_add_co_u32 v6, vcc_lo, v6, s12
	s_wait_alu 0xfffd
	v_add_co_ci_u32_e64 v7, null, s13, v7, vcc_lo
	s_delay_alu instid0(VALU_DEP_2) | instskip(SKIP_1) | instid1(VALU_DEP_2)
	v_add_co_u32 v6, vcc_lo, v6, s8
	s_wait_alu 0xfffd
	v_add_co_ci_u32_e64 v7, null, s9, v7, vcc_lo
	s_delay_alu instid0(VALU_DEP_2) | instskip(SKIP_1) | instid1(VALU_DEP_2)
	v_add_co_u32 v6, vcc_lo, v6, v4
	s_wait_alu 0xfffd
	v_add_co_ci_u32_e64 v7, null, v7, v5, vcc_lo
	s_delay_alu instid0(VALU_DEP_2) | instskip(SKIP_4) | instid1(VALU_DEP_2)
	v_add_co_u32 v6, vcc_lo, v6, v16
	s_wait_dscnt 0x4
	v_fma_f32 v33, v8, v23, 0
	s_wait_alu 0xfffd
	v_add_co_ci_u32_e64 v7, null, 0, v7, vcc_lo
	v_fmac_f32_e32 v33, v9, v24
	ds_load_2addr_b32 v[8:9], v13 offset0:192 offset1:224
	ds_load_2addr_b32 v[23:24], v14 offset0:192 offset1:224
	s_wait_dscnt 0x4
	v_fmac_f32_e32 v33, v25, v27
	s_delay_alu instid0(VALU_DEP_1) | instskip(SKIP_4) | instid1(VALU_DEP_1)
	v_fmac_f32_e32 v33, v26, v28
	ds_load_2addr_b32 v[25:26], v17 offset1:32
	ds_load_2addr_b32 v[27:28], v18 offset1:32
	s_wait_dscnt 0x4
	v_fmac_f32_e32 v33, v29, v31
	v_fmac_f32_e32 v33, v30, v32
	ds_load_2addr_b32 v[29:30], v17 offset0:64 offset1:96
	ds_load_2addr_b32 v[31:32], v18 offset0:64 offset1:96
	s_wait_dscnt 0x4
	v_fmac_f32_e32 v33, v8, v23
	s_delay_alu instid0(VALU_DEP_1) | instskip(SKIP_4) | instid1(VALU_DEP_1)
	v_fmac_f32_e32 v33, v9, v24
	ds_load_2addr_b32 v[8:9], v17 offset0:128 offset1:160
	ds_load_2addr_b32 v[23:24], v18 offset0:128 offset1:160
	s_wait_dscnt 0x4
	v_fmac_f32_e32 v33, v25, v27
	v_fmac_f32_e32 v33, v26, v28
	ds_load_2addr_b32 v[25:26], v17 offset0:192 offset1:224
	ds_load_2addr_b32 v[27:28], v18 offset0:192 offset1:224
	s_wait_dscnt 0x4
	v_fmac_f32_e32 v33, v29, v31
	s_delay_alu instid0(VALU_DEP_1) | instskip(SKIP_4) | instid1(VALU_DEP_1)
	v_fmac_f32_e32 v33, v30, v32
	ds_load_2addr_b32 v[29:30], v19 offset1:32
	ds_load_2addr_b32 v[31:32], v20 offset1:32
	s_wait_dscnt 0x4
	v_fmac_f32_e32 v33, v8, v23
	v_fmac_f32_e32 v33, v9, v24
	ds_load_2addr_b32 v[8:9], v19 offset0:64 offset1:96
	ds_load_2addr_b32 v[23:24], v20 offset0:64 offset1:96
	s_wait_dscnt 0x4
	v_fmac_f32_e32 v33, v25, v27
	s_delay_alu instid0(VALU_DEP_1) | instskip(SKIP_4) | instid1(VALU_DEP_1)
	v_fmac_f32_e32 v33, v26, v28
	ds_load_2addr_b32 v[25:26], v19 offset0:128 offset1:160
	ds_load_2addr_b32 v[27:28], v20 offset0:128 offset1:160
	s_wait_dscnt 0x4
	v_fmac_f32_e32 v33, v29, v31
	v_fmac_f32_e32 v33, v30, v32
	ds_load_2addr_b32 v[29:30], v19 offset0:192 offset1:224
	ds_load_2addr_b32 v[31:32], v20 offset0:192 offset1:224
	s_wait_dscnt 0x4
	v_fmac_f32_e32 v33, v8, v23
	s_delay_alu instid0(VALU_DEP_1) | instskip(SKIP_4) | instid1(VALU_DEP_1)
	v_fmac_f32_e32 v33, v9, v24
	ds_load_2addr_b32 v[8:9], v21 offset1:32
	ds_load_2addr_b32 v[23:24], v22 offset1:32
	s_wait_dscnt 0x4
	v_fmac_f32_e32 v33, v25, v27
	v_fmac_f32_e32 v33, v26, v28
	ds_load_2addr_b32 v[25:26], v21 offset0:64 offset1:96
	ds_load_2addr_b32 v[27:28], v22 offset0:64 offset1:96
	s_wait_dscnt 0x4
	v_fmac_f32_e32 v33, v29, v31
	s_delay_alu instid0(VALU_DEP_1) | instskip(SKIP_4) | instid1(VALU_DEP_1)
	v_fmac_f32_e32 v33, v30, v32
	ds_load_2addr_b32 v[29:30], v21 offset0:128 offset1:160
	ds_load_2addr_b32 v[31:32], v22 offset0:128 offset1:160
	s_wait_dscnt 0x4
	v_fmac_f32_e32 v33, v8, v23
	v_fmac_f32_e32 v33, v9, v24
	ds_load_2addr_b32 v[8:9], v21 offset0:192 offset1:224
	ds_load_2addr_b32 v[23:24], v22 offset0:192 offset1:224
	s_wait_dscnt 0x4
	v_fmac_f32_e32 v33, v25, v27
	s_delay_alu instid0(VALU_DEP_1) | instskip(SKIP_1) | instid1(VALU_DEP_1)
	v_fmac_f32_e32 v33, v26, v28
	s_wait_dscnt 0x2
	v_fmac_f32_e32 v33, v29, v31
	s_delay_alu instid0(VALU_DEP_1) | instskip(SKIP_1) | instid1(VALU_DEP_1)
	v_fmac_f32_e32 v33, v30, v32
	s_wait_dscnt 0x0
	v_fmac_f32_e32 v33, v8, v23
	s_delay_alu instid0(VALU_DEP_1) | instskip(NEXT) | instid1(VALU_DEP_1)
	v_fmac_f32_e32 v33, v9, v24
	v_mul_f32_e32 v8, s27, v33
	flat_store_b32 v[6:7], v8
	s_branch .LBB155_2
.LBB155_19:
	s_endpgm
	.section	.rodata,"a",@progbits
	.p2align	6, 0x0
	.amdhsa_kernel _ZL23rocblas_trmm_rTx_kernelILi32ELb1EffKPKfKPfEv13rocblas_fill_17rocblas_diagonal_iiT2_lPT3_llS9_llPT4_lli
		.amdhsa_group_segment_fixed_size 8192
		.amdhsa_private_segment_fixed_size 0
		.amdhsa_kernarg_size 108
		.amdhsa_user_sgpr_count 2
		.amdhsa_user_sgpr_dispatch_ptr 0
		.amdhsa_user_sgpr_queue_ptr 0
		.amdhsa_user_sgpr_kernarg_segment_ptr 1
		.amdhsa_user_sgpr_dispatch_id 0
		.amdhsa_user_sgpr_private_segment_size 0
		.amdhsa_wavefront_size32 1
		.amdhsa_uses_dynamic_stack 0
		.amdhsa_enable_private_segment 0
		.amdhsa_system_sgpr_workgroup_id_x 1
		.amdhsa_system_sgpr_workgroup_id_y 0
		.amdhsa_system_sgpr_workgroup_id_z 1
		.amdhsa_system_sgpr_workgroup_info 0
		.amdhsa_system_vgpr_workitem_id 1
		.amdhsa_next_free_vgpr 34
		.amdhsa_next_free_sgpr 36
		.amdhsa_reserve_vcc 1
		.amdhsa_float_round_mode_32 0
		.amdhsa_float_round_mode_16_64 0
		.amdhsa_float_denorm_mode_32 3
		.amdhsa_float_denorm_mode_16_64 3
		.amdhsa_fp16_overflow 0
		.amdhsa_workgroup_processor_mode 1
		.amdhsa_memory_ordered 1
		.amdhsa_forward_progress 1
		.amdhsa_inst_pref_size 13
		.amdhsa_round_robin_scheduling 0
		.amdhsa_exception_fp_ieee_invalid_op 0
		.amdhsa_exception_fp_denorm_src 0
		.amdhsa_exception_fp_ieee_div_zero 0
		.amdhsa_exception_fp_ieee_overflow 0
		.amdhsa_exception_fp_ieee_underflow 0
		.amdhsa_exception_fp_ieee_inexact 0
		.amdhsa_exception_int_div_zero 0
	.end_amdhsa_kernel
	.section	.text._ZL23rocblas_trmm_rTx_kernelILi32ELb1EffKPKfKPfEv13rocblas_fill_17rocblas_diagonal_iiT2_lPT3_llS9_llPT4_lli,"axG",@progbits,_ZL23rocblas_trmm_rTx_kernelILi32ELb1EffKPKfKPfEv13rocblas_fill_17rocblas_diagonal_iiT2_lPT3_llS9_llPT4_lli,comdat
.Lfunc_end155:
	.size	_ZL23rocblas_trmm_rTx_kernelILi32ELb1EffKPKfKPfEv13rocblas_fill_17rocblas_diagonal_iiT2_lPT3_llS9_llPT4_lli, .Lfunc_end155-_ZL23rocblas_trmm_rTx_kernelILi32ELb1EffKPKfKPfEv13rocblas_fill_17rocblas_diagonal_iiT2_lPT3_llS9_llPT4_lli
                                        ; -- End function
	.set _ZL23rocblas_trmm_rTx_kernelILi32ELb1EffKPKfKPfEv13rocblas_fill_17rocblas_diagonal_iiT2_lPT3_llS9_llPT4_lli.num_vgpr, 34
	.set _ZL23rocblas_trmm_rTx_kernelILi32ELb1EffKPKfKPfEv13rocblas_fill_17rocblas_diagonal_iiT2_lPT3_llS9_llPT4_lli.num_agpr, 0
	.set _ZL23rocblas_trmm_rTx_kernelILi32ELb1EffKPKfKPfEv13rocblas_fill_17rocblas_diagonal_iiT2_lPT3_llS9_llPT4_lli.numbered_sgpr, 36
	.set _ZL23rocblas_trmm_rTx_kernelILi32ELb1EffKPKfKPfEv13rocblas_fill_17rocblas_diagonal_iiT2_lPT3_llS9_llPT4_lli.num_named_barrier, 0
	.set _ZL23rocblas_trmm_rTx_kernelILi32ELb1EffKPKfKPfEv13rocblas_fill_17rocblas_diagonal_iiT2_lPT3_llS9_llPT4_lli.private_seg_size, 0
	.set _ZL23rocblas_trmm_rTx_kernelILi32ELb1EffKPKfKPfEv13rocblas_fill_17rocblas_diagonal_iiT2_lPT3_llS9_llPT4_lli.uses_vcc, 1
	.set _ZL23rocblas_trmm_rTx_kernelILi32ELb1EffKPKfKPfEv13rocblas_fill_17rocblas_diagonal_iiT2_lPT3_llS9_llPT4_lli.uses_flat_scratch, 0
	.set _ZL23rocblas_trmm_rTx_kernelILi32ELb1EffKPKfKPfEv13rocblas_fill_17rocblas_diagonal_iiT2_lPT3_llS9_llPT4_lli.has_dyn_sized_stack, 0
	.set _ZL23rocblas_trmm_rTx_kernelILi32ELb1EffKPKfKPfEv13rocblas_fill_17rocblas_diagonal_iiT2_lPT3_llS9_llPT4_lli.has_recursion, 0
	.set _ZL23rocblas_trmm_rTx_kernelILi32ELb1EffKPKfKPfEv13rocblas_fill_17rocblas_diagonal_iiT2_lPT3_llS9_llPT4_lli.has_indirect_call, 0
	.section	.AMDGPU.csdata,"",@progbits
; Kernel info:
; codeLenInByte = 1564
; TotalNumSgprs: 38
; NumVgprs: 34
; ScratchSize: 0
; MemoryBound: 0
; FloatMode: 240
; IeeeMode: 1
; LDSByteSize: 8192 bytes/workgroup (compile time only)
; SGPRBlocks: 0
; VGPRBlocks: 4
; NumSGPRsForWavesPerEU: 38
; NumVGPRsForWavesPerEU: 34
; Occupancy: 16
; WaveLimiterHint : 1
; COMPUTE_PGM_RSRC2:SCRATCH_EN: 0
; COMPUTE_PGM_RSRC2:USER_SGPR: 2
; COMPUTE_PGM_RSRC2:TRAP_HANDLER: 0
; COMPUTE_PGM_RSRC2:TGID_X_EN: 1
; COMPUTE_PGM_RSRC2:TGID_Y_EN: 0
; COMPUTE_PGM_RSRC2:TGID_Z_EN: 1
; COMPUTE_PGM_RSRC2:TIDIG_COMP_CNT: 1
	.section	.text._ZL23rocblas_trmm_lNx_kernelILi32EdPKdKS1_KPdEv13rocblas_fill_17rocblas_diagonal_iiT1_lPT2_llS9_llPT3_lli,"axG",@progbits,_ZL23rocblas_trmm_lNx_kernelILi32EdPKdKS1_KPdEv13rocblas_fill_17rocblas_diagonal_iiT1_lPT2_llS9_llPT3_lli,comdat
	.globl	_ZL23rocblas_trmm_lNx_kernelILi32EdPKdKS1_KPdEv13rocblas_fill_17rocblas_diagonal_iiT1_lPT2_llS9_llPT3_lli ; -- Begin function _ZL23rocblas_trmm_lNx_kernelILi32EdPKdKS1_KPdEv13rocblas_fill_17rocblas_diagonal_iiT1_lPT2_llS9_llPT3_lli
	.p2align	8
	.type	_ZL23rocblas_trmm_lNx_kernelILi32EdPKdKS1_KPdEv13rocblas_fill_17rocblas_diagonal_iiT1_lPT2_llS9_llPT3_lli,@function
_ZL23rocblas_trmm_lNx_kernelILi32EdPKdKS1_KPdEv13rocblas_fill_17rocblas_diagonal_iiT1_lPT2_llS9_llPT3_lli: ; @_ZL23rocblas_trmm_lNx_kernelILi32EdPKdKS1_KPdEv13rocblas_fill_17rocblas_diagonal_iiT1_lPT2_llS9_llPT3_lli
; %bb.0:
	s_load_b32 s28, s[0:1], 0x68
	s_lshr_b32 s2, ttmp7, 16
	s_wait_kmcnt 0x0
	s_cmp_ge_u32 s2, s28
	s_cbranch_scc1 .LBB156_19
; %bb.1:
	s_clause 0x3
	s_load_b128 s[24:27], s[0:1], 0x0
	s_load_b512 s[4:19], s[0:1], 0x10
	s_load_b128 s[20:23], s[0:1], 0x50
	s_load_b64 s[34:35], s[0:1], 0x60
	v_bfe_u32 v11, v0, 10, 10
	s_delay_alu instid0(VALU_DEP_1)
	v_lshl_add_u32 v17, v11, 8, 0x2000
	s_wait_kmcnt 0x0
	s_add_co_i32 s1, s27, -1
	v_mad_co_u64_u32 v[4:5], null, s16, v11, 0
	v_mad_co_u64_u32 v[6:7], null, s22, v11, 0
	;; [unrolled: 1-line block ×3, first 2 shown]
	s_ashr_i32 s3, s1, 31
	v_dual_mov_b32 v3, v5 :: v_dual_and_b32 v12, 0x3ff, v0
	s_lshr_b32 s3, s3, 27
	v_dual_mov_b32 v5, v7 :: v_dual_lshlrev_b32 v0, 5, v11
	s_add_co_i32 s3, s1, s3
	s_delay_alu instid0(VALU_DEP_2)
	v_mad_co_u64_u32 v[7:8], null, s11, v11, v[2:3]
	s_ashr_i32 s10, s3, 5
	s_and_not1_b32 s3, s3, 31
	v_cmp_gt_i32_e64 s0, s26, v11
	v_cmp_gt_i32_e64 s1, s26, v12
	s_sub_co_i32 s3, s27, s3
	v_mad_co_u64_u32 v[8:9], null, s17, v11, v[3:4]
	s_wait_alu 0xfffe
	s_cmp_ge_i32 ttmp9, s10
	v_mad_co_u64_u32 v[9:10], null, s23, v11, v[5:6]
	s_cselect_b32 s3, s3, 32
	s_and_b32 s26, s0, s1
	v_cmp_gt_i32_e64 s0, s3, v11
	s_lshl_b32 s10, ttmp9, 5
	v_dual_mov_b32 v2, v7 :: v_dual_mov_b32 v5, v8
	v_dual_mov_b32 v7, v9 :: v_dual_lshlrev_b32 v16, 3, v12
	v_add_lshl_u32 v14, v0, v12, 3
	v_cmp_eq_u32_e32 vcc_lo, v11, v12
	s_wait_alu 0xfffe
	s_ashr_i32 s11, s10, 31
	s_and_b32 s27, s1, s0
	s_cmp_eq_u32 s25, 0x84
	v_lshlrev_b64_e32 v[2:3], 3, v[1:2]
	s_cselect_b32 s0, -1, 0
	v_lshlrev_b64_e32 v[4:5], 3, v[4:5]
	v_lshlrev_b64_e32 v[6:7], 3, v[6:7]
	v_dual_mov_b32 v0, 0 :: v_dual_add_nc_u32 v15, 0x2000, v14
	s_and_b32 s29, vcc_lo, s0
	v_cmp_lt_u32_e64 s0, v12, v11
	v_cmp_gt_u32_e64 s1, v12, v11
	v_dual_mov_b32 v1, 0x3ff00000 :: v_dual_lshlrev_b32 v18, 3, v12
	v_add_nc_u32_e32 v19, 0x800, v16
	v_add_nc_u32_e32 v20, 0x1000, v16
	;; [unrolled: 1-line block ×3, first 2 shown]
	s_wait_alu 0xfffe
	s_mul_u64 s[16:17], s[16:17], s[10:11]
	s_mul_u64 s[36:37], s[22:23], s[10:11]
	s_cmp_lg_u32 s24, 0x79
	s_mov_b32 s3, 0
	s_cselect_b32 s30, -1, 0
	s_lshl_b64 s[10:11], s[12:13], 3
	s_lshl_b64 s[12:13], s[18:19], 3
	s_wait_alu 0xfffe
	s_lshl_b64 s[16:17], s[16:17], 3
	s_lshl_b64 s[18:19], s[34:35], 3
	;; [unrolled: 1-line block ×3, first 2 shown]
	s_branch .LBB156_4
.LBB156_2:                              ;   in Loop: Header=BB156_4 Depth=1
	s_or_b32 exec_lo, exec_lo, s24
.LBB156_3:                              ;   in Loop: Header=BB156_4 Depth=1
	s_add_co_i32 s2, s2, 0x10000
	s_wait_alu 0xfffe
	s_cmp_lt_u32 s2, s28
	s_cbranch_scc0 .LBB156_19
.LBB156_4:                              ; =>This Inner Loop Header: Depth=1
	s_mul_u64 s[24:25], s[6:7], s[2:3]
	s_delay_alu instid0(SALU_CYCLE_1) | instskip(NEXT) | instid1(SALU_CYCLE_1)
	s_lshl_b64 s[24:25], s[24:25], 3
	s_add_nc_u64 s[24:25], s[4:5], s[24:25]
	global_load_b64 v[8:9], v0, s[24:25]
	s_wait_loadcnt 0x0
	v_cmp_eq_f64_e32 vcc_lo, 0, v[8:9]
	s_cbranch_vccnz .LBB156_3
; %bb.5:                                ;   in Loop: Header=BB156_4 Depth=1
	s_lshl_b64 s[24:25], s[2:3], 3
	s_delay_alu instid0(SALU_CYCLE_1)
	s_add_nc_u64 s[34:35], s[14:15], s[24:25]
	s_add_nc_u64 s[36:37], s[20:21], s[24:25]
	s_clause 0x1
	global_load_b64 v[12:13], v0, s[34:35]
	global_load_b64 v[10:11], v0, s[36:37]
	s_mov_b32 s34, s3
	s_mov_b32 s35, s3
	s_wait_alu 0xfffe
	v_dual_mov_b32 v22, s34 :: v_dual_mov_b32 v23, s35
	ds_store_b64 v14, v[22:23]
	ds_store_b64 v15, v[22:23]
	s_and_saveexec_b32 s31, s26
	s_cbranch_execnz .LBB156_10
; %bb.6:                                ;   in Loop: Header=BB156_4 Depth=1
	s_or_b32 exec_lo, exec_lo, s31
	s_and_saveexec_b32 s24, s27
	s_cbranch_execnz .LBB156_11
.LBB156_7:                              ;   in Loop: Header=BB156_4 Depth=1
	s_or_b32 exec_lo, exec_lo, s24
	s_and_saveexec_b32 s24, s29
	s_cbranch_execnz .LBB156_12
.LBB156_8:                              ;   in Loop: Header=BB156_4 Depth=1
	s_or_b32 exec_lo, exec_lo, s24
	s_delay_alu instid0(SALU_CYCLE_1)
	s_and_b32 vcc_lo, exec_lo, s30
	s_wait_alu 0xfffe
	s_cbranch_vccz .LBB156_13
.LBB156_9:                              ;   in Loop: Header=BB156_4 Depth=1
	s_and_b32 s24, s0, exec_lo
	s_cbranch_execz .LBB156_14
	s_branch .LBB156_15
.LBB156_10:                             ;   in Loop: Header=BB156_4 Depth=1
	s_add_nc_u64 s[24:25], s[8:9], s[24:25]
	global_load_b64 v[22:23], v0, s[24:25]
	s_wait_loadcnt 0x0
	v_add_co_u32 v22, vcc_lo, v22, s10
	s_wait_alu 0xfffd
	v_add_co_ci_u32_e64 v23, null, s11, v23, vcc_lo
	s_delay_alu instid0(VALU_DEP_2) | instskip(SKIP_1) | instid1(VALU_DEP_2)
	v_add_co_u32 v22, vcc_lo, v22, v2
	s_wait_alu 0xfffd
	v_add_co_ci_u32_e64 v23, null, v23, v3, vcc_lo
	s_delay_alu instid0(VALU_DEP_2) | instskip(SKIP_1) | instid1(VALU_DEP_2)
	v_add_co_u32 v22, vcc_lo, v22, v18
	s_wait_alu 0xfffd
	v_add_co_ci_u32_e64 v23, null, 0, v23, vcc_lo
	flat_load_b64 v[22:23], v[22:23]
	s_wait_loadcnt_dscnt 0x0
	ds_store_b64 v14, v[22:23]
	s_or_b32 exec_lo, exec_lo, s31
	s_and_saveexec_b32 s24, s27
	s_cbranch_execz .LBB156_7
.LBB156_11:                             ;   in Loop: Header=BB156_4 Depth=1
	s_wait_loadcnt 0x1
	v_add_co_u32 v12, vcc_lo, v12, s12
	s_wait_alu 0xfffd
	v_add_co_ci_u32_e64 v13, null, s13, v13, vcc_lo
	s_wait_alu 0xfffe
	s_delay_alu instid0(VALU_DEP_2) | instskip(SKIP_1) | instid1(VALU_DEP_2)
	v_add_co_u32 v12, vcc_lo, v12, s16
	s_wait_alu 0xfffd
	v_add_co_ci_u32_e64 v13, null, s17, v13, vcc_lo
	s_delay_alu instid0(VALU_DEP_2) | instskip(SKIP_1) | instid1(VALU_DEP_2)
	v_add_co_u32 v12, vcc_lo, v12, v4
	s_wait_alu 0xfffd
	v_add_co_ci_u32_e64 v13, null, v13, v5, vcc_lo
	;; [unrolled: 4-line block ×3, first 2 shown]
	flat_load_b64 v[12:13], v[12:13]
	s_wait_loadcnt_dscnt 0x0
	ds_store_b64 v15, v[12:13]
	s_or_b32 exec_lo, exec_lo, s24
	s_and_saveexec_b32 s24, s29
	s_cbranch_execz .LBB156_8
.LBB156_12:                             ;   in Loop: Header=BB156_4 Depth=1
	ds_store_b64 v14, v[0:1]
	s_or_b32 exec_lo, exec_lo, s24
	s_delay_alu instid0(SALU_CYCLE_1)
	s_and_b32 vcc_lo, exec_lo, s30
	s_wait_alu 0xfffe
	s_cbranch_vccnz .LBB156_9
.LBB156_13:                             ;   in Loop: Header=BB156_4 Depth=1
	s_mov_b32 s24, 0
.LBB156_14:                             ;   in Loop: Header=BB156_4 Depth=1
	s_delay_alu instid0(SALU_CYCLE_1) | instskip(SKIP_1) | instid1(SALU_CYCLE_1)
	s_and_not1_b32 s24, s24, exec_lo
	s_and_b32 s25, s1, exec_lo
	s_or_b32 s24, s24, s25
.LBB156_15:                             ;   in Loop: Header=BB156_4 Depth=1
	s_delay_alu instid0(SALU_CYCLE_1)
	s_and_saveexec_b32 s25, s24
	s_cbranch_execz .LBB156_17
; %bb.16:                               ;   in Loop: Header=BB156_4 Depth=1
	s_wait_loadcnt 0x1
	v_dual_mov_b32 v12, v0 :: v_dual_mov_b32 v13, v0
	ds_store_b64 v14, v[12:13]
.LBB156_17:                             ;   in Loop: Header=BB156_4 Depth=1
	s_or_b32 exec_lo, exec_lo, s25
	s_wait_loadcnt_dscnt 0x0
	s_barrier_signal -1
	s_barrier_wait -1
	global_inv scope:SCOPE_SE
	s_and_saveexec_b32 s24, s27
	s_cbranch_execz .LBB156_2
; %bb.18:                               ;   in Loop: Header=BB156_4 Depth=1
	ds_load_2addr_b64 v[22:25], v16 offset1:32
	ds_load_b128 v[26:29], v17
	ds_load_b128 v[30:33], v17 offset:16
	v_add_co_u32 v10, vcc_lo, v10, s18
	s_wait_alu 0xfffd
	v_add_co_ci_u32_e64 v11, null, s19, v11, vcc_lo
	s_wait_alu 0xfffe
	s_delay_alu instid0(VALU_DEP_2) | instskip(SKIP_1) | instid1(VALU_DEP_2)
	v_add_co_u32 v10, vcc_lo, v10, s22
	s_wait_alu 0xfffd
	v_add_co_ci_u32_e64 v11, null, s23, v11, vcc_lo
	s_delay_alu instid0(VALU_DEP_2) | instskip(SKIP_1) | instid1(VALU_DEP_2)
	v_add_co_u32 v10, vcc_lo, v10, v6
	s_wait_alu 0xfffd
	v_add_co_ci_u32_e64 v11, null, v11, v7, vcc_lo
	;; [unrolled: 4-line block ×3, first 2 shown]
	s_wait_dscnt 0x1
	v_fma_f64 v[12:13], v[22:23], v[26:27], 0
	s_delay_alu instid0(VALU_DEP_1) | instskip(SKIP_3) | instid1(VALU_DEP_1)
	v_fma_f64 v[12:13], v[24:25], v[28:29], v[12:13]
	ds_load_2addr_b64 v[22:25], v16 offset0:64 offset1:96
	s_wait_dscnt 0x0
	v_fma_f64 v[12:13], v[22:23], v[30:31], v[12:13]
	v_fma_f64 v[12:13], v[24:25], v[32:33], v[12:13]
	ds_load_2addr_b64 v[22:25], v16 offset0:128 offset1:160
	ds_load_b128 v[26:29], v17 offset:32
	ds_load_b128 v[30:33], v17 offset:48
	s_wait_dscnt 0x1
	v_fma_f64 v[12:13], v[22:23], v[26:27], v[12:13]
	s_delay_alu instid0(VALU_DEP_1) | instskip(SKIP_3) | instid1(VALU_DEP_1)
	v_fma_f64 v[12:13], v[24:25], v[28:29], v[12:13]
	ds_load_2addr_b64 v[22:25], v16 offset0:192 offset1:224
	s_wait_dscnt 0x0
	v_fma_f64 v[12:13], v[22:23], v[30:31], v[12:13]
	v_fma_f64 v[12:13], v[24:25], v[32:33], v[12:13]
	ds_load_2addr_b64 v[22:25], v19 offset1:32
	ds_load_b128 v[26:29], v17 offset:64
	ds_load_b128 v[30:33], v17 offset:80
	s_wait_dscnt 0x1
	v_fma_f64 v[12:13], v[22:23], v[26:27], v[12:13]
	s_delay_alu instid0(VALU_DEP_1) | instskip(SKIP_3) | instid1(VALU_DEP_1)
	v_fma_f64 v[12:13], v[24:25], v[28:29], v[12:13]
	ds_load_2addr_b64 v[22:25], v19 offset0:64 offset1:96
	s_wait_dscnt 0x0
	v_fma_f64 v[12:13], v[22:23], v[30:31], v[12:13]
	v_fma_f64 v[12:13], v[24:25], v[32:33], v[12:13]
	ds_load_2addr_b64 v[22:25], v19 offset0:128 offset1:160
	ds_load_b128 v[26:29], v17 offset:96
	ds_load_b128 v[30:33], v17 offset:112
	s_wait_dscnt 0x1
	v_fma_f64 v[12:13], v[22:23], v[26:27], v[12:13]
	s_delay_alu instid0(VALU_DEP_1) | instskip(SKIP_3) | instid1(VALU_DEP_1)
	v_fma_f64 v[12:13], v[24:25], v[28:29], v[12:13]
	ds_load_2addr_b64 v[22:25], v19 offset0:192 offset1:224
	s_wait_dscnt 0x0
	v_fma_f64 v[12:13], v[22:23], v[30:31], v[12:13]
	v_fma_f64 v[12:13], v[24:25], v[32:33], v[12:13]
	ds_load_2addr_b64 v[22:25], v20 offset1:32
	ds_load_b128 v[26:29], v17 offset:128
	ds_load_b128 v[30:33], v17 offset:144
	;; [unrolled: 22-line block ×3, first 2 shown]
	s_wait_dscnt 0x1
	v_fma_f64 v[12:13], v[22:23], v[26:27], v[12:13]
	s_delay_alu instid0(VALU_DEP_1) | instskip(SKIP_3) | instid1(VALU_DEP_1)
	v_fma_f64 v[12:13], v[24:25], v[28:29], v[12:13]
	ds_load_2addr_b64 v[22:25], v21 offset0:64 offset1:96
	s_wait_dscnt 0x0
	v_fma_f64 v[12:13], v[22:23], v[30:31], v[12:13]
	v_fma_f64 v[12:13], v[24:25], v[32:33], v[12:13]
	ds_load_2addr_b64 v[22:25], v21 offset0:128 offset1:160
	ds_load_b128 v[26:29], v17 offset:224
	ds_load_b128 v[30:33], v17 offset:240
	s_wait_dscnt 0x1
	v_fma_f64 v[12:13], v[22:23], v[26:27], v[12:13]
	s_delay_alu instid0(VALU_DEP_1) | instskip(SKIP_3) | instid1(VALU_DEP_1)
	v_fma_f64 v[12:13], v[24:25], v[28:29], v[12:13]
	ds_load_2addr_b64 v[22:25], v21 offset0:192 offset1:224
	s_wait_dscnt 0x0
	v_fma_f64 v[12:13], v[22:23], v[30:31], v[12:13]
	v_fma_f64 v[12:13], v[24:25], v[32:33], v[12:13]
	s_delay_alu instid0(VALU_DEP_1)
	v_mul_f64_e32 v[8:9], v[8:9], v[12:13]
	flat_store_b64 v[10:11], v[8:9]
	s_branch .LBB156_2
.LBB156_19:
	s_endpgm
	.section	.rodata,"a",@progbits
	.p2align	6, 0x0
	.amdhsa_kernel _ZL23rocblas_trmm_lNx_kernelILi32EdPKdKS1_KPdEv13rocblas_fill_17rocblas_diagonal_iiT1_lPT2_llS9_llPT3_lli
		.amdhsa_group_segment_fixed_size 16384
		.amdhsa_private_segment_fixed_size 0
		.amdhsa_kernarg_size 108
		.amdhsa_user_sgpr_count 2
		.amdhsa_user_sgpr_dispatch_ptr 0
		.amdhsa_user_sgpr_queue_ptr 0
		.amdhsa_user_sgpr_kernarg_segment_ptr 1
		.amdhsa_user_sgpr_dispatch_id 0
		.amdhsa_user_sgpr_private_segment_size 0
		.amdhsa_wavefront_size32 1
		.amdhsa_uses_dynamic_stack 0
		.amdhsa_enable_private_segment 0
		.amdhsa_system_sgpr_workgroup_id_x 1
		.amdhsa_system_sgpr_workgroup_id_y 0
		.amdhsa_system_sgpr_workgroup_id_z 1
		.amdhsa_system_sgpr_workgroup_info 0
		.amdhsa_system_vgpr_workitem_id 1
		.amdhsa_next_free_vgpr 34
		.amdhsa_next_free_sgpr 38
		.amdhsa_reserve_vcc 1
		.amdhsa_float_round_mode_32 0
		.amdhsa_float_round_mode_16_64 0
		.amdhsa_float_denorm_mode_32 3
		.amdhsa_float_denorm_mode_16_64 3
		.amdhsa_fp16_overflow 0
		.amdhsa_workgroup_processor_mode 1
		.amdhsa_memory_ordered 1
		.amdhsa_forward_progress 1
		.amdhsa_inst_pref_size 14
		.amdhsa_round_robin_scheduling 0
		.amdhsa_exception_fp_ieee_invalid_op 0
		.amdhsa_exception_fp_denorm_src 0
		.amdhsa_exception_fp_ieee_div_zero 0
		.amdhsa_exception_fp_ieee_overflow 0
		.amdhsa_exception_fp_ieee_underflow 0
		.amdhsa_exception_fp_ieee_inexact 0
		.amdhsa_exception_int_div_zero 0
	.end_amdhsa_kernel
	.section	.text._ZL23rocblas_trmm_lNx_kernelILi32EdPKdKS1_KPdEv13rocblas_fill_17rocblas_diagonal_iiT1_lPT2_llS9_llPT3_lli,"axG",@progbits,_ZL23rocblas_trmm_lNx_kernelILi32EdPKdKS1_KPdEv13rocblas_fill_17rocblas_diagonal_iiT1_lPT2_llS9_llPT3_lli,comdat
.Lfunc_end156:
	.size	_ZL23rocblas_trmm_lNx_kernelILi32EdPKdKS1_KPdEv13rocblas_fill_17rocblas_diagonal_iiT1_lPT2_llS9_llPT3_lli, .Lfunc_end156-_ZL23rocblas_trmm_lNx_kernelILi32EdPKdKS1_KPdEv13rocblas_fill_17rocblas_diagonal_iiT1_lPT2_llS9_llPT3_lli
                                        ; -- End function
	.set _ZL23rocblas_trmm_lNx_kernelILi32EdPKdKS1_KPdEv13rocblas_fill_17rocblas_diagonal_iiT1_lPT2_llS9_llPT3_lli.num_vgpr, 34
	.set _ZL23rocblas_trmm_lNx_kernelILi32EdPKdKS1_KPdEv13rocblas_fill_17rocblas_diagonal_iiT1_lPT2_llS9_llPT3_lli.num_agpr, 0
	.set _ZL23rocblas_trmm_lNx_kernelILi32EdPKdKS1_KPdEv13rocblas_fill_17rocblas_diagonal_iiT1_lPT2_llS9_llPT3_lli.numbered_sgpr, 38
	.set _ZL23rocblas_trmm_lNx_kernelILi32EdPKdKS1_KPdEv13rocblas_fill_17rocblas_diagonal_iiT1_lPT2_llS9_llPT3_lli.num_named_barrier, 0
	.set _ZL23rocblas_trmm_lNx_kernelILi32EdPKdKS1_KPdEv13rocblas_fill_17rocblas_diagonal_iiT1_lPT2_llS9_llPT3_lli.private_seg_size, 0
	.set _ZL23rocblas_trmm_lNx_kernelILi32EdPKdKS1_KPdEv13rocblas_fill_17rocblas_diagonal_iiT1_lPT2_llS9_llPT3_lli.uses_vcc, 1
	.set _ZL23rocblas_trmm_lNx_kernelILi32EdPKdKS1_KPdEv13rocblas_fill_17rocblas_diagonal_iiT1_lPT2_llS9_llPT3_lli.uses_flat_scratch, 0
	.set _ZL23rocblas_trmm_lNx_kernelILi32EdPKdKS1_KPdEv13rocblas_fill_17rocblas_diagonal_iiT1_lPT2_llS9_llPT3_lli.has_dyn_sized_stack, 0
	.set _ZL23rocblas_trmm_lNx_kernelILi32EdPKdKS1_KPdEv13rocblas_fill_17rocblas_diagonal_iiT1_lPT2_llS9_llPT3_lli.has_recursion, 0
	.set _ZL23rocblas_trmm_lNx_kernelILi32EdPKdKS1_KPdEv13rocblas_fill_17rocblas_diagonal_iiT1_lPT2_llS9_llPT3_lli.has_indirect_call, 0
	.section	.AMDGPU.csdata,"",@progbits
; Kernel info:
; codeLenInByte = 1736
; TotalNumSgprs: 40
; NumVgprs: 34
; ScratchSize: 0
; MemoryBound: 0
; FloatMode: 240
; IeeeMode: 1
; LDSByteSize: 16384 bytes/workgroup (compile time only)
; SGPRBlocks: 0
; VGPRBlocks: 4
; NumSGPRsForWavesPerEU: 40
; NumVGPRsForWavesPerEU: 34
; Occupancy: 16
; WaveLimiterHint : 1
; COMPUTE_PGM_RSRC2:SCRATCH_EN: 0
; COMPUTE_PGM_RSRC2:USER_SGPR: 2
; COMPUTE_PGM_RSRC2:TRAP_HANDLER: 0
; COMPUTE_PGM_RSRC2:TGID_X_EN: 1
; COMPUTE_PGM_RSRC2:TGID_Y_EN: 0
; COMPUTE_PGM_RSRC2:TGID_Z_EN: 1
; COMPUTE_PGM_RSRC2:TIDIG_COMP_CNT: 1
	.section	.text._ZL23rocblas_trmm_lNx_kernelILi32EddKPKdKPdEv13rocblas_fill_17rocblas_diagonal_iiT1_lPT2_llS9_llPT3_lli,"axG",@progbits,_ZL23rocblas_trmm_lNx_kernelILi32EddKPKdKPdEv13rocblas_fill_17rocblas_diagonal_iiT1_lPT2_llS9_llPT3_lli,comdat
	.globl	_ZL23rocblas_trmm_lNx_kernelILi32EddKPKdKPdEv13rocblas_fill_17rocblas_diagonal_iiT1_lPT2_llS9_llPT3_lli ; -- Begin function _ZL23rocblas_trmm_lNx_kernelILi32EddKPKdKPdEv13rocblas_fill_17rocblas_diagonal_iiT1_lPT2_llS9_llPT3_lli
	.p2align	8
	.type	_ZL23rocblas_trmm_lNx_kernelILi32EddKPKdKPdEv13rocblas_fill_17rocblas_diagonal_iiT1_lPT2_llS9_llPT3_lli,@function
_ZL23rocblas_trmm_lNx_kernelILi32EddKPKdKPdEv13rocblas_fill_17rocblas_diagonal_iiT1_lPT2_llS9_llPT3_lli: ; @_ZL23rocblas_trmm_lNx_kernelILi32EddKPKdKPdEv13rocblas_fill_17rocblas_diagonal_iiT1_lPT2_llS9_llPT3_lli
; %bb.0:
	s_load_b32 s26, s[0:1], 0x68
	s_lshr_b32 s2, ttmp7, 16
	s_wait_kmcnt 0x0
	s_cmp_ge_u32 s2, s26
	s_cbranch_scc1 .LBB157_19
; %bb.1:
	s_clause 0x3
	s_load_b128 s[20:23], s[0:1], 0x0
	s_load_b512 s[4:19], s[0:1], 0x20
	s_load_b64 s[24:25], s[0:1], 0x10
	s_load_b64 s[30:31], s[0:1], 0x60
	v_bfe_u32 v11, v0, 10, 10
	s_delay_alu instid0(VALU_DEP_1)
	v_lshl_add_u32 v15, v11, 8, 0x2000
	s_wait_kmcnt 0x0
	s_add_co_i32 s1, s23, -1
	v_cmp_neq_f64_e64 s29, s[24:25], 0
	v_mad_co_u64_u32 v[4:5], null, s12, v11, 0
	v_mad_co_u64_u32 v[6:7], null, s18, v11, 0
	v_mad_co_u64_u32 v[1:2], null, s6, v11, 0
	s_ashr_i32 s3, s1, 31
	v_dual_mov_b32 v3, v5 :: v_dual_and_b32 v16, 0x3ff, v0
	s_lshr_b32 s3, s3, 27
	v_dual_mov_b32 v5, v7 :: v_dual_lshlrev_b32 v0, 5, v11
	s_add_co_i32 s3, s1, s3
	s_delay_alu instid0(VALU_DEP_2)
	v_mad_co_u64_u32 v[7:8], null, s7, v11, v[2:3]
	s_ashr_i32 s6, s3, 5
	s_and_not1_b32 s3, s3, 31
	v_cmp_gt_i32_e64 s0, s22, v11
	v_cmp_gt_i32_e64 s1, s22, v16
	s_sub_co_i32 s3, s23, s3
	v_mad_co_u64_u32 v[8:9], null, s13, v11, v[3:4]
	s_wait_alu 0xfffe
	s_cmp_ge_i32 ttmp9, s6
	v_mad_co_u64_u32 v[9:10], null, s19, v11, v[5:6]
	s_cselect_b32 s3, s3, 32
	s_and_b32 s22, s0, s1
	v_cmp_gt_i32_e64 s0, s3, v11
	s_lshl_b32 s6, ttmp9, 5
	v_dual_mov_b32 v2, v7 :: v_dual_mov_b32 v5, v8
	v_dual_mov_b32 v7, v9 :: v_dual_lshlrev_b32 v14, 3, v16
	v_add_lshl_u32 v12, v0, v16, 3
	v_cmp_eq_u32_e32 vcc_lo, v11, v16
	s_wait_alu 0xfffe
	s_ashr_i32 s7, s6, 31
	s_and_b32 s23, s1, s0
	s_cmp_eq_u32 s21, 0x84
	v_lshlrev_b64_e32 v[2:3], 3, v[1:2]
	s_cselect_b32 s0, -1, 0
	v_lshlrev_b64_e32 v[4:5], 3, v[4:5]
	v_lshlrev_b64_e32 v[6:7], 3, v[6:7]
	v_dual_mov_b32 v0, 0 :: v_dual_add_nc_u32 v13, 0x2000, v12
	s_and_b32 s27, vcc_lo, s0
	v_cmp_lt_u32_e64 s0, v16, v11
	v_cmp_gt_u32_e64 s1, v16, v11
	v_dual_mov_b32 v1, 0x3ff00000 :: v_dual_lshlrev_b32 v16, 3, v16
	v_add_nc_u32_e32 v17, 0x800, v14
	v_add_nc_u32_e32 v18, 0x1000, v14
	v_add_nc_u32_e32 v19, 0x1800, v14
	s_wait_alu 0xfffe
	s_mul_u64 s[12:13], s[12:13], s[6:7]
	s_mul_u64 s[34:35], s[18:19], s[6:7]
	s_cmp_lg_u32 s20, 0x79
	s_mov_b32 s3, 0
	s_cselect_b32 s28, -1, 0
	s_lshl_b64 s[6:7], s[8:9], 3
	s_lshl_b64 s[8:9], s[14:15], 3
	s_wait_alu 0xfffe
	s_lshl_b64 s[12:13], s[12:13], 3
	s_lshl_b64 s[14:15], s[30:31], 3
	;; [unrolled: 1-line block ×3, first 2 shown]
	s_branch .LBB157_4
.LBB157_2:                              ;   in Loop: Header=BB157_4 Depth=1
	s_or_b32 exec_lo, exec_lo, s20
.LBB157_3:                              ;   in Loop: Header=BB157_4 Depth=1
	s_add_co_i32 s2, s2, 0x10000
	s_wait_alu 0xfffe
	s_cmp_lt_u32 s2, s26
	s_cbranch_scc0 .LBB157_19
.LBB157_4:                              ; =>This Inner Loop Header: Depth=1
	s_and_not1_b32 vcc_lo, exec_lo, s29
	s_wait_alu 0xfffe
	s_cbranch_vccnz .LBB157_3
; %bb.5:                                ;   in Loop: Header=BB157_4 Depth=1
	s_lshl_b64 s[20:21], s[2:3], 3
	s_delay_alu instid0(SALU_CYCLE_1)
	s_add_nc_u64 s[30:31], s[10:11], s[20:21]
	s_add_nc_u64 s[34:35], s[16:17], s[20:21]
	s_clause 0x1
	global_load_b64 v[10:11], v0, s[30:31]
	global_load_b64 v[8:9], v0, s[34:35]
	s_mov_b32 s30, s3
	s_mov_b32 s31, s3
	s_wait_alu 0xfffe
	v_dual_mov_b32 v20, s30 :: v_dual_mov_b32 v21, s31
	ds_store_b64 v12, v[20:21]
	ds_store_b64 v13, v[20:21]
	s_and_saveexec_b32 s30, s22
	s_cbranch_execnz .LBB157_10
; %bb.6:                                ;   in Loop: Header=BB157_4 Depth=1
	s_wait_alu 0xfffe
	s_or_b32 exec_lo, exec_lo, s30
	s_and_saveexec_b32 s20, s23
	s_cbranch_execnz .LBB157_11
.LBB157_7:                              ;   in Loop: Header=BB157_4 Depth=1
	s_or_b32 exec_lo, exec_lo, s20
	s_and_saveexec_b32 s20, s27
	s_cbranch_execnz .LBB157_12
.LBB157_8:                              ;   in Loop: Header=BB157_4 Depth=1
	s_or_b32 exec_lo, exec_lo, s20
	s_delay_alu instid0(SALU_CYCLE_1)
	s_and_b32 vcc_lo, exec_lo, s28
	s_wait_alu 0xfffe
	s_cbranch_vccz .LBB157_13
.LBB157_9:                              ;   in Loop: Header=BB157_4 Depth=1
	s_and_b32 s20, s0, exec_lo
	s_cbranch_execz .LBB157_14
	s_branch .LBB157_15
.LBB157_10:                             ;   in Loop: Header=BB157_4 Depth=1
	s_add_nc_u64 s[20:21], s[4:5], s[20:21]
	global_load_b64 v[20:21], v0, s[20:21]
	s_wait_loadcnt 0x0
	v_add_co_u32 v20, vcc_lo, v20, s6
	s_wait_alu 0xfffd
	v_add_co_ci_u32_e64 v21, null, s7, v21, vcc_lo
	s_delay_alu instid0(VALU_DEP_2) | instskip(SKIP_1) | instid1(VALU_DEP_2)
	v_add_co_u32 v20, vcc_lo, v20, v2
	s_wait_alu 0xfffd
	v_add_co_ci_u32_e64 v21, null, v21, v3, vcc_lo
	s_delay_alu instid0(VALU_DEP_2) | instskip(SKIP_1) | instid1(VALU_DEP_2)
	v_add_co_u32 v20, vcc_lo, v20, v16
	s_wait_alu 0xfffd
	v_add_co_ci_u32_e64 v21, null, 0, v21, vcc_lo
	flat_load_b64 v[20:21], v[20:21]
	s_wait_loadcnt_dscnt 0x0
	ds_store_b64 v12, v[20:21]
	s_wait_alu 0xfffe
	s_or_b32 exec_lo, exec_lo, s30
	s_and_saveexec_b32 s20, s23
	s_cbranch_execz .LBB157_7
.LBB157_11:                             ;   in Loop: Header=BB157_4 Depth=1
	s_wait_loadcnt 0x1
	v_add_co_u32 v10, vcc_lo, v10, s8
	s_wait_alu 0xfffd
	v_add_co_ci_u32_e64 v11, null, s9, v11, vcc_lo
	s_delay_alu instid0(VALU_DEP_2) | instskip(SKIP_1) | instid1(VALU_DEP_2)
	v_add_co_u32 v10, vcc_lo, v10, s12
	s_wait_alu 0xfffd
	v_add_co_ci_u32_e64 v11, null, s13, v11, vcc_lo
	s_delay_alu instid0(VALU_DEP_2) | instskip(SKIP_1) | instid1(VALU_DEP_2)
	;; [unrolled: 4-line block ×3, first 2 shown]
	v_add_co_u32 v10, vcc_lo, v10, v16
	s_wait_alu 0xfffd
	v_add_co_ci_u32_e64 v11, null, 0, v11, vcc_lo
	flat_load_b64 v[10:11], v[10:11]
	s_wait_loadcnt_dscnt 0x0
	ds_store_b64 v13, v[10:11]
	s_or_b32 exec_lo, exec_lo, s20
	s_and_saveexec_b32 s20, s27
	s_cbranch_execz .LBB157_8
.LBB157_12:                             ;   in Loop: Header=BB157_4 Depth=1
	ds_store_b64 v12, v[0:1]
	s_or_b32 exec_lo, exec_lo, s20
	s_delay_alu instid0(SALU_CYCLE_1)
	s_and_b32 vcc_lo, exec_lo, s28
	s_wait_alu 0xfffe
	s_cbranch_vccnz .LBB157_9
.LBB157_13:                             ;   in Loop: Header=BB157_4 Depth=1
	s_mov_b32 s20, 0
.LBB157_14:                             ;   in Loop: Header=BB157_4 Depth=1
	s_delay_alu instid0(SALU_CYCLE_1) | instskip(SKIP_1) | instid1(SALU_CYCLE_1)
	s_and_not1_b32 s20, s20, exec_lo
	s_and_b32 s21, s1, exec_lo
	s_or_b32 s20, s20, s21
.LBB157_15:                             ;   in Loop: Header=BB157_4 Depth=1
	s_delay_alu instid0(SALU_CYCLE_1)
	s_and_saveexec_b32 s21, s20
	s_cbranch_execz .LBB157_17
; %bb.16:                               ;   in Loop: Header=BB157_4 Depth=1
	s_wait_loadcnt 0x1
	v_dual_mov_b32 v10, v0 :: v_dual_mov_b32 v11, v0
	ds_store_b64 v12, v[10:11]
.LBB157_17:                             ;   in Loop: Header=BB157_4 Depth=1
	s_or_b32 exec_lo, exec_lo, s21
	s_wait_loadcnt_dscnt 0x0
	s_barrier_signal -1
	s_barrier_wait -1
	global_inv scope:SCOPE_SE
	s_and_saveexec_b32 s20, s23
	s_cbranch_execz .LBB157_2
; %bb.18:                               ;   in Loop: Header=BB157_4 Depth=1
	ds_load_2addr_b64 v[20:23], v14 offset1:32
	ds_load_b128 v[24:27], v15
	ds_load_b128 v[28:31], v15 offset:16
	v_add_co_u32 v8, vcc_lo, v8, s14
	s_wait_alu 0xfffd
	v_add_co_ci_u32_e64 v9, null, s15, v9, vcc_lo
	s_delay_alu instid0(VALU_DEP_2) | instskip(SKIP_1) | instid1(VALU_DEP_2)
	v_add_co_u32 v8, vcc_lo, v8, s18
	s_wait_alu 0xfffd
	v_add_co_ci_u32_e64 v9, null, s19, v9, vcc_lo
	s_delay_alu instid0(VALU_DEP_2) | instskip(SKIP_1) | instid1(VALU_DEP_2)
	;; [unrolled: 4-line block ×3, first 2 shown]
	v_add_co_u32 v8, vcc_lo, v8, v16
	s_wait_alu 0xfffd
	v_add_co_ci_u32_e64 v9, null, 0, v9, vcc_lo
	s_wait_dscnt 0x1
	v_fma_f64 v[10:11], v[20:21], v[24:25], 0
	s_delay_alu instid0(VALU_DEP_1) | instskip(SKIP_3) | instid1(VALU_DEP_1)
	v_fma_f64 v[10:11], v[22:23], v[26:27], v[10:11]
	ds_load_2addr_b64 v[20:23], v14 offset0:64 offset1:96
	s_wait_dscnt 0x0
	v_fma_f64 v[10:11], v[20:21], v[28:29], v[10:11]
	v_fma_f64 v[10:11], v[22:23], v[30:31], v[10:11]
	ds_load_2addr_b64 v[20:23], v14 offset0:128 offset1:160
	ds_load_b128 v[24:27], v15 offset:32
	ds_load_b128 v[28:31], v15 offset:48
	s_wait_dscnt 0x1
	v_fma_f64 v[10:11], v[20:21], v[24:25], v[10:11]
	s_delay_alu instid0(VALU_DEP_1) | instskip(SKIP_3) | instid1(VALU_DEP_1)
	v_fma_f64 v[10:11], v[22:23], v[26:27], v[10:11]
	ds_load_2addr_b64 v[20:23], v14 offset0:192 offset1:224
	s_wait_dscnt 0x0
	v_fma_f64 v[10:11], v[20:21], v[28:29], v[10:11]
	v_fma_f64 v[10:11], v[22:23], v[30:31], v[10:11]
	ds_load_2addr_b64 v[20:23], v17 offset1:32
	ds_load_b128 v[24:27], v15 offset:64
	ds_load_b128 v[28:31], v15 offset:80
	s_wait_dscnt 0x1
	v_fma_f64 v[10:11], v[20:21], v[24:25], v[10:11]
	s_delay_alu instid0(VALU_DEP_1) | instskip(SKIP_3) | instid1(VALU_DEP_1)
	v_fma_f64 v[10:11], v[22:23], v[26:27], v[10:11]
	ds_load_2addr_b64 v[20:23], v17 offset0:64 offset1:96
	s_wait_dscnt 0x0
	v_fma_f64 v[10:11], v[20:21], v[28:29], v[10:11]
	v_fma_f64 v[10:11], v[22:23], v[30:31], v[10:11]
	ds_load_2addr_b64 v[20:23], v17 offset0:128 offset1:160
	ds_load_b128 v[24:27], v15 offset:96
	ds_load_b128 v[28:31], v15 offset:112
	s_wait_dscnt 0x1
	v_fma_f64 v[10:11], v[20:21], v[24:25], v[10:11]
	s_delay_alu instid0(VALU_DEP_1) | instskip(SKIP_3) | instid1(VALU_DEP_1)
	v_fma_f64 v[10:11], v[22:23], v[26:27], v[10:11]
	ds_load_2addr_b64 v[20:23], v17 offset0:192 offset1:224
	s_wait_dscnt 0x0
	v_fma_f64 v[10:11], v[20:21], v[28:29], v[10:11]
	v_fma_f64 v[10:11], v[22:23], v[30:31], v[10:11]
	ds_load_2addr_b64 v[20:23], v18 offset1:32
	ds_load_b128 v[24:27], v15 offset:128
	ds_load_b128 v[28:31], v15 offset:144
	;; [unrolled: 22-line block ×3, first 2 shown]
	s_wait_dscnt 0x1
	v_fma_f64 v[10:11], v[20:21], v[24:25], v[10:11]
	s_delay_alu instid0(VALU_DEP_1) | instskip(SKIP_3) | instid1(VALU_DEP_1)
	v_fma_f64 v[10:11], v[22:23], v[26:27], v[10:11]
	ds_load_2addr_b64 v[20:23], v19 offset0:64 offset1:96
	s_wait_dscnt 0x0
	v_fma_f64 v[10:11], v[20:21], v[28:29], v[10:11]
	v_fma_f64 v[10:11], v[22:23], v[30:31], v[10:11]
	ds_load_2addr_b64 v[20:23], v19 offset0:128 offset1:160
	ds_load_b128 v[24:27], v15 offset:224
	ds_load_b128 v[28:31], v15 offset:240
	s_wait_dscnt 0x1
	v_fma_f64 v[10:11], v[20:21], v[24:25], v[10:11]
	s_delay_alu instid0(VALU_DEP_1) | instskip(SKIP_3) | instid1(VALU_DEP_1)
	v_fma_f64 v[10:11], v[22:23], v[26:27], v[10:11]
	ds_load_2addr_b64 v[20:23], v19 offset0:192 offset1:224
	s_wait_dscnt 0x0
	v_fma_f64 v[10:11], v[20:21], v[28:29], v[10:11]
	v_fma_f64 v[10:11], v[22:23], v[30:31], v[10:11]
	s_delay_alu instid0(VALU_DEP_1)
	v_mul_f64_e32 v[10:11], s[24:25], v[10:11]
	flat_store_b64 v[8:9], v[10:11]
	s_branch .LBB157_2
.LBB157_19:
	s_endpgm
	.section	.rodata,"a",@progbits
	.p2align	6, 0x0
	.amdhsa_kernel _ZL23rocblas_trmm_lNx_kernelILi32EddKPKdKPdEv13rocblas_fill_17rocblas_diagonal_iiT1_lPT2_llS9_llPT3_lli
		.amdhsa_group_segment_fixed_size 16384
		.amdhsa_private_segment_fixed_size 0
		.amdhsa_kernarg_size 108
		.amdhsa_user_sgpr_count 2
		.amdhsa_user_sgpr_dispatch_ptr 0
		.amdhsa_user_sgpr_queue_ptr 0
		.amdhsa_user_sgpr_kernarg_segment_ptr 1
		.amdhsa_user_sgpr_dispatch_id 0
		.amdhsa_user_sgpr_private_segment_size 0
		.amdhsa_wavefront_size32 1
		.amdhsa_uses_dynamic_stack 0
		.amdhsa_enable_private_segment 0
		.amdhsa_system_sgpr_workgroup_id_x 1
		.amdhsa_system_sgpr_workgroup_id_y 0
		.amdhsa_system_sgpr_workgroup_id_z 1
		.amdhsa_system_sgpr_workgroup_info 0
		.amdhsa_system_vgpr_workitem_id 1
		.amdhsa_next_free_vgpr 32
		.amdhsa_next_free_sgpr 36
		.amdhsa_reserve_vcc 1
		.amdhsa_float_round_mode_32 0
		.amdhsa_float_round_mode_16_64 0
		.amdhsa_float_denorm_mode_32 3
		.amdhsa_float_denorm_mode_16_64 3
		.amdhsa_fp16_overflow 0
		.amdhsa_workgroup_processor_mode 1
		.amdhsa_memory_ordered 1
		.amdhsa_forward_progress 1
		.amdhsa_inst_pref_size 14
		.amdhsa_round_robin_scheduling 0
		.amdhsa_exception_fp_ieee_invalid_op 0
		.amdhsa_exception_fp_denorm_src 0
		.amdhsa_exception_fp_ieee_div_zero 0
		.amdhsa_exception_fp_ieee_overflow 0
		.amdhsa_exception_fp_ieee_underflow 0
		.amdhsa_exception_fp_ieee_inexact 0
		.amdhsa_exception_int_div_zero 0
	.end_amdhsa_kernel
	.section	.text._ZL23rocblas_trmm_lNx_kernelILi32EddKPKdKPdEv13rocblas_fill_17rocblas_diagonal_iiT1_lPT2_llS9_llPT3_lli,"axG",@progbits,_ZL23rocblas_trmm_lNx_kernelILi32EddKPKdKPdEv13rocblas_fill_17rocblas_diagonal_iiT1_lPT2_llS9_llPT3_lli,comdat
.Lfunc_end157:
	.size	_ZL23rocblas_trmm_lNx_kernelILi32EddKPKdKPdEv13rocblas_fill_17rocblas_diagonal_iiT1_lPT2_llS9_llPT3_lli, .Lfunc_end157-_ZL23rocblas_trmm_lNx_kernelILi32EddKPKdKPdEv13rocblas_fill_17rocblas_diagonal_iiT1_lPT2_llS9_llPT3_lli
                                        ; -- End function
	.set _ZL23rocblas_trmm_lNx_kernelILi32EddKPKdKPdEv13rocblas_fill_17rocblas_diagonal_iiT1_lPT2_llS9_llPT3_lli.num_vgpr, 32
	.set _ZL23rocblas_trmm_lNx_kernelILi32EddKPKdKPdEv13rocblas_fill_17rocblas_diagonal_iiT1_lPT2_llS9_llPT3_lli.num_agpr, 0
	.set _ZL23rocblas_trmm_lNx_kernelILi32EddKPKdKPdEv13rocblas_fill_17rocblas_diagonal_iiT1_lPT2_llS9_llPT3_lli.numbered_sgpr, 36
	.set _ZL23rocblas_trmm_lNx_kernelILi32EddKPKdKPdEv13rocblas_fill_17rocblas_diagonal_iiT1_lPT2_llS9_llPT3_lli.num_named_barrier, 0
	.set _ZL23rocblas_trmm_lNx_kernelILi32EddKPKdKPdEv13rocblas_fill_17rocblas_diagonal_iiT1_lPT2_llS9_llPT3_lli.private_seg_size, 0
	.set _ZL23rocblas_trmm_lNx_kernelILi32EddKPKdKPdEv13rocblas_fill_17rocblas_diagonal_iiT1_lPT2_llS9_llPT3_lli.uses_vcc, 1
	.set _ZL23rocblas_trmm_lNx_kernelILi32EddKPKdKPdEv13rocblas_fill_17rocblas_diagonal_iiT1_lPT2_llS9_llPT3_lli.uses_flat_scratch, 0
	.set _ZL23rocblas_trmm_lNx_kernelILi32EddKPKdKPdEv13rocblas_fill_17rocblas_diagonal_iiT1_lPT2_llS9_llPT3_lli.has_dyn_sized_stack, 0
	.set _ZL23rocblas_trmm_lNx_kernelILi32EddKPKdKPdEv13rocblas_fill_17rocblas_diagonal_iiT1_lPT2_llS9_llPT3_lli.has_recursion, 0
	.set _ZL23rocblas_trmm_lNx_kernelILi32EddKPKdKPdEv13rocblas_fill_17rocblas_diagonal_iiT1_lPT2_llS9_llPT3_lli.has_indirect_call, 0
	.section	.AMDGPU.csdata,"",@progbits
; Kernel info:
; codeLenInByte = 1716
; TotalNumSgprs: 38
; NumVgprs: 32
; ScratchSize: 0
; MemoryBound: 0
; FloatMode: 240
; IeeeMode: 1
; LDSByteSize: 16384 bytes/workgroup (compile time only)
; SGPRBlocks: 0
; VGPRBlocks: 3
; NumSGPRsForWavesPerEU: 38
; NumVGPRsForWavesPerEU: 32
; Occupancy: 16
; WaveLimiterHint : 1
; COMPUTE_PGM_RSRC2:SCRATCH_EN: 0
; COMPUTE_PGM_RSRC2:USER_SGPR: 2
; COMPUTE_PGM_RSRC2:TRAP_HANDLER: 0
; COMPUTE_PGM_RSRC2:TGID_X_EN: 1
; COMPUTE_PGM_RSRC2:TGID_Y_EN: 0
; COMPUTE_PGM_RSRC2:TGID_Z_EN: 1
; COMPUTE_PGM_RSRC2:TIDIG_COMP_CNT: 1
	.section	.text._ZL23rocblas_trmm_lTx_kernelILi32ELb0EdPKdKS1_KPdEv13rocblas_fill_17rocblas_diagonal_iiT2_lPT3_llS9_llPT4_lli,"axG",@progbits,_ZL23rocblas_trmm_lTx_kernelILi32ELb0EdPKdKS1_KPdEv13rocblas_fill_17rocblas_diagonal_iiT2_lPT3_llS9_llPT4_lli,comdat
	.globl	_ZL23rocblas_trmm_lTx_kernelILi32ELb0EdPKdKS1_KPdEv13rocblas_fill_17rocblas_diagonal_iiT2_lPT3_llS9_llPT4_lli ; -- Begin function _ZL23rocblas_trmm_lTx_kernelILi32ELb0EdPKdKS1_KPdEv13rocblas_fill_17rocblas_diagonal_iiT2_lPT3_llS9_llPT4_lli
	.p2align	8
	.type	_ZL23rocblas_trmm_lTx_kernelILi32ELb0EdPKdKS1_KPdEv13rocblas_fill_17rocblas_diagonal_iiT2_lPT3_llS9_llPT4_lli,@function
_ZL23rocblas_trmm_lTx_kernelILi32ELb0EdPKdKS1_KPdEv13rocblas_fill_17rocblas_diagonal_iiT2_lPT3_llS9_llPT4_lli: ; @_ZL23rocblas_trmm_lTx_kernelILi32ELb0EdPKdKS1_KPdEv13rocblas_fill_17rocblas_diagonal_iiT2_lPT3_llS9_llPT4_lli
; %bb.0:
	s_load_b32 s28, s[0:1], 0x68
	s_lshr_b32 s2, ttmp7, 16
	s_wait_kmcnt 0x0
	s_cmp_ge_u32 s2, s28
	s_cbranch_scc1 .LBB158_19
; %bb.1:
	s_clause 0x3
	s_load_b512 s[4:19], s[0:1], 0x10
	s_load_b128 s[24:27], s[0:1], 0x0
	s_load_b128 s[20:23], s[0:1], 0x50
	s_load_b64 s[30:31], s[0:1], 0x60
	v_bfe_u32 v11, v0, 10, 10
	s_delay_alu instid0(VALU_DEP_1)
	v_lshl_add_u32 v19, v11, 8, 0x2000
	v_lshlrev_b32_e32 v13, 3, v11
	s_wait_kmcnt 0x0
	v_mad_co_u64_u32 v[4:5], null, s16, v11, 0
	s_add_co_i32 s1, s27, -1
	v_mad_co_u64_u32 v[1:2], null, s10, v11, 0
	s_ashr_i32 s3, s1, 31
	v_and_b32_e32 v12, 0x3ff, v0
	v_mad_co_u64_u32 v[6:7], null, s22, v11, 0
	v_mov_b32_e32 v3, v5
	s_lshr_b32 s3, s3, 27
	v_lshlrev_b32_e32 v0, 5, v11
	s_add_co_i32 s1, s1, s3
	v_cmp_gt_i32_e32 vcc_lo, s26, v11
	s_ashr_i32 s3, s1, 5
	s_and_not1_b32 s1, s1, 31
	v_mad_co_u64_u32 v[8:9], null, s11, v11, v[2:3]
	v_cmp_gt_i32_e64 s0, s26, v12
	s_sub_co_i32 s1, s27, s1
	s_cmp_ge_i32 ttmp9, s3
	v_mad_co_u64_u32 v[9:10], null, s17, v11, v[3:4]
	v_mov_b32_e32 v3, v7
	v_add_lshl_u32 v16, v0, v12, 3
	s_cselect_b32 s1, s1, 32
	s_and_b32 s26, vcc_lo, s0
	v_cmp_gt_i32_e32 vcc_lo, s1, v11
	s_delay_alu instid0(VALU_DEP_2)
	v_dual_mov_b32 v2, v8 :: v_dual_add_nc_u32 v17, 0x2000, v16
	v_mad_co_u64_u32 v[7:8], null, s23, v11, v[3:4]
	s_lshl_b32 s10, ttmp9, 5
	v_dual_mov_b32 v5, v9 :: v_dual_lshlrev_b32 v10, 8, v12
	v_mov_b32_e32 v0, 0
	s_wait_alu 0xfffe
	s_ashr_i32 s11, s10, 31
	s_and_b32 s27, s0, vcc_lo
	v_cmp_eq_u32_e32 vcc_lo, v11, v12
	v_lshlrev_b32_e32 v18, 3, v12
	s_cmp_eq_u32 s25, 0x84
	v_lshlrev_b64_e32 v[2:3], 3, v[1:2]
	s_cselect_b32 s0, -1, 0
	v_lshlrev_b64_e32 v[4:5], 3, v[4:5]
	v_lshlrev_b64_e32 v[6:7], 3, v[6:7]
	s_wait_alu 0xfffe
	s_and_b32 s25, vcc_lo, s0
	v_cmp_lt_u32_e64 s0, v12, v11
	v_cmp_gt_u32_e64 s1, v12, v11
	v_add_nc_u32_e32 v20, v13, v10
	v_lshlrev_b32_e32 v21, 3, v12
	v_mov_b32_e32 v1, 0x3ff00000
	v_add_nc_u32_e32 v22, 0x800, v18
	v_add_nc_u32_e32 v23, 0x1000, v18
	;; [unrolled: 1-line block ×3, first 2 shown]
	s_mul_u64 s[16:17], s[16:17], s[10:11]
	s_mul_u64 s[34:35], s[22:23], s[10:11]
	s_cmp_lg_u32 s24, 0x7a
	s_mov_b32 s3, 0
	s_cselect_b32 s24, -1, 0
	s_lshl_b64 s[10:11], s[12:13], 3
	s_lshl_b64 s[12:13], s[18:19], 3
	s_wait_alu 0xfffe
	s_lshl_b64 s[16:17], s[16:17], 3
	s_lshl_b64 s[18:19], s[30:31], 3
	;; [unrolled: 1-line block ×3, first 2 shown]
	s_branch .LBB158_4
.LBB158_2:                              ;   in Loop: Header=BB158_4 Depth=1
	s_or_b32 exec_lo, exec_lo, s29
.LBB158_3:                              ;   in Loop: Header=BB158_4 Depth=1
	s_add_co_i32 s2, s2, 0x10000
	s_delay_alu instid0(SALU_CYCLE_1)
	s_cmp_lt_u32 s2, s28
	s_cbranch_scc0 .LBB158_19
.LBB158_4:                              ; =>This Inner Loop Header: Depth=1
	s_mul_u64 s[30:31], s[6:7], s[2:3]
	s_wait_alu 0xfffe
	s_lshl_b64 s[30:31], s[30:31], 3
	s_wait_alu 0xfffe
	s_add_nc_u64 s[30:31], s[4:5], s[30:31]
	global_load_b64 v[8:9], v0, s[30:31]
	s_wait_loadcnt 0x0
	v_cmp_eq_f64_e32 vcc_lo, 0, v[8:9]
	s_cbranch_vccnz .LBB158_3
; %bb.5:                                ;   in Loop: Header=BB158_4 Depth=1
	s_lshl_b64 s[30:31], s[2:3], 3
	s_wait_alu 0xfffe
	s_add_nc_u64 s[34:35], s[8:9], s[30:31]
	s_add_nc_u64 s[36:37], s[14:15], s[30:31]
	;; [unrolled: 1-line block ×3, first 2 shown]
	s_clause 0x2
	global_load_b64 v[14:15], v0, s[34:35]
	global_load_b64 v[12:13], v0, s[36:37]
	;; [unrolled: 1-line block ×3, first 2 shown]
	s_mov_b32 s30, s3
	s_mov_b32 s31, s3
	s_wait_alu 0xfffe
	v_dual_mov_b32 v25, s30 :: v_dual_mov_b32 v26, s31
	ds_store_b64 v16, v[25:26]
	ds_store_b64 v17, v[25:26]
	s_wait_loadcnt_dscnt 0x0
	s_barrier_signal -1
	s_barrier_wait -1
	global_inv scope:SCOPE_SE
	s_and_saveexec_b32 s29, s26
	s_cbranch_execnz .LBB158_11
; %bb.6:                                ;   in Loop: Header=BB158_4 Depth=1
	s_or_b32 exec_lo, exec_lo, s29
	s_and_saveexec_b32 s29, s27
	s_cbranch_execnz .LBB158_12
.LBB158_7:                              ;   in Loop: Header=BB158_4 Depth=1
	s_or_b32 exec_lo, exec_lo, s29
	s_and_saveexec_b32 s29, s25
.LBB158_8:                              ;   in Loop: Header=BB158_4 Depth=1
	ds_store_b64 v16, v[0:1]
.LBB158_9:                              ;   in Loop: Header=BB158_4 Depth=1
	s_or_b32 exec_lo, exec_lo, s29
	s_delay_alu instid0(SALU_CYCLE_1)
	s_and_b32 vcc_lo, exec_lo, s24
	s_wait_loadcnt_dscnt 0x0
	s_barrier_signal -1
	s_barrier_wait -1
	global_inv scope:SCOPE_SE
	s_wait_alu 0xfffe
	s_cbranch_vccz .LBB158_13
; %bb.10:                               ;   in Loop: Header=BB158_4 Depth=1
	s_and_b32 s29, s0, exec_lo
	s_cbranch_execz .LBB158_14
	s_branch .LBB158_15
.LBB158_11:                             ;   in Loop: Header=BB158_4 Depth=1
	v_add_co_u32 v14, vcc_lo, v14, s10
	s_wait_alu 0xfffd
	v_add_co_ci_u32_e64 v15, null, s11, v15, vcc_lo
	s_delay_alu instid0(VALU_DEP_2) | instskip(SKIP_1) | instid1(VALU_DEP_2)
	v_add_co_u32 v14, vcc_lo, v14, v2
	s_wait_alu 0xfffd
	v_add_co_ci_u32_e64 v15, null, v15, v3, vcc_lo
	s_delay_alu instid0(VALU_DEP_2) | instskip(SKIP_1) | instid1(VALU_DEP_2)
	v_add_co_u32 v14, vcc_lo, v14, v21
	s_wait_alu 0xfffd
	v_add_co_ci_u32_e64 v15, null, 0, v15, vcc_lo
	flat_load_b64 v[14:15], v[14:15]
	s_wait_loadcnt_dscnt 0x0
	ds_store_b64 v20, v[14:15]
	s_or_b32 exec_lo, exec_lo, s29
	s_and_saveexec_b32 s29, s27
	s_cbranch_execz .LBB158_7
.LBB158_12:                             ;   in Loop: Header=BB158_4 Depth=1
	v_add_co_u32 v12, vcc_lo, v12, s12
	s_wait_alu 0xfffd
	v_add_co_ci_u32_e64 v13, null, s13, v13, vcc_lo
	s_wait_alu 0xfffe
	s_delay_alu instid0(VALU_DEP_2) | instskip(SKIP_1) | instid1(VALU_DEP_2)
	v_add_co_u32 v12, vcc_lo, v12, s16
	s_wait_alu 0xfffd
	v_add_co_ci_u32_e64 v13, null, s17, v13, vcc_lo
	s_delay_alu instid0(VALU_DEP_2) | instskip(SKIP_1) | instid1(VALU_DEP_2)
	v_add_co_u32 v12, vcc_lo, v12, v4
	s_wait_alu 0xfffd
	v_add_co_ci_u32_e64 v13, null, v13, v5, vcc_lo
	;; [unrolled: 4-line block ×3, first 2 shown]
	flat_load_b64 v[12:13], v[12:13]
	s_wait_loadcnt_dscnt 0x0
	ds_store_b64 v17, v[12:13]
	s_or_b32 exec_lo, exec_lo, s29
	s_and_saveexec_b32 s29, s25
	s_cbranch_execnz .LBB158_8
	s_branch .LBB158_9
.LBB158_13:                             ;   in Loop: Header=BB158_4 Depth=1
	s_mov_b32 s29, 0
.LBB158_14:                             ;   in Loop: Header=BB158_4 Depth=1
	s_delay_alu instid0(SALU_CYCLE_1)
	s_and_not1_b32 s29, s29, exec_lo
	s_and_b32 s30, s1, exec_lo
	s_wait_alu 0xfffe
	s_or_b32 s29, s29, s30
.LBB158_15:                             ;   in Loop: Header=BB158_4 Depth=1
	s_delay_alu instid0(SALU_CYCLE_1)
	s_and_saveexec_b32 s30, s29
; %bb.16:                               ;   in Loop: Header=BB158_4 Depth=1
	v_dual_mov_b32 v12, v0 :: v_dual_mov_b32 v13, v0
	ds_store_b64 v16, v[12:13]
; %bb.17:                               ;   in Loop: Header=BB158_4 Depth=1
	s_wait_alu 0xfffe
	s_or_b32 exec_lo, exec_lo, s30
	s_wait_loadcnt_dscnt 0x0
	s_barrier_signal -1
	s_barrier_wait -1
	global_inv scope:SCOPE_SE
	s_and_saveexec_b32 s29, s27
	s_cbranch_execz .LBB158_2
; %bb.18:                               ;   in Loop: Header=BB158_4 Depth=1
	ds_load_2addr_b64 v[12:15], v18 offset1:32
	ds_load_b128 v[25:28], v19
	ds_load_b128 v[29:32], v19 offset:16
	v_add_co_u32 v10, vcc_lo, v10, s18
	s_wait_alu 0xfffd
	v_add_co_ci_u32_e64 v11, null, s19, v11, vcc_lo
	s_delay_alu instid0(VALU_DEP_2) | instskip(SKIP_1) | instid1(VALU_DEP_2)
	v_add_co_u32 v10, vcc_lo, v10, s22
	s_wait_alu 0xfffd
	v_add_co_ci_u32_e64 v11, null, s23, v11, vcc_lo
	s_delay_alu instid0(VALU_DEP_2) | instskip(SKIP_1) | instid1(VALU_DEP_2)
	;; [unrolled: 4-line block ×3, first 2 shown]
	v_add_co_u32 v10, vcc_lo, v10, v21
	s_wait_alu 0xfffd
	v_add_co_ci_u32_e64 v11, null, 0, v11, vcc_lo
	s_wait_dscnt 0x1
	v_fma_f64 v[12:13], v[12:13], v[25:26], 0
	s_delay_alu instid0(VALU_DEP_1) | instskip(SKIP_3) | instid1(VALU_DEP_1)
	v_fma_f64 v[25:26], v[14:15], v[27:28], v[12:13]
	ds_load_2addr_b64 v[12:15], v18 offset0:64 offset1:96
	s_wait_dscnt 0x0
	v_fma_f64 v[12:13], v[12:13], v[29:30], v[25:26]
	v_fma_f64 v[33:34], v[14:15], v[31:32], v[12:13]
	ds_load_2addr_b64 v[12:15], v18 offset0:128 offset1:160
	ds_load_b128 v[25:28], v19 offset:32
	ds_load_b128 v[29:32], v19 offset:48
	s_wait_dscnt 0x1
	v_fma_f64 v[12:13], v[12:13], v[25:26], v[33:34]
	s_delay_alu instid0(VALU_DEP_1) | instskip(SKIP_3) | instid1(VALU_DEP_1)
	v_fma_f64 v[25:26], v[14:15], v[27:28], v[12:13]
	ds_load_2addr_b64 v[12:15], v18 offset0:192 offset1:224
	s_wait_dscnt 0x0
	v_fma_f64 v[12:13], v[12:13], v[29:30], v[25:26]
	v_fma_f64 v[33:34], v[14:15], v[31:32], v[12:13]
	ds_load_2addr_b64 v[12:15], v22 offset1:32
	ds_load_b128 v[25:28], v19 offset:64
	ds_load_b128 v[29:32], v19 offset:80
	s_wait_dscnt 0x1
	v_fma_f64 v[12:13], v[12:13], v[25:26], v[33:34]
	s_delay_alu instid0(VALU_DEP_1) | instskip(SKIP_3) | instid1(VALU_DEP_1)
	v_fma_f64 v[25:26], v[14:15], v[27:28], v[12:13]
	ds_load_2addr_b64 v[12:15], v22 offset0:64 offset1:96
	s_wait_dscnt 0x0
	v_fma_f64 v[12:13], v[12:13], v[29:30], v[25:26]
	v_fma_f64 v[33:34], v[14:15], v[31:32], v[12:13]
	ds_load_2addr_b64 v[12:15], v22 offset0:128 offset1:160
	ds_load_b128 v[25:28], v19 offset:96
	ds_load_b128 v[29:32], v19 offset:112
	s_wait_dscnt 0x1
	v_fma_f64 v[12:13], v[12:13], v[25:26], v[33:34]
	s_delay_alu instid0(VALU_DEP_1) | instskip(SKIP_3) | instid1(VALU_DEP_1)
	v_fma_f64 v[25:26], v[14:15], v[27:28], v[12:13]
	ds_load_2addr_b64 v[12:15], v22 offset0:192 offset1:224
	s_wait_dscnt 0x0
	v_fma_f64 v[12:13], v[12:13], v[29:30], v[25:26]
	v_fma_f64 v[33:34], v[14:15], v[31:32], v[12:13]
	ds_load_2addr_b64 v[12:15], v23 offset1:32
	ds_load_b128 v[25:28], v19 offset:128
	ds_load_b128 v[29:32], v19 offset:144
	;; [unrolled: 22-line block ×3, first 2 shown]
	s_wait_dscnt 0x1
	v_fma_f64 v[12:13], v[12:13], v[25:26], v[33:34]
	s_delay_alu instid0(VALU_DEP_1) | instskip(SKIP_3) | instid1(VALU_DEP_1)
	v_fma_f64 v[25:26], v[14:15], v[27:28], v[12:13]
	ds_load_2addr_b64 v[12:15], v24 offset0:64 offset1:96
	s_wait_dscnt 0x0
	v_fma_f64 v[12:13], v[12:13], v[29:30], v[25:26]
	v_fma_f64 v[33:34], v[14:15], v[31:32], v[12:13]
	ds_load_2addr_b64 v[12:15], v24 offset0:128 offset1:160
	ds_load_b128 v[25:28], v19 offset:224
	ds_load_b128 v[29:32], v19 offset:240
	s_wait_dscnt 0x1
	v_fma_f64 v[12:13], v[12:13], v[25:26], v[33:34]
	s_delay_alu instid0(VALU_DEP_1) | instskip(SKIP_3) | instid1(VALU_DEP_1)
	v_fma_f64 v[25:26], v[14:15], v[27:28], v[12:13]
	ds_load_2addr_b64 v[12:15], v24 offset0:192 offset1:224
	s_wait_dscnt 0x0
	v_fma_f64 v[12:13], v[12:13], v[29:30], v[25:26]
	v_fma_f64 v[12:13], v[14:15], v[31:32], v[12:13]
	s_delay_alu instid0(VALU_DEP_1)
	v_mul_f64_e32 v[8:9], v[8:9], v[12:13]
	flat_store_b64 v[10:11], v[8:9]
	s_branch .LBB158_2
.LBB158_19:
	s_endpgm
	.section	.rodata,"a",@progbits
	.p2align	6, 0x0
	.amdhsa_kernel _ZL23rocblas_trmm_lTx_kernelILi32ELb0EdPKdKS1_KPdEv13rocblas_fill_17rocblas_diagonal_iiT2_lPT3_llS9_llPT4_lli
		.amdhsa_group_segment_fixed_size 16384
		.amdhsa_private_segment_fixed_size 0
		.amdhsa_kernarg_size 108
		.amdhsa_user_sgpr_count 2
		.amdhsa_user_sgpr_dispatch_ptr 0
		.amdhsa_user_sgpr_queue_ptr 0
		.amdhsa_user_sgpr_kernarg_segment_ptr 1
		.amdhsa_user_sgpr_dispatch_id 0
		.amdhsa_user_sgpr_private_segment_size 0
		.amdhsa_wavefront_size32 1
		.amdhsa_uses_dynamic_stack 0
		.amdhsa_enable_private_segment 0
		.amdhsa_system_sgpr_workgroup_id_x 1
		.amdhsa_system_sgpr_workgroup_id_y 0
		.amdhsa_system_sgpr_workgroup_id_z 1
		.amdhsa_system_sgpr_workgroup_info 0
		.amdhsa_system_vgpr_workitem_id 1
		.amdhsa_next_free_vgpr 35
		.amdhsa_next_free_sgpr 38
		.amdhsa_reserve_vcc 1
		.amdhsa_float_round_mode_32 0
		.amdhsa_float_round_mode_16_64 0
		.amdhsa_float_denorm_mode_32 3
		.amdhsa_float_denorm_mode_16_64 3
		.amdhsa_fp16_overflow 0
		.amdhsa_workgroup_processor_mode 1
		.amdhsa_memory_ordered 1
		.amdhsa_forward_progress 1
		.amdhsa_inst_pref_size 14
		.amdhsa_round_robin_scheduling 0
		.amdhsa_exception_fp_ieee_invalid_op 0
		.amdhsa_exception_fp_denorm_src 0
		.amdhsa_exception_fp_ieee_div_zero 0
		.amdhsa_exception_fp_ieee_overflow 0
		.amdhsa_exception_fp_ieee_underflow 0
		.amdhsa_exception_fp_ieee_inexact 0
		.amdhsa_exception_int_div_zero 0
	.end_amdhsa_kernel
	.section	.text._ZL23rocblas_trmm_lTx_kernelILi32ELb0EdPKdKS1_KPdEv13rocblas_fill_17rocblas_diagonal_iiT2_lPT3_llS9_llPT4_lli,"axG",@progbits,_ZL23rocblas_trmm_lTx_kernelILi32ELb0EdPKdKS1_KPdEv13rocblas_fill_17rocblas_diagonal_iiT2_lPT3_llS9_llPT4_lli,comdat
.Lfunc_end158:
	.size	_ZL23rocblas_trmm_lTx_kernelILi32ELb0EdPKdKS1_KPdEv13rocblas_fill_17rocblas_diagonal_iiT2_lPT3_llS9_llPT4_lli, .Lfunc_end158-_ZL23rocblas_trmm_lTx_kernelILi32ELb0EdPKdKS1_KPdEv13rocblas_fill_17rocblas_diagonal_iiT2_lPT3_llS9_llPT4_lli
                                        ; -- End function
	.set _ZL23rocblas_trmm_lTx_kernelILi32ELb0EdPKdKS1_KPdEv13rocblas_fill_17rocblas_diagonal_iiT2_lPT3_llS9_llPT4_lli.num_vgpr, 35
	.set _ZL23rocblas_trmm_lTx_kernelILi32ELb0EdPKdKS1_KPdEv13rocblas_fill_17rocblas_diagonal_iiT2_lPT3_llS9_llPT4_lli.num_agpr, 0
	.set _ZL23rocblas_trmm_lTx_kernelILi32ELb0EdPKdKS1_KPdEv13rocblas_fill_17rocblas_diagonal_iiT2_lPT3_llS9_llPT4_lli.numbered_sgpr, 38
	.set _ZL23rocblas_trmm_lTx_kernelILi32ELb0EdPKdKS1_KPdEv13rocblas_fill_17rocblas_diagonal_iiT2_lPT3_llS9_llPT4_lli.num_named_barrier, 0
	.set _ZL23rocblas_trmm_lTx_kernelILi32ELb0EdPKdKS1_KPdEv13rocblas_fill_17rocblas_diagonal_iiT2_lPT3_llS9_llPT4_lli.private_seg_size, 0
	.set _ZL23rocblas_trmm_lTx_kernelILi32ELb0EdPKdKS1_KPdEv13rocblas_fill_17rocblas_diagonal_iiT2_lPT3_llS9_llPT4_lli.uses_vcc, 1
	.set _ZL23rocblas_trmm_lTx_kernelILi32ELb0EdPKdKS1_KPdEv13rocblas_fill_17rocblas_diagonal_iiT2_lPT3_llS9_llPT4_lli.uses_flat_scratch, 0
	.set _ZL23rocblas_trmm_lTx_kernelILi32ELb0EdPKdKS1_KPdEv13rocblas_fill_17rocblas_diagonal_iiT2_lPT3_llS9_llPT4_lli.has_dyn_sized_stack, 0
	.set _ZL23rocblas_trmm_lTx_kernelILi32ELb0EdPKdKS1_KPdEv13rocblas_fill_17rocblas_diagonal_iiT2_lPT3_llS9_llPT4_lli.has_recursion, 0
	.set _ZL23rocblas_trmm_lTx_kernelILi32ELb0EdPKdKS1_KPdEv13rocblas_fill_17rocblas_diagonal_iiT2_lPT3_llS9_llPT4_lli.has_indirect_call, 0
	.section	.AMDGPU.csdata,"",@progbits
; Kernel info:
; codeLenInByte = 1752
; TotalNumSgprs: 40
; NumVgprs: 35
; ScratchSize: 0
; MemoryBound: 0
; FloatMode: 240
; IeeeMode: 1
; LDSByteSize: 16384 bytes/workgroup (compile time only)
; SGPRBlocks: 0
; VGPRBlocks: 4
; NumSGPRsForWavesPerEU: 40
; NumVGPRsForWavesPerEU: 35
; Occupancy: 16
; WaveLimiterHint : 1
; COMPUTE_PGM_RSRC2:SCRATCH_EN: 0
; COMPUTE_PGM_RSRC2:USER_SGPR: 2
; COMPUTE_PGM_RSRC2:TRAP_HANDLER: 0
; COMPUTE_PGM_RSRC2:TGID_X_EN: 1
; COMPUTE_PGM_RSRC2:TGID_Y_EN: 0
; COMPUTE_PGM_RSRC2:TGID_Z_EN: 1
; COMPUTE_PGM_RSRC2:TIDIG_COMP_CNT: 1
	.section	.text._ZL23rocblas_trmm_lTx_kernelILi32ELb0EddKPKdKPdEv13rocblas_fill_17rocblas_diagonal_iiT2_lPT3_llS9_llPT4_lli,"axG",@progbits,_ZL23rocblas_trmm_lTx_kernelILi32ELb0EddKPKdKPdEv13rocblas_fill_17rocblas_diagonal_iiT2_lPT3_llS9_llPT4_lli,comdat
	.globl	_ZL23rocblas_trmm_lTx_kernelILi32ELb0EddKPKdKPdEv13rocblas_fill_17rocblas_diagonal_iiT2_lPT3_llS9_llPT4_lli ; -- Begin function _ZL23rocblas_trmm_lTx_kernelILi32ELb0EddKPKdKPdEv13rocblas_fill_17rocblas_diagonal_iiT2_lPT3_llS9_llPT4_lli
	.p2align	8
	.type	_ZL23rocblas_trmm_lTx_kernelILi32ELb0EddKPKdKPdEv13rocblas_fill_17rocblas_diagonal_iiT2_lPT3_llS9_llPT4_lli,@function
_ZL23rocblas_trmm_lTx_kernelILi32ELb0EddKPKdKPdEv13rocblas_fill_17rocblas_diagonal_iiT2_lPT3_llS9_llPT4_lli: ; @_ZL23rocblas_trmm_lTx_kernelILi32ELb0EddKPKdKPdEv13rocblas_fill_17rocblas_diagonal_iiT2_lPT3_llS9_llPT4_lli
; %bb.0:
	s_load_b32 s26, s[0:1], 0x68
	s_lshr_b32 s2, ttmp7, 16
	s_wait_kmcnt 0x0
	s_cmp_ge_u32 s2, s26
	s_cbranch_scc1 .LBB159_19
; %bb.1:
	s_clause 0x3
	s_load_b64 s[24:25], s[0:1], 0x10
	s_load_b64 s[28:29], s[0:1], 0x60
	s_load_b512 s[4:19], s[0:1], 0x20
	s_load_b128 s[20:23], s[0:1], 0x0
	v_bfe_u32 v11, v0, 10, 10
	s_delay_alu instid0(VALU_DEP_1)
	v_lshl_add_u32 v17, v11, 8, 0x2000
	v_lshlrev_b32_e32 v13, 3, v11
	s_wait_kmcnt 0x0
	v_cmp_neq_f64_e64 s27, s[24:25], 0
	v_mad_co_u64_u32 v[4:5], null, s12, v11, 0
	s_add_co_i32 s1, s23, -1
	v_mad_co_u64_u32 v[1:2], null, s6, v11, 0
	s_ashr_i32 s3, s1, 31
	v_and_b32_e32 v12, 0x3ff, v0
	v_mad_co_u64_u32 v[6:7], null, s18, v11, 0
	v_mov_b32_e32 v3, v5
	s_lshr_b32 s3, s3, 27
	v_lshlrev_b32_e32 v0, 5, v11
	s_add_co_i32 s1, s1, s3
	v_cmp_gt_i32_e32 vcc_lo, s22, v11
	s_ashr_i32 s3, s1, 5
	s_and_not1_b32 s1, s1, 31
	v_mad_co_u64_u32 v[8:9], null, s7, v11, v[2:3]
	v_cmp_gt_i32_e64 s0, s22, v12
	s_sub_co_i32 s1, s23, s1
	s_cmp_ge_i32 ttmp9, s3
	v_mad_co_u64_u32 v[9:10], null, s13, v11, v[3:4]
	v_mov_b32_e32 v3, v7
	v_add_lshl_u32 v14, v0, v12, 3
	s_cselect_b32 s1, s1, 32
	s_and_b32 s22, vcc_lo, s0
	v_cmp_gt_i32_e32 vcc_lo, s1, v11
	s_delay_alu instid0(VALU_DEP_2)
	v_dual_mov_b32 v2, v8 :: v_dual_add_nc_u32 v15, 0x2000, v14
	v_mad_co_u64_u32 v[7:8], null, s19, v11, v[3:4]
	s_lshl_b32 s6, ttmp9, 5
	v_dual_mov_b32 v5, v9 :: v_dual_lshlrev_b32 v10, 8, v12
	v_mov_b32_e32 v0, 0
	s_wait_alu 0xfffe
	s_ashr_i32 s7, s6, 31
	s_and_b32 s23, s0, vcc_lo
	v_cmp_eq_u32_e32 vcc_lo, v11, v12
	v_lshlrev_b32_e32 v16, 3, v12
	s_cmp_eq_u32 s21, 0x84
	v_lshlrev_b64_e32 v[2:3], 3, v[1:2]
	s_cselect_b32 s0, -1, 0
	v_lshlrev_b64_e32 v[4:5], 3, v[4:5]
	v_lshlrev_b64_e32 v[6:7], 3, v[6:7]
	s_wait_alu 0xfffe
	s_and_b32 s21, vcc_lo, s0
	v_cmp_lt_u32_e64 s0, v12, v11
	v_cmp_gt_u32_e64 s1, v12, v11
	v_add_nc_u32_e32 v18, v13, v10
	v_lshlrev_b32_e32 v19, 3, v12
	v_mov_b32_e32 v1, 0x3ff00000
	v_add_nc_u32_e32 v20, 0x800, v16
	v_add_nc_u32_e32 v21, 0x1000, v16
	;; [unrolled: 1-line block ×3, first 2 shown]
	s_mul_u64 s[12:13], s[12:13], s[6:7]
	s_mul_u64 s[30:31], s[18:19], s[6:7]
	s_cmp_lg_u32 s20, 0x7a
	s_mov_b32 s3, 0
	s_cselect_b32 s20, -1, 0
	s_lshl_b64 s[6:7], s[8:9], 3
	s_lshl_b64 s[8:9], s[14:15], 3
	s_wait_alu 0xfffe
	s_lshl_b64 s[12:13], s[12:13], 3
	s_lshl_b64 s[14:15], s[28:29], 3
	;; [unrolled: 1-line block ×3, first 2 shown]
	s_branch .LBB159_4
.LBB159_2:                              ;   in Loop: Header=BB159_4 Depth=1
	s_wait_alu 0xfffe
	s_or_b32 exec_lo, exec_lo, s28
.LBB159_3:                              ;   in Loop: Header=BB159_4 Depth=1
	s_add_co_i32 s2, s2, 0x10000
	s_delay_alu instid0(SALU_CYCLE_1)
	s_cmp_lt_u32 s2, s26
	s_cbranch_scc0 .LBB159_19
.LBB159_4:                              ; =>This Inner Loop Header: Depth=1
	s_and_not1_b32 vcc_lo, exec_lo, s27
	s_wait_alu 0xfffe
	s_cbranch_vccnz .LBB159_3
; %bb.5:                                ;   in Loop: Header=BB159_4 Depth=1
	s_lshl_b64 s[28:29], s[2:3], 3
	s_wait_alu 0xfffe
	s_add_nc_u64 s[30:31], s[4:5], s[28:29]
	s_add_nc_u64 s[34:35], s[10:11], s[28:29]
	;; [unrolled: 1-line block ×3, first 2 shown]
	s_clause 0x2
	global_load_b64 v[12:13], v0, s[30:31]
	global_load_b64 v[10:11], v0, s[34:35]
	;; [unrolled: 1-line block ×3, first 2 shown]
	s_mov_b32 s28, s3
	s_mov_b32 s29, s3
	s_wait_alu 0xfffe
	v_dual_mov_b32 v23, s28 :: v_dual_mov_b32 v24, s29
	ds_store_b64 v14, v[23:24]
	ds_store_b64 v15, v[23:24]
	s_wait_loadcnt_dscnt 0x0
	s_barrier_signal -1
	s_barrier_wait -1
	global_inv scope:SCOPE_SE
	s_and_saveexec_b32 s28, s22
	s_cbranch_execnz .LBB159_11
; %bb.6:                                ;   in Loop: Header=BB159_4 Depth=1
	s_wait_alu 0xfffe
	s_or_b32 exec_lo, exec_lo, s28
	s_and_saveexec_b32 s28, s23
	s_cbranch_execnz .LBB159_12
.LBB159_7:                              ;   in Loop: Header=BB159_4 Depth=1
	s_wait_alu 0xfffe
	s_or_b32 exec_lo, exec_lo, s28
	s_and_saveexec_b32 s28, s21
.LBB159_8:                              ;   in Loop: Header=BB159_4 Depth=1
	ds_store_b64 v14, v[0:1]
.LBB159_9:                              ;   in Loop: Header=BB159_4 Depth=1
	s_wait_alu 0xfffe
	s_or_b32 exec_lo, exec_lo, s28
	s_delay_alu instid0(SALU_CYCLE_1)
	s_and_b32 vcc_lo, exec_lo, s20
	s_wait_loadcnt_dscnt 0x0
	s_barrier_signal -1
	s_barrier_wait -1
	global_inv scope:SCOPE_SE
	s_wait_alu 0xfffe
	s_cbranch_vccz .LBB159_13
; %bb.10:                               ;   in Loop: Header=BB159_4 Depth=1
	s_and_b32 s28, s0, exec_lo
	s_cbranch_execz .LBB159_14
	s_branch .LBB159_15
.LBB159_11:                             ;   in Loop: Header=BB159_4 Depth=1
	v_add_co_u32 v12, vcc_lo, v12, s6
	s_wait_alu 0xfffd
	v_add_co_ci_u32_e64 v13, null, s7, v13, vcc_lo
	s_delay_alu instid0(VALU_DEP_2) | instskip(SKIP_1) | instid1(VALU_DEP_2)
	v_add_co_u32 v12, vcc_lo, v12, v2
	s_wait_alu 0xfffd
	v_add_co_ci_u32_e64 v13, null, v13, v3, vcc_lo
	s_delay_alu instid0(VALU_DEP_2) | instskip(SKIP_1) | instid1(VALU_DEP_2)
	v_add_co_u32 v12, vcc_lo, v12, v19
	s_wait_alu 0xfffd
	v_add_co_ci_u32_e64 v13, null, 0, v13, vcc_lo
	flat_load_b64 v[12:13], v[12:13]
	s_wait_loadcnt_dscnt 0x0
	ds_store_b64 v18, v[12:13]
	s_wait_alu 0xfffe
	s_or_b32 exec_lo, exec_lo, s28
	s_and_saveexec_b32 s28, s23
	s_cbranch_execz .LBB159_7
.LBB159_12:                             ;   in Loop: Header=BB159_4 Depth=1
	v_add_co_u32 v10, vcc_lo, v10, s8
	s_wait_alu 0xfffd
	v_add_co_ci_u32_e64 v11, null, s9, v11, vcc_lo
	s_delay_alu instid0(VALU_DEP_2) | instskip(SKIP_1) | instid1(VALU_DEP_2)
	v_add_co_u32 v10, vcc_lo, v10, s12
	s_wait_alu 0xfffd
	v_add_co_ci_u32_e64 v11, null, s13, v11, vcc_lo
	s_delay_alu instid0(VALU_DEP_2) | instskip(SKIP_1) | instid1(VALU_DEP_2)
	;; [unrolled: 4-line block ×3, first 2 shown]
	v_add_co_u32 v10, vcc_lo, v10, v19
	s_wait_alu 0xfffd
	v_add_co_ci_u32_e64 v11, null, 0, v11, vcc_lo
	flat_load_b64 v[10:11], v[10:11]
	s_wait_loadcnt_dscnt 0x0
	ds_store_b64 v15, v[10:11]
	s_wait_alu 0xfffe
	s_or_b32 exec_lo, exec_lo, s28
	s_and_saveexec_b32 s28, s21
	s_cbranch_execnz .LBB159_8
	s_branch .LBB159_9
.LBB159_13:                             ;   in Loop: Header=BB159_4 Depth=1
	s_mov_b32 s28, 0
.LBB159_14:                             ;   in Loop: Header=BB159_4 Depth=1
	s_wait_alu 0xfffe
	s_and_not1_b32 s28, s28, exec_lo
	s_and_b32 s29, s1, exec_lo
	s_wait_alu 0xfffe
	s_or_b32 s28, s28, s29
.LBB159_15:                             ;   in Loop: Header=BB159_4 Depth=1
	s_wait_alu 0xfffe
	s_and_saveexec_b32 s29, s28
; %bb.16:                               ;   in Loop: Header=BB159_4 Depth=1
	v_dual_mov_b32 v10, v0 :: v_dual_mov_b32 v11, v0
	ds_store_b64 v14, v[10:11]
; %bb.17:                               ;   in Loop: Header=BB159_4 Depth=1
	s_wait_alu 0xfffe
	s_or_b32 exec_lo, exec_lo, s29
	s_wait_loadcnt_dscnt 0x0
	s_barrier_signal -1
	s_barrier_wait -1
	global_inv scope:SCOPE_SE
	s_and_saveexec_b32 s28, s23
	s_cbranch_execz .LBB159_2
; %bb.18:                               ;   in Loop: Header=BB159_4 Depth=1
	ds_load_2addr_b64 v[10:13], v16 offset1:32
	ds_load_b128 v[23:26], v17
	ds_load_b128 v[27:30], v17 offset:16
	v_add_co_u32 v8, vcc_lo, v8, s14
	s_wait_alu 0xfffd
	v_add_co_ci_u32_e64 v9, null, s15, v9, vcc_lo
	s_delay_alu instid0(VALU_DEP_2) | instskip(SKIP_1) | instid1(VALU_DEP_2)
	v_add_co_u32 v8, vcc_lo, v8, s18
	s_wait_alu 0xfffd
	v_add_co_ci_u32_e64 v9, null, s19, v9, vcc_lo
	s_delay_alu instid0(VALU_DEP_2) | instskip(SKIP_1) | instid1(VALU_DEP_2)
	;; [unrolled: 4-line block ×3, first 2 shown]
	v_add_co_u32 v8, vcc_lo, v8, v19
	s_wait_alu 0xfffd
	v_add_co_ci_u32_e64 v9, null, 0, v9, vcc_lo
	s_wait_dscnt 0x1
	v_fma_f64 v[10:11], v[10:11], v[23:24], 0
	s_delay_alu instid0(VALU_DEP_1) | instskip(SKIP_3) | instid1(VALU_DEP_1)
	v_fma_f64 v[23:24], v[12:13], v[25:26], v[10:11]
	ds_load_2addr_b64 v[10:13], v16 offset0:64 offset1:96
	s_wait_dscnt 0x0
	v_fma_f64 v[10:11], v[10:11], v[27:28], v[23:24]
	v_fma_f64 v[31:32], v[12:13], v[29:30], v[10:11]
	ds_load_2addr_b64 v[10:13], v16 offset0:128 offset1:160
	ds_load_b128 v[23:26], v17 offset:32
	ds_load_b128 v[27:30], v17 offset:48
	s_wait_dscnt 0x1
	v_fma_f64 v[10:11], v[10:11], v[23:24], v[31:32]
	s_delay_alu instid0(VALU_DEP_1) | instskip(SKIP_3) | instid1(VALU_DEP_1)
	v_fma_f64 v[23:24], v[12:13], v[25:26], v[10:11]
	ds_load_2addr_b64 v[10:13], v16 offset0:192 offset1:224
	s_wait_dscnt 0x0
	v_fma_f64 v[10:11], v[10:11], v[27:28], v[23:24]
	v_fma_f64 v[31:32], v[12:13], v[29:30], v[10:11]
	ds_load_2addr_b64 v[10:13], v20 offset1:32
	ds_load_b128 v[23:26], v17 offset:64
	ds_load_b128 v[27:30], v17 offset:80
	s_wait_dscnt 0x1
	v_fma_f64 v[10:11], v[10:11], v[23:24], v[31:32]
	s_delay_alu instid0(VALU_DEP_1) | instskip(SKIP_3) | instid1(VALU_DEP_1)
	v_fma_f64 v[23:24], v[12:13], v[25:26], v[10:11]
	ds_load_2addr_b64 v[10:13], v20 offset0:64 offset1:96
	s_wait_dscnt 0x0
	v_fma_f64 v[10:11], v[10:11], v[27:28], v[23:24]
	v_fma_f64 v[31:32], v[12:13], v[29:30], v[10:11]
	ds_load_2addr_b64 v[10:13], v20 offset0:128 offset1:160
	ds_load_b128 v[23:26], v17 offset:96
	ds_load_b128 v[27:30], v17 offset:112
	s_wait_dscnt 0x1
	v_fma_f64 v[10:11], v[10:11], v[23:24], v[31:32]
	s_delay_alu instid0(VALU_DEP_1) | instskip(SKIP_3) | instid1(VALU_DEP_1)
	v_fma_f64 v[23:24], v[12:13], v[25:26], v[10:11]
	ds_load_2addr_b64 v[10:13], v20 offset0:192 offset1:224
	s_wait_dscnt 0x0
	v_fma_f64 v[10:11], v[10:11], v[27:28], v[23:24]
	v_fma_f64 v[31:32], v[12:13], v[29:30], v[10:11]
	ds_load_2addr_b64 v[10:13], v21 offset1:32
	ds_load_b128 v[23:26], v17 offset:128
	ds_load_b128 v[27:30], v17 offset:144
	;; [unrolled: 22-line block ×3, first 2 shown]
	s_wait_dscnt 0x1
	v_fma_f64 v[10:11], v[10:11], v[23:24], v[31:32]
	s_delay_alu instid0(VALU_DEP_1) | instskip(SKIP_3) | instid1(VALU_DEP_1)
	v_fma_f64 v[23:24], v[12:13], v[25:26], v[10:11]
	ds_load_2addr_b64 v[10:13], v22 offset0:64 offset1:96
	s_wait_dscnt 0x0
	v_fma_f64 v[10:11], v[10:11], v[27:28], v[23:24]
	v_fma_f64 v[31:32], v[12:13], v[29:30], v[10:11]
	ds_load_2addr_b64 v[10:13], v22 offset0:128 offset1:160
	ds_load_b128 v[23:26], v17 offset:224
	ds_load_b128 v[27:30], v17 offset:240
	s_wait_dscnt 0x1
	v_fma_f64 v[10:11], v[10:11], v[23:24], v[31:32]
	s_delay_alu instid0(VALU_DEP_1) | instskip(SKIP_3) | instid1(VALU_DEP_1)
	v_fma_f64 v[23:24], v[12:13], v[25:26], v[10:11]
	ds_load_2addr_b64 v[10:13], v22 offset0:192 offset1:224
	s_wait_dscnt 0x0
	v_fma_f64 v[10:11], v[10:11], v[27:28], v[23:24]
	v_fma_f64 v[10:11], v[12:13], v[29:30], v[10:11]
	s_delay_alu instid0(VALU_DEP_1)
	v_mul_f64_e32 v[10:11], s[24:25], v[10:11]
	flat_store_b64 v[8:9], v[10:11]
	s_branch .LBB159_2
.LBB159_19:
	s_endpgm
	.section	.rodata,"a",@progbits
	.p2align	6, 0x0
	.amdhsa_kernel _ZL23rocblas_trmm_lTx_kernelILi32ELb0EddKPKdKPdEv13rocblas_fill_17rocblas_diagonal_iiT2_lPT3_llS9_llPT4_lli
		.amdhsa_group_segment_fixed_size 16384
		.amdhsa_private_segment_fixed_size 0
		.amdhsa_kernarg_size 108
		.amdhsa_user_sgpr_count 2
		.amdhsa_user_sgpr_dispatch_ptr 0
		.amdhsa_user_sgpr_queue_ptr 0
		.amdhsa_user_sgpr_kernarg_segment_ptr 1
		.amdhsa_user_sgpr_dispatch_id 0
		.amdhsa_user_sgpr_private_segment_size 0
		.amdhsa_wavefront_size32 1
		.amdhsa_uses_dynamic_stack 0
		.amdhsa_enable_private_segment 0
		.amdhsa_system_sgpr_workgroup_id_x 1
		.amdhsa_system_sgpr_workgroup_id_y 0
		.amdhsa_system_sgpr_workgroup_id_z 1
		.amdhsa_system_sgpr_workgroup_info 0
		.amdhsa_system_vgpr_workitem_id 1
		.amdhsa_next_free_vgpr 33
		.amdhsa_next_free_sgpr 36
		.amdhsa_reserve_vcc 1
		.amdhsa_float_round_mode_32 0
		.amdhsa_float_round_mode_16_64 0
		.amdhsa_float_denorm_mode_32 3
		.amdhsa_float_denorm_mode_16_64 3
		.amdhsa_fp16_overflow 0
		.amdhsa_workgroup_processor_mode 1
		.amdhsa_memory_ordered 1
		.amdhsa_forward_progress 1
		.amdhsa_inst_pref_size 14
		.amdhsa_round_robin_scheduling 0
		.amdhsa_exception_fp_ieee_invalid_op 0
		.amdhsa_exception_fp_denorm_src 0
		.amdhsa_exception_fp_ieee_div_zero 0
		.amdhsa_exception_fp_ieee_overflow 0
		.amdhsa_exception_fp_ieee_underflow 0
		.amdhsa_exception_fp_ieee_inexact 0
		.amdhsa_exception_int_div_zero 0
	.end_amdhsa_kernel
	.section	.text._ZL23rocblas_trmm_lTx_kernelILi32ELb0EddKPKdKPdEv13rocblas_fill_17rocblas_diagonal_iiT2_lPT3_llS9_llPT4_lli,"axG",@progbits,_ZL23rocblas_trmm_lTx_kernelILi32ELb0EddKPKdKPdEv13rocblas_fill_17rocblas_diagonal_iiT2_lPT3_llS9_llPT4_lli,comdat
.Lfunc_end159:
	.size	_ZL23rocblas_trmm_lTx_kernelILi32ELb0EddKPKdKPdEv13rocblas_fill_17rocblas_diagonal_iiT2_lPT3_llS9_llPT4_lli, .Lfunc_end159-_ZL23rocblas_trmm_lTx_kernelILi32ELb0EddKPKdKPdEv13rocblas_fill_17rocblas_diagonal_iiT2_lPT3_llS9_llPT4_lli
                                        ; -- End function
	.set _ZL23rocblas_trmm_lTx_kernelILi32ELb0EddKPKdKPdEv13rocblas_fill_17rocblas_diagonal_iiT2_lPT3_llS9_llPT4_lli.num_vgpr, 33
	.set _ZL23rocblas_trmm_lTx_kernelILi32ELb0EddKPKdKPdEv13rocblas_fill_17rocblas_diagonal_iiT2_lPT3_llS9_llPT4_lli.num_agpr, 0
	.set _ZL23rocblas_trmm_lTx_kernelILi32ELb0EddKPKdKPdEv13rocblas_fill_17rocblas_diagonal_iiT2_lPT3_llS9_llPT4_lli.numbered_sgpr, 36
	.set _ZL23rocblas_trmm_lTx_kernelILi32ELb0EddKPKdKPdEv13rocblas_fill_17rocblas_diagonal_iiT2_lPT3_llS9_llPT4_lli.num_named_barrier, 0
	.set _ZL23rocblas_trmm_lTx_kernelILi32ELb0EddKPKdKPdEv13rocblas_fill_17rocblas_diagonal_iiT2_lPT3_llS9_llPT4_lli.private_seg_size, 0
	.set _ZL23rocblas_trmm_lTx_kernelILi32ELb0EddKPKdKPdEv13rocblas_fill_17rocblas_diagonal_iiT2_lPT3_llS9_llPT4_lli.uses_vcc, 1
	.set _ZL23rocblas_trmm_lTx_kernelILi32ELb0EddKPKdKPdEv13rocblas_fill_17rocblas_diagonal_iiT2_lPT3_llS9_llPT4_lli.uses_flat_scratch, 0
	.set _ZL23rocblas_trmm_lTx_kernelILi32ELb0EddKPKdKPdEv13rocblas_fill_17rocblas_diagonal_iiT2_lPT3_llS9_llPT4_lli.has_dyn_sized_stack, 0
	.set _ZL23rocblas_trmm_lTx_kernelILi32ELb0EddKPKdKPdEv13rocblas_fill_17rocblas_diagonal_iiT2_lPT3_llS9_llPT4_lli.has_recursion, 0
	.set _ZL23rocblas_trmm_lTx_kernelILi32ELb0EddKPKdKPdEv13rocblas_fill_17rocblas_diagonal_iiT2_lPT3_llS9_llPT4_lli.has_indirect_call, 0
	.section	.AMDGPU.csdata,"",@progbits
; Kernel info:
; codeLenInByte = 1748
; TotalNumSgprs: 38
; NumVgprs: 33
; ScratchSize: 0
; MemoryBound: 0
; FloatMode: 240
; IeeeMode: 1
; LDSByteSize: 16384 bytes/workgroup (compile time only)
; SGPRBlocks: 0
; VGPRBlocks: 4
; NumSGPRsForWavesPerEU: 38
; NumVGPRsForWavesPerEU: 33
; Occupancy: 16
; WaveLimiterHint : 1
; COMPUTE_PGM_RSRC2:SCRATCH_EN: 0
; COMPUTE_PGM_RSRC2:USER_SGPR: 2
; COMPUTE_PGM_RSRC2:TRAP_HANDLER: 0
; COMPUTE_PGM_RSRC2:TGID_X_EN: 1
; COMPUTE_PGM_RSRC2:TGID_Y_EN: 0
; COMPUTE_PGM_RSRC2:TGID_Z_EN: 1
; COMPUTE_PGM_RSRC2:TIDIG_COMP_CNT: 1
	.section	.text._ZL23rocblas_trmm_lTx_kernelILi32ELb1EdPKdKS1_KPdEv13rocblas_fill_17rocblas_diagonal_iiT2_lPT3_llS9_llPT4_lli,"axG",@progbits,_ZL23rocblas_trmm_lTx_kernelILi32ELb1EdPKdKS1_KPdEv13rocblas_fill_17rocblas_diagonal_iiT2_lPT3_llS9_llPT4_lli,comdat
	.globl	_ZL23rocblas_trmm_lTx_kernelILi32ELb1EdPKdKS1_KPdEv13rocblas_fill_17rocblas_diagonal_iiT2_lPT3_llS9_llPT4_lli ; -- Begin function _ZL23rocblas_trmm_lTx_kernelILi32ELb1EdPKdKS1_KPdEv13rocblas_fill_17rocblas_diagonal_iiT2_lPT3_llS9_llPT4_lli
	.p2align	8
	.type	_ZL23rocblas_trmm_lTx_kernelILi32ELb1EdPKdKS1_KPdEv13rocblas_fill_17rocblas_diagonal_iiT2_lPT3_llS9_llPT4_lli,@function
_ZL23rocblas_trmm_lTx_kernelILi32ELb1EdPKdKS1_KPdEv13rocblas_fill_17rocblas_diagonal_iiT2_lPT3_llS9_llPT4_lli: ; @_ZL23rocblas_trmm_lTx_kernelILi32ELb1EdPKdKS1_KPdEv13rocblas_fill_17rocblas_diagonal_iiT2_lPT3_llS9_llPT4_lli
; %bb.0:
	s_load_b32 s28, s[0:1], 0x68
	s_lshr_b32 s2, ttmp7, 16
	s_wait_kmcnt 0x0
	s_cmp_ge_u32 s2, s28
	s_cbranch_scc1 .LBB160_19
; %bb.1:
	s_clause 0x3
	s_load_b512 s[4:19], s[0:1], 0x10
	s_load_b128 s[24:27], s[0:1], 0x0
	s_load_b128 s[20:23], s[0:1], 0x50
	s_load_b64 s[30:31], s[0:1], 0x60
	v_bfe_u32 v11, v0, 10, 10
	s_delay_alu instid0(VALU_DEP_1)
	v_lshl_add_u32 v19, v11, 8, 0x2000
	v_lshlrev_b32_e32 v13, 3, v11
	s_wait_kmcnt 0x0
	v_mad_co_u64_u32 v[4:5], null, s16, v11, 0
	s_add_co_i32 s1, s27, -1
	v_mad_co_u64_u32 v[1:2], null, s10, v11, 0
	s_ashr_i32 s3, s1, 31
	v_and_b32_e32 v12, 0x3ff, v0
	v_mad_co_u64_u32 v[6:7], null, s22, v11, 0
	v_mov_b32_e32 v3, v5
	s_lshr_b32 s3, s3, 27
	v_lshlrev_b32_e32 v0, 5, v11
	s_add_co_i32 s1, s1, s3
	v_cmp_gt_i32_e32 vcc_lo, s26, v11
	s_ashr_i32 s3, s1, 5
	s_and_not1_b32 s1, s1, 31
	v_mad_co_u64_u32 v[8:9], null, s11, v11, v[2:3]
	v_cmp_gt_i32_e64 s0, s26, v12
	s_sub_co_i32 s1, s27, s1
	s_cmp_ge_i32 ttmp9, s3
	v_mad_co_u64_u32 v[9:10], null, s17, v11, v[3:4]
	v_mov_b32_e32 v3, v7
	v_add_lshl_u32 v16, v0, v12, 3
	s_cselect_b32 s1, s1, 32
	s_and_b32 s26, vcc_lo, s0
	v_cmp_gt_i32_e32 vcc_lo, s1, v11
	s_delay_alu instid0(VALU_DEP_2)
	v_dual_mov_b32 v2, v8 :: v_dual_add_nc_u32 v17, 0x2000, v16
	v_mad_co_u64_u32 v[7:8], null, s23, v11, v[3:4]
	s_lshl_b32 s10, ttmp9, 5
	v_dual_mov_b32 v5, v9 :: v_dual_lshlrev_b32 v10, 8, v12
	v_mov_b32_e32 v0, 0
	s_wait_alu 0xfffe
	s_ashr_i32 s11, s10, 31
	s_and_b32 s27, s0, vcc_lo
	v_cmp_eq_u32_e32 vcc_lo, v11, v12
	v_lshlrev_b32_e32 v18, 3, v12
	s_cmp_eq_u32 s25, 0x84
	v_lshlrev_b64_e32 v[2:3], 3, v[1:2]
	s_cselect_b32 s0, -1, 0
	v_lshlrev_b64_e32 v[4:5], 3, v[4:5]
	v_lshlrev_b64_e32 v[6:7], 3, v[6:7]
	s_wait_alu 0xfffe
	s_and_b32 s25, vcc_lo, s0
	v_cmp_lt_u32_e64 s0, v12, v11
	v_cmp_gt_u32_e64 s1, v12, v11
	v_add_nc_u32_e32 v20, v13, v10
	v_lshlrev_b32_e32 v21, 3, v12
	v_mov_b32_e32 v1, 0x3ff00000
	v_add_nc_u32_e32 v22, 0x800, v18
	v_add_nc_u32_e32 v23, 0x1000, v18
	v_add_nc_u32_e32 v24, 0x1800, v18
	s_mul_u64 s[16:17], s[16:17], s[10:11]
	s_mul_u64 s[34:35], s[22:23], s[10:11]
	s_cmp_lg_u32 s24, 0x7a
	s_mov_b32 s3, 0
	s_cselect_b32 s24, -1, 0
	s_lshl_b64 s[10:11], s[12:13], 3
	s_lshl_b64 s[12:13], s[18:19], 3
	s_wait_alu 0xfffe
	s_lshl_b64 s[16:17], s[16:17], 3
	s_lshl_b64 s[18:19], s[30:31], 3
	s_lshl_b64 s[22:23], s[34:35], 3
	s_branch .LBB160_4
.LBB160_2:                              ;   in Loop: Header=BB160_4 Depth=1
	s_or_b32 exec_lo, exec_lo, s29
.LBB160_3:                              ;   in Loop: Header=BB160_4 Depth=1
	s_add_co_i32 s2, s2, 0x10000
	s_delay_alu instid0(SALU_CYCLE_1)
	s_cmp_lt_u32 s2, s28
	s_cbranch_scc0 .LBB160_19
.LBB160_4:                              ; =>This Inner Loop Header: Depth=1
	s_mul_u64 s[30:31], s[6:7], s[2:3]
	s_wait_alu 0xfffe
	s_lshl_b64 s[30:31], s[30:31], 3
	s_wait_alu 0xfffe
	s_add_nc_u64 s[30:31], s[4:5], s[30:31]
	global_load_b64 v[8:9], v0, s[30:31]
	s_wait_loadcnt 0x0
	v_cmp_eq_f64_e32 vcc_lo, 0, v[8:9]
	s_cbranch_vccnz .LBB160_3
; %bb.5:                                ;   in Loop: Header=BB160_4 Depth=1
	s_lshl_b64 s[30:31], s[2:3], 3
	s_wait_alu 0xfffe
	s_add_nc_u64 s[34:35], s[8:9], s[30:31]
	s_add_nc_u64 s[36:37], s[14:15], s[30:31]
	s_add_nc_u64 s[30:31], s[20:21], s[30:31]
	s_clause 0x2
	global_load_b64 v[14:15], v0, s[34:35]
	global_load_b64 v[12:13], v0, s[36:37]
	;; [unrolled: 1-line block ×3, first 2 shown]
	s_mov_b32 s30, s3
	s_mov_b32 s31, s3
	s_wait_alu 0xfffe
	v_dual_mov_b32 v25, s30 :: v_dual_mov_b32 v26, s31
	ds_store_b64 v16, v[25:26]
	ds_store_b64 v17, v[25:26]
	s_wait_loadcnt_dscnt 0x0
	s_barrier_signal -1
	s_barrier_wait -1
	global_inv scope:SCOPE_SE
	s_and_saveexec_b32 s29, s26
	s_cbranch_execnz .LBB160_11
; %bb.6:                                ;   in Loop: Header=BB160_4 Depth=1
	s_or_b32 exec_lo, exec_lo, s29
	s_and_saveexec_b32 s29, s27
	s_cbranch_execnz .LBB160_12
.LBB160_7:                              ;   in Loop: Header=BB160_4 Depth=1
	s_or_b32 exec_lo, exec_lo, s29
	s_and_saveexec_b32 s29, s25
.LBB160_8:                              ;   in Loop: Header=BB160_4 Depth=1
	ds_store_b64 v16, v[0:1]
.LBB160_9:                              ;   in Loop: Header=BB160_4 Depth=1
	s_or_b32 exec_lo, exec_lo, s29
	s_delay_alu instid0(SALU_CYCLE_1)
	s_and_b32 vcc_lo, exec_lo, s24
	s_wait_loadcnt_dscnt 0x0
	s_barrier_signal -1
	s_barrier_wait -1
	global_inv scope:SCOPE_SE
	s_wait_alu 0xfffe
	s_cbranch_vccz .LBB160_13
; %bb.10:                               ;   in Loop: Header=BB160_4 Depth=1
	s_and_b32 s29, s0, exec_lo
	s_cbranch_execz .LBB160_14
	s_branch .LBB160_15
.LBB160_11:                             ;   in Loop: Header=BB160_4 Depth=1
	v_add_co_u32 v14, vcc_lo, v14, s10
	s_wait_alu 0xfffd
	v_add_co_ci_u32_e64 v15, null, s11, v15, vcc_lo
	s_delay_alu instid0(VALU_DEP_2) | instskip(SKIP_1) | instid1(VALU_DEP_2)
	v_add_co_u32 v14, vcc_lo, v14, v2
	s_wait_alu 0xfffd
	v_add_co_ci_u32_e64 v15, null, v15, v3, vcc_lo
	s_delay_alu instid0(VALU_DEP_2) | instskip(SKIP_1) | instid1(VALU_DEP_2)
	v_add_co_u32 v14, vcc_lo, v14, v21
	s_wait_alu 0xfffd
	v_add_co_ci_u32_e64 v15, null, 0, v15, vcc_lo
	flat_load_b64 v[14:15], v[14:15]
	s_wait_loadcnt_dscnt 0x0
	ds_store_b64 v20, v[14:15]
	s_or_b32 exec_lo, exec_lo, s29
	s_and_saveexec_b32 s29, s27
	s_cbranch_execz .LBB160_7
.LBB160_12:                             ;   in Loop: Header=BB160_4 Depth=1
	v_add_co_u32 v12, vcc_lo, v12, s12
	s_wait_alu 0xfffd
	v_add_co_ci_u32_e64 v13, null, s13, v13, vcc_lo
	s_wait_alu 0xfffe
	s_delay_alu instid0(VALU_DEP_2) | instskip(SKIP_1) | instid1(VALU_DEP_2)
	v_add_co_u32 v12, vcc_lo, v12, s16
	s_wait_alu 0xfffd
	v_add_co_ci_u32_e64 v13, null, s17, v13, vcc_lo
	s_delay_alu instid0(VALU_DEP_2) | instskip(SKIP_1) | instid1(VALU_DEP_2)
	v_add_co_u32 v12, vcc_lo, v12, v4
	s_wait_alu 0xfffd
	v_add_co_ci_u32_e64 v13, null, v13, v5, vcc_lo
	;; [unrolled: 4-line block ×3, first 2 shown]
	flat_load_b64 v[12:13], v[12:13]
	s_wait_loadcnt_dscnt 0x0
	ds_store_b64 v17, v[12:13]
	s_or_b32 exec_lo, exec_lo, s29
	s_and_saveexec_b32 s29, s25
	s_cbranch_execnz .LBB160_8
	s_branch .LBB160_9
.LBB160_13:                             ;   in Loop: Header=BB160_4 Depth=1
	s_mov_b32 s29, 0
.LBB160_14:                             ;   in Loop: Header=BB160_4 Depth=1
	s_delay_alu instid0(SALU_CYCLE_1)
	s_and_not1_b32 s29, s29, exec_lo
	s_and_b32 s30, s1, exec_lo
	s_wait_alu 0xfffe
	s_or_b32 s29, s29, s30
.LBB160_15:                             ;   in Loop: Header=BB160_4 Depth=1
	s_delay_alu instid0(SALU_CYCLE_1)
	s_and_saveexec_b32 s30, s29
; %bb.16:                               ;   in Loop: Header=BB160_4 Depth=1
	v_dual_mov_b32 v12, v0 :: v_dual_mov_b32 v13, v0
	ds_store_b64 v16, v[12:13]
; %bb.17:                               ;   in Loop: Header=BB160_4 Depth=1
	s_wait_alu 0xfffe
	s_or_b32 exec_lo, exec_lo, s30
	s_wait_loadcnt_dscnt 0x0
	s_barrier_signal -1
	s_barrier_wait -1
	global_inv scope:SCOPE_SE
	s_and_saveexec_b32 s29, s27
	s_cbranch_execz .LBB160_2
; %bb.18:                               ;   in Loop: Header=BB160_4 Depth=1
	ds_load_2addr_b64 v[12:15], v18 offset1:32
	ds_load_b128 v[25:28], v19
	ds_load_b128 v[29:32], v19 offset:16
	v_add_co_u32 v10, vcc_lo, v10, s18
	s_wait_alu 0xfffd
	v_add_co_ci_u32_e64 v11, null, s19, v11, vcc_lo
	s_delay_alu instid0(VALU_DEP_2) | instskip(SKIP_1) | instid1(VALU_DEP_2)
	v_add_co_u32 v10, vcc_lo, v10, s22
	s_wait_alu 0xfffd
	v_add_co_ci_u32_e64 v11, null, s23, v11, vcc_lo
	s_delay_alu instid0(VALU_DEP_2) | instskip(SKIP_1) | instid1(VALU_DEP_2)
	;; [unrolled: 4-line block ×3, first 2 shown]
	v_add_co_u32 v10, vcc_lo, v10, v21
	s_wait_alu 0xfffd
	v_add_co_ci_u32_e64 v11, null, 0, v11, vcc_lo
	s_wait_dscnt 0x1
	v_fma_f64 v[12:13], v[12:13], v[25:26], 0
	s_delay_alu instid0(VALU_DEP_1) | instskip(SKIP_3) | instid1(VALU_DEP_1)
	v_fma_f64 v[25:26], v[14:15], v[27:28], v[12:13]
	ds_load_2addr_b64 v[12:15], v18 offset0:64 offset1:96
	s_wait_dscnt 0x0
	v_fma_f64 v[12:13], v[12:13], v[29:30], v[25:26]
	v_fma_f64 v[33:34], v[14:15], v[31:32], v[12:13]
	ds_load_2addr_b64 v[12:15], v18 offset0:128 offset1:160
	ds_load_b128 v[25:28], v19 offset:32
	ds_load_b128 v[29:32], v19 offset:48
	s_wait_dscnt 0x1
	v_fma_f64 v[12:13], v[12:13], v[25:26], v[33:34]
	s_delay_alu instid0(VALU_DEP_1) | instskip(SKIP_3) | instid1(VALU_DEP_1)
	v_fma_f64 v[25:26], v[14:15], v[27:28], v[12:13]
	ds_load_2addr_b64 v[12:15], v18 offset0:192 offset1:224
	s_wait_dscnt 0x0
	v_fma_f64 v[12:13], v[12:13], v[29:30], v[25:26]
	v_fma_f64 v[33:34], v[14:15], v[31:32], v[12:13]
	ds_load_2addr_b64 v[12:15], v22 offset1:32
	ds_load_b128 v[25:28], v19 offset:64
	ds_load_b128 v[29:32], v19 offset:80
	s_wait_dscnt 0x1
	v_fma_f64 v[12:13], v[12:13], v[25:26], v[33:34]
	s_delay_alu instid0(VALU_DEP_1) | instskip(SKIP_3) | instid1(VALU_DEP_1)
	v_fma_f64 v[25:26], v[14:15], v[27:28], v[12:13]
	ds_load_2addr_b64 v[12:15], v22 offset0:64 offset1:96
	s_wait_dscnt 0x0
	v_fma_f64 v[12:13], v[12:13], v[29:30], v[25:26]
	v_fma_f64 v[33:34], v[14:15], v[31:32], v[12:13]
	ds_load_2addr_b64 v[12:15], v22 offset0:128 offset1:160
	ds_load_b128 v[25:28], v19 offset:96
	ds_load_b128 v[29:32], v19 offset:112
	s_wait_dscnt 0x1
	v_fma_f64 v[12:13], v[12:13], v[25:26], v[33:34]
	s_delay_alu instid0(VALU_DEP_1) | instskip(SKIP_3) | instid1(VALU_DEP_1)
	v_fma_f64 v[25:26], v[14:15], v[27:28], v[12:13]
	ds_load_2addr_b64 v[12:15], v22 offset0:192 offset1:224
	s_wait_dscnt 0x0
	v_fma_f64 v[12:13], v[12:13], v[29:30], v[25:26]
	v_fma_f64 v[33:34], v[14:15], v[31:32], v[12:13]
	ds_load_2addr_b64 v[12:15], v23 offset1:32
	ds_load_b128 v[25:28], v19 offset:128
	ds_load_b128 v[29:32], v19 offset:144
	;; [unrolled: 22-line block ×3, first 2 shown]
	s_wait_dscnt 0x1
	v_fma_f64 v[12:13], v[12:13], v[25:26], v[33:34]
	s_delay_alu instid0(VALU_DEP_1) | instskip(SKIP_3) | instid1(VALU_DEP_1)
	v_fma_f64 v[25:26], v[14:15], v[27:28], v[12:13]
	ds_load_2addr_b64 v[12:15], v24 offset0:64 offset1:96
	s_wait_dscnt 0x0
	v_fma_f64 v[12:13], v[12:13], v[29:30], v[25:26]
	v_fma_f64 v[33:34], v[14:15], v[31:32], v[12:13]
	ds_load_2addr_b64 v[12:15], v24 offset0:128 offset1:160
	ds_load_b128 v[25:28], v19 offset:224
	ds_load_b128 v[29:32], v19 offset:240
	s_wait_dscnt 0x1
	v_fma_f64 v[12:13], v[12:13], v[25:26], v[33:34]
	s_delay_alu instid0(VALU_DEP_1) | instskip(SKIP_3) | instid1(VALU_DEP_1)
	v_fma_f64 v[25:26], v[14:15], v[27:28], v[12:13]
	ds_load_2addr_b64 v[12:15], v24 offset0:192 offset1:224
	s_wait_dscnt 0x0
	v_fma_f64 v[12:13], v[12:13], v[29:30], v[25:26]
	v_fma_f64 v[12:13], v[14:15], v[31:32], v[12:13]
	s_delay_alu instid0(VALU_DEP_1)
	v_mul_f64_e32 v[8:9], v[8:9], v[12:13]
	flat_store_b64 v[10:11], v[8:9]
	s_branch .LBB160_2
.LBB160_19:
	s_endpgm
	.section	.rodata,"a",@progbits
	.p2align	6, 0x0
	.amdhsa_kernel _ZL23rocblas_trmm_lTx_kernelILi32ELb1EdPKdKS1_KPdEv13rocblas_fill_17rocblas_diagonal_iiT2_lPT3_llS9_llPT4_lli
		.amdhsa_group_segment_fixed_size 16384
		.amdhsa_private_segment_fixed_size 0
		.amdhsa_kernarg_size 108
		.amdhsa_user_sgpr_count 2
		.amdhsa_user_sgpr_dispatch_ptr 0
		.amdhsa_user_sgpr_queue_ptr 0
		.amdhsa_user_sgpr_kernarg_segment_ptr 1
		.amdhsa_user_sgpr_dispatch_id 0
		.amdhsa_user_sgpr_private_segment_size 0
		.amdhsa_wavefront_size32 1
		.amdhsa_uses_dynamic_stack 0
		.amdhsa_enable_private_segment 0
		.amdhsa_system_sgpr_workgroup_id_x 1
		.amdhsa_system_sgpr_workgroup_id_y 0
		.amdhsa_system_sgpr_workgroup_id_z 1
		.amdhsa_system_sgpr_workgroup_info 0
		.amdhsa_system_vgpr_workitem_id 1
		.amdhsa_next_free_vgpr 35
		.amdhsa_next_free_sgpr 38
		.amdhsa_reserve_vcc 1
		.amdhsa_float_round_mode_32 0
		.amdhsa_float_round_mode_16_64 0
		.amdhsa_float_denorm_mode_32 3
		.amdhsa_float_denorm_mode_16_64 3
		.amdhsa_fp16_overflow 0
		.amdhsa_workgroup_processor_mode 1
		.amdhsa_memory_ordered 1
		.amdhsa_forward_progress 1
		.amdhsa_inst_pref_size 14
		.amdhsa_round_robin_scheduling 0
		.amdhsa_exception_fp_ieee_invalid_op 0
		.amdhsa_exception_fp_denorm_src 0
		.amdhsa_exception_fp_ieee_div_zero 0
		.amdhsa_exception_fp_ieee_overflow 0
		.amdhsa_exception_fp_ieee_underflow 0
		.amdhsa_exception_fp_ieee_inexact 0
		.amdhsa_exception_int_div_zero 0
	.end_amdhsa_kernel
	.section	.text._ZL23rocblas_trmm_lTx_kernelILi32ELb1EdPKdKS1_KPdEv13rocblas_fill_17rocblas_diagonal_iiT2_lPT3_llS9_llPT4_lli,"axG",@progbits,_ZL23rocblas_trmm_lTx_kernelILi32ELb1EdPKdKS1_KPdEv13rocblas_fill_17rocblas_diagonal_iiT2_lPT3_llS9_llPT4_lli,comdat
.Lfunc_end160:
	.size	_ZL23rocblas_trmm_lTx_kernelILi32ELb1EdPKdKS1_KPdEv13rocblas_fill_17rocblas_diagonal_iiT2_lPT3_llS9_llPT4_lli, .Lfunc_end160-_ZL23rocblas_trmm_lTx_kernelILi32ELb1EdPKdKS1_KPdEv13rocblas_fill_17rocblas_diagonal_iiT2_lPT3_llS9_llPT4_lli
                                        ; -- End function
	.set _ZL23rocblas_trmm_lTx_kernelILi32ELb1EdPKdKS1_KPdEv13rocblas_fill_17rocblas_diagonal_iiT2_lPT3_llS9_llPT4_lli.num_vgpr, 35
	.set _ZL23rocblas_trmm_lTx_kernelILi32ELb1EdPKdKS1_KPdEv13rocblas_fill_17rocblas_diagonal_iiT2_lPT3_llS9_llPT4_lli.num_agpr, 0
	.set _ZL23rocblas_trmm_lTx_kernelILi32ELb1EdPKdKS1_KPdEv13rocblas_fill_17rocblas_diagonal_iiT2_lPT3_llS9_llPT4_lli.numbered_sgpr, 38
	.set _ZL23rocblas_trmm_lTx_kernelILi32ELb1EdPKdKS1_KPdEv13rocblas_fill_17rocblas_diagonal_iiT2_lPT3_llS9_llPT4_lli.num_named_barrier, 0
	.set _ZL23rocblas_trmm_lTx_kernelILi32ELb1EdPKdKS1_KPdEv13rocblas_fill_17rocblas_diagonal_iiT2_lPT3_llS9_llPT4_lli.private_seg_size, 0
	.set _ZL23rocblas_trmm_lTx_kernelILi32ELb1EdPKdKS1_KPdEv13rocblas_fill_17rocblas_diagonal_iiT2_lPT3_llS9_llPT4_lli.uses_vcc, 1
	.set _ZL23rocblas_trmm_lTx_kernelILi32ELb1EdPKdKS1_KPdEv13rocblas_fill_17rocblas_diagonal_iiT2_lPT3_llS9_llPT4_lli.uses_flat_scratch, 0
	.set _ZL23rocblas_trmm_lTx_kernelILi32ELb1EdPKdKS1_KPdEv13rocblas_fill_17rocblas_diagonal_iiT2_lPT3_llS9_llPT4_lli.has_dyn_sized_stack, 0
	.set _ZL23rocblas_trmm_lTx_kernelILi32ELb1EdPKdKS1_KPdEv13rocblas_fill_17rocblas_diagonal_iiT2_lPT3_llS9_llPT4_lli.has_recursion, 0
	.set _ZL23rocblas_trmm_lTx_kernelILi32ELb1EdPKdKS1_KPdEv13rocblas_fill_17rocblas_diagonal_iiT2_lPT3_llS9_llPT4_lli.has_indirect_call, 0
	.section	.AMDGPU.csdata,"",@progbits
; Kernel info:
; codeLenInByte = 1752
; TotalNumSgprs: 40
; NumVgprs: 35
; ScratchSize: 0
; MemoryBound: 0
; FloatMode: 240
; IeeeMode: 1
; LDSByteSize: 16384 bytes/workgroup (compile time only)
; SGPRBlocks: 0
; VGPRBlocks: 4
; NumSGPRsForWavesPerEU: 40
; NumVGPRsForWavesPerEU: 35
; Occupancy: 16
; WaveLimiterHint : 1
; COMPUTE_PGM_RSRC2:SCRATCH_EN: 0
; COMPUTE_PGM_RSRC2:USER_SGPR: 2
; COMPUTE_PGM_RSRC2:TRAP_HANDLER: 0
; COMPUTE_PGM_RSRC2:TGID_X_EN: 1
; COMPUTE_PGM_RSRC2:TGID_Y_EN: 0
; COMPUTE_PGM_RSRC2:TGID_Z_EN: 1
; COMPUTE_PGM_RSRC2:TIDIG_COMP_CNT: 1
	.section	.text._ZL23rocblas_trmm_lTx_kernelILi32ELb1EddKPKdKPdEv13rocblas_fill_17rocblas_diagonal_iiT2_lPT3_llS9_llPT4_lli,"axG",@progbits,_ZL23rocblas_trmm_lTx_kernelILi32ELb1EddKPKdKPdEv13rocblas_fill_17rocblas_diagonal_iiT2_lPT3_llS9_llPT4_lli,comdat
	.globl	_ZL23rocblas_trmm_lTx_kernelILi32ELb1EddKPKdKPdEv13rocblas_fill_17rocblas_diagonal_iiT2_lPT3_llS9_llPT4_lli ; -- Begin function _ZL23rocblas_trmm_lTx_kernelILi32ELb1EddKPKdKPdEv13rocblas_fill_17rocblas_diagonal_iiT2_lPT3_llS9_llPT4_lli
	.p2align	8
	.type	_ZL23rocblas_trmm_lTx_kernelILi32ELb1EddKPKdKPdEv13rocblas_fill_17rocblas_diagonal_iiT2_lPT3_llS9_llPT4_lli,@function
_ZL23rocblas_trmm_lTx_kernelILi32ELb1EddKPKdKPdEv13rocblas_fill_17rocblas_diagonal_iiT2_lPT3_llS9_llPT4_lli: ; @_ZL23rocblas_trmm_lTx_kernelILi32ELb1EddKPKdKPdEv13rocblas_fill_17rocblas_diagonal_iiT2_lPT3_llS9_llPT4_lli
; %bb.0:
	s_load_b32 s26, s[0:1], 0x68
	s_lshr_b32 s2, ttmp7, 16
	s_wait_kmcnt 0x0
	s_cmp_ge_u32 s2, s26
	s_cbranch_scc1 .LBB161_19
; %bb.1:
	s_clause 0x3
	s_load_b64 s[24:25], s[0:1], 0x10
	s_load_b64 s[28:29], s[0:1], 0x60
	s_load_b512 s[4:19], s[0:1], 0x20
	s_load_b128 s[20:23], s[0:1], 0x0
	v_bfe_u32 v11, v0, 10, 10
	s_delay_alu instid0(VALU_DEP_1)
	v_lshl_add_u32 v17, v11, 8, 0x2000
	v_lshlrev_b32_e32 v13, 3, v11
	s_wait_kmcnt 0x0
	v_cmp_neq_f64_e64 s27, s[24:25], 0
	v_mad_co_u64_u32 v[4:5], null, s12, v11, 0
	s_add_co_i32 s1, s23, -1
	v_mad_co_u64_u32 v[1:2], null, s6, v11, 0
	s_ashr_i32 s3, s1, 31
	v_and_b32_e32 v12, 0x3ff, v0
	v_mad_co_u64_u32 v[6:7], null, s18, v11, 0
	v_mov_b32_e32 v3, v5
	s_lshr_b32 s3, s3, 27
	v_lshlrev_b32_e32 v0, 5, v11
	s_add_co_i32 s1, s1, s3
	v_cmp_gt_i32_e32 vcc_lo, s22, v11
	s_ashr_i32 s3, s1, 5
	s_and_not1_b32 s1, s1, 31
	v_mad_co_u64_u32 v[8:9], null, s7, v11, v[2:3]
	v_cmp_gt_i32_e64 s0, s22, v12
	s_sub_co_i32 s1, s23, s1
	s_cmp_ge_i32 ttmp9, s3
	v_mad_co_u64_u32 v[9:10], null, s13, v11, v[3:4]
	v_mov_b32_e32 v3, v7
	v_add_lshl_u32 v14, v0, v12, 3
	s_cselect_b32 s1, s1, 32
	s_and_b32 s22, vcc_lo, s0
	v_cmp_gt_i32_e32 vcc_lo, s1, v11
	s_delay_alu instid0(VALU_DEP_2)
	v_dual_mov_b32 v2, v8 :: v_dual_add_nc_u32 v15, 0x2000, v14
	v_mad_co_u64_u32 v[7:8], null, s19, v11, v[3:4]
	s_lshl_b32 s6, ttmp9, 5
	v_dual_mov_b32 v5, v9 :: v_dual_lshlrev_b32 v10, 8, v12
	v_mov_b32_e32 v0, 0
	s_wait_alu 0xfffe
	s_ashr_i32 s7, s6, 31
	s_and_b32 s23, s0, vcc_lo
	v_cmp_eq_u32_e32 vcc_lo, v11, v12
	v_lshlrev_b32_e32 v16, 3, v12
	s_cmp_eq_u32 s21, 0x84
	v_lshlrev_b64_e32 v[2:3], 3, v[1:2]
	s_cselect_b32 s0, -1, 0
	v_lshlrev_b64_e32 v[4:5], 3, v[4:5]
	v_lshlrev_b64_e32 v[6:7], 3, v[6:7]
	s_wait_alu 0xfffe
	s_and_b32 s21, vcc_lo, s0
	v_cmp_lt_u32_e64 s0, v12, v11
	v_cmp_gt_u32_e64 s1, v12, v11
	v_add_nc_u32_e32 v18, v13, v10
	v_lshlrev_b32_e32 v19, 3, v12
	v_mov_b32_e32 v1, 0x3ff00000
	v_add_nc_u32_e32 v20, 0x800, v16
	v_add_nc_u32_e32 v21, 0x1000, v16
	;; [unrolled: 1-line block ×3, first 2 shown]
	s_mul_u64 s[12:13], s[12:13], s[6:7]
	s_mul_u64 s[30:31], s[18:19], s[6:7]
	s_cmp_lg_u32 s20, 0x7a
	s_mov_b32 s3, 0
	s_cselect_b32 s20, -1, 0
	s_lshl_b64 s[6:7], s[8:9], 3
	s_lshl_b64 s[8:9], s[14:15], 3
	s_wait_alu 0xfffe
	s_lshl_b64 s[12:13], s[12:13], 3
	s_lshl_b64 s[14:15], s[28:29], 3
	s_lshl_b64 s[18:19], s[30:31], 3
	s_branch .LBB161_4
.LBB161_2:                              ;   in Loop: Header=BB161_4 Depth=1
	s_wait_alu 0xfffe
	s_or_b32 exec_lo, exec_lo, s28
.LBB161_3:                              ;   in Loop: Header=BB161_4 Depth=1
	s_add_co_i32 s2, s2, 0x10000
	s_delay_alu instid0(SALU_CYCLE_1)
	s_cmp_lt_u32 s2, s26
	s_cbranch_scc0 .LBB161_19
.LBB161_4:                              ; =>This Inner Loop Header: Depth=1
	s_and_not1_b32 vcc_lo, exec_lo, s27
	s_wait_alu 0xfffe
	s_cbranch_vccnz .LBB161_3
; %bb.5:                                ;   in Loop: Header=BB161_4 Depth=1
	s_lshl_b64 s[28:29], s[2:3], 3
	s_wait_alu 0xfffe
	s_add_nc_u64 s[30:31], s[4:5], s[28:29]
	s_add_nc_u64 s[34:35], s[10:11], s[28:29]
	;; [unrolled: 1-line block ×3, first 2 shown]
	s_clause 0x2
	global_load_b64 v[12:13], v0, s[30:31]
	global_load_b64 v[10:11], v0, s[34:35]
	;; [unrolled: 1-line block ×3, first 2 shown]
	s_mov_b32 s28, s3
	s_mov_b32 s29, s3
	s_wait_alu 0xfffe
	v_dual_mov_b32 v23, s28 :: v_dual_mov_b32 v24, s29
	ds_store_b64 v14, v[23:24]
	ds_store_b64 v15, v[23:24]
	s_wait_loadcnt_dscnt 0x0
	s_barrier_signal -1
	s_barrier_wait -1
	global_inv scope:SCOPE_SE
	s_and_saveexec_b32 s28, s22
	s_cbranch_execnz .LBB161_11
; %bb.6:                                ;   in Loop: Header=BB161_4 Depth=1
	s_wait_alu 0xfffe
	s_or_b32 exec_lo, exec_lo, s28
	s_and_saveexec_b32 s28, s23
	s_cbranch_execnz .LBB161_12
.LBB161_7:                              ;   in Loop: Header=BB161_4 Depth=1
	s_wait_alu 0xfffe
	s_or_b32 exec_lo, exec_lo, s28
	s_and_saveexec_b32 s28, s21
.LBB161_8:                              ;   in Loop: Header=BB161_4 Depth=1
	ds_store_b64 v14, v[0:1]
.LBB161_9:                              ;   in Loop: Header=BB161_4 Depth=1
	s_wait_alu 0xfffe
	s_or_b32 exec_lo, exec_lo, s28
	s_delay_alu instid0(SALU_CYCLE_1)
	s_and_b32 vcc_lo, exec_lo, s20
	s_wait_loadcnt_dscnt 0x0
	s_barrier_signal -1
	s_barrier_wait -1
	global_inv scope:SCOPE_SE
	s_wait_alu 0xfffe
	s_cbranch_vccz .LBB161_13
; %bb.10:                               ;   in Loop: Header=BB161_4 Depth=1
	s_and_b32 s28, s0, exec_lo
	s_cbranch_execz .LBB161_14
	s_branch .LBB161_15
.LBB161_11:                             ;   in Loop: Header=BB161_4 Depth=1
	v_add_co_u32 v12, vcc_lo, v12, s6
	s_wait_alu 0xfffd
	v_add_co_ci_u32_e64 v13, null, s7, v13, vcc_lo
	s_delay_alu instid0(VALU_DEP_2) | instskip(SKIP_1) | instid1(VALU_DEP_2)
	v_add_co_u32 v12, vcc_lo, v12, v2
	s_wait_alu 0xfffd
	v_add_co_ci_u32_e64 v13, null, v13, v3, vcc_lo
	s_delay_alu instid0(VALU_DEP_2) | instskip(SKIP_1) | instid1(VALU_DEP_2)
	v_add_co_u32 v12, vcc_lo, v12, v19
	s_wait_alu 0xfffd
	v_add_co_ci_u32_e64 v13, null, 0, v13, vcc_lo
	flat_load_b64 v[12:13], v[12:13]
	s_wait_loadcnt_dscnt 0x0
	ds_store_b64 v18, v[12:13]
	s_wait_alu 0xfffe
	s_or_b32 exec_lo, exec_lo, s28
	s_and_saveexec_b32 s28, s23
	s_cbranch_execz .LBB161_7
.LBB161_12:                             ;   in Loop: Header=BB161_4 Depth=1
	v_add_co_u32 v10, vcc_lo, v10, s8
	s_wait_alu 0xfffd
	v_add_co_ci_u32_e64 v11, null, s9, v11, vcc_lo
	s_delay_alu instid0(VALU_DEP_2) | instskip(SKIP_1) | instid1(VALU_DEP_2)
	v_add_co_u32 v10, vcc_lo, v10, s12
	s_wait_alu 0xfffd
	v_add_co_ci_u32_e64 v11, null, s13, v11, vcc_lo
	s_delay_alu instid0(VALU_DEP_2) | instskip(SKIP_1) | instid1(VALU_DEP_2)
	v_add_co_u32 v10, vcc_lo, v10, v4
	s_wait_alu 0xfffd
	v_add_co_ci_u32_e64 v11, null, v11, v5, vcc_lo
	s_delay_alu instid0(VALU_DEP_2) | instskip(SKIP_1) | instid1(VALU_DEP_2)
	v_add_co_u32 v10, vcc_lo, v10, v19
	s_wait_alu 0xfffd
	v_add_co_ci_u32_e64 v11, null, 0, v11, vcc_lo
	flat_load_b64 v[10:11], v[10:11]
	s_wait_loadcnt_dscnt 0x0
	ds_store_b64 v15, v[10:11]
	s_wait_alu 0xfffe
	s_or_b32 exec_lo, exec_lo, s28
	s_and_saveexec_b32 s28, s21
	s_cbranch_execnz .LBB161_8
	s_branch .LBB161_9
.LBB161_13:                             ;   in Loop: Header=BB161_4 Depth=1
	s_mov_b32 s28, 0
.LBB161_14:                             ;   in Loop: Header=BB161_4 Depth=1
	s_wait_alu 0xfffe
	s_and_not1_b32 s28, s28, exec_lo
	s_and_b32 s29, s1, exec_lo
	s_wait_alu 0xfffe
	s_or_b32 s28, s28, s29
.LBB161_15:                             ;   in Loop: Header=BB161_4 Depth=1
	s_wait_alu 0xfffe
	s_and_saveexec_b32 s29, s28
; %bb.16:                               ;   in Loop: Header=BB161_4 Depth=1
	v_dual_mov_b32 v10, v0 :: v_dual_mov_b32 v11, v0
	ds_store_b64 v14, v[10:11]
; %bb.17:                               ;   in Loop: Header=BB161_4 Depth=1
	s_wait_alu 0xfffe
	s_or_b32 exec_lo, exec_lo, s29
	s_wait_loadcnt_dscnt 0x0
	s_barrier_signal -1
	s_barrier_wait -1
	global_inv scope:SCOPE_SE
	s_and_saveexec_b32 s28, s23
	s_cbranch_execz .LBB161_2
; %bb.18:                               ;   in Loop: Header=BB161_4 Depth=1
	ds_load_2addr_b64 v[10:13], v16 offset1:32
	ds_load_b128 v[23:26], v17
	ds_load_b128 v[27:30], v17 offset:16
	v_add_co_u32 v8, vcc_lo, v8, s14
	s_wait_alu 0xfffd
	v_add_co_ci_u32_e64 v9, null, s15, v9, vcc_lo
	s_delay_alu instid0(VALU_DEP_2) | instskip(SKIP_1) | instid1(VALU_DEP_2)
	v_add_co_u32 v8, vcc_lo, v8, s18
	s_wait_alu 0xfffd
	v_add_co_ci_u32_e64 v9, null, s19, v9, vcc_lo
	s_delay_alu instid0(VALU_DEP_2) | instskip(SKIP_1) | instid1(VALU_DEP_2)
	;; [unrolled: 4-line block ×3, first 2 shown]
	v_add_co_u32 v8, vcc_lo, v8, v19
	s_wait_alu 0xfffd
	v_add_co_ci_u32_e64 v9, null, 0, v9, vcc_lo
	s_wait_dscnt 0x1
	v_fma_f64 v[10:11], v[10:11], v[23:24], 0
	s_delay_alu instid0(VALU_DEP_1) | instskip(SKIP_3) | instid1(VALU_DEP_1)
	v_fma_f64 v[23:24], v[12:13], v[25:26], v[10:11]
	ds_load_2addr_b64 v[10:13], v16 offset0:64 offset1:96
	s_wait_dscnt 0x0
	v_fma_f64 v[10:11], v[10:11], v[27:28], v[23:24]
	v_fma_f64 v[31:32], v[12:13], v[29:30], v[10:11]
	ds_load_2addr_b64 v[10:13], v16 offset0:128 offset1:160
	ds_load_b128 v[23:26], v17 offset:32
	ds_load_b128 v[27:30], v17 offset:48
	s_wait_dscnt 0x1
	v_fma_f64 v[10:11], v[10:11], v[23:24], v[31:32]
	s_delay_alu instid0(VALU_DEP_1) | instskip(SKIP_3) | instid1(VALU_DEP_1)
	v_fma_f64 v[23:24], v[12:13], v[25:26], v[10:11]
	ds_load_2addr_b64 v[10:13], v16 offset0:192 offset1:224
	s_wait_dscnt 0x0
	v_fma_f64 v[10:11], v[10:11], v[27:28], v[23:24]
	v_fma_f64 v[31:32], v[12:13], v[29:30], v[10:11]
	ds_load_2addr_b64 v[10:13], v20 offset1:32
	ds_load_b128 v[23:26], v17 offset:64
	ds_load_b128 v[27:30], v17 offset:80
	s_wait_dscnt 0x1
	v_fma_f64 v[10:11], v[10:11], v[23:24], v[31:32]
	s_delay_alu instid0(VALU_DEP_1) | instskip(SKIP_3) | instid1(VALU_DEP_1)
	v_fma_f64 v[23:24], v[12:13], v[25:26], v[10:11]
	ds_load_2addr_b64 v[10:13], v20 offset0:64 offset1:96
	s_wait_dscnt 0x0
	v_fma_f64 v[10:11], v[10:11], v[27:28], v[23:24]
	v_fma_f64 v[31:32], v[12:13], v[29:30], v[10:11]
	ds_load_2addr_b64 v[10:13], v20 offset0:128 offset1:160
	ds_load_b128 v[23:26], v17 offset:96
	ds_load_b128 v[27:30], v17 offset:112
	s_wait_dscnt 0x1
	v_fma_f64 v[10:11], v[10:11], v[23:24], v[31:32]
	s_delay_alu instid0(VALU_DEP_1) | instskip(SKIP_3) | instid1(VALU_DEP_1)
	v_fma_f64 v[23:24], v[12:13], v[25:26], v[10:11]
	ds_load_2addr_b64 v[10:13], v20 offset0:192 offset1:224
	s_wait_dscnt 0x0
	v_fma_f64 v[10:11], v[10:11], v[27:28], v[23:24]
	v_fma_f64 v[31:32], v[12:13], v[29:30], v[10:11]
	ds_load_2addr_b64 v[10:13], v21 offset1:32
	ds_load_b128 v[23:26], v17 offset:128
	ds_load_b128 v[27:30], v17 offset:144
	;; [unrolled: 22-line block ×3, first 2 shown]
	s_wait_dscnt 0x1
	v_fma_f64 v[10:11], v[10:11], v[23:24], v[31:32]
	s_delay_alu instid0(VALU_DEP_1) | instskip(SKIP_3) | instid1(VALU_DEP_1)
	v_fma_f64 v[23:24], v[12:13], v[25:26], v[10:11]
	ds_load_2addr_b64 v[10:13], v22 offset0:64 offset1:96
	s_wait_dscnt 0x0
	v_fma_f64 v[10:11], v[10:11], v[27:28], v[23:24]
	v_fma_f64 v[31:32], v[12:13], v[29:30], v[10:11]
	ds_load_2addr_b64 v[10:13], v22 offset0:128 offset1:160
	ds_load_b128 v[23:26], v17 offset:224
	ds_load_b128 v[27:30], v17 offset:240
	s_wait_dscnt 0x1
	v_fma_f64 v[10:11], v[10:11], v[23:24], v[31:32]
	s_delay_alu instid0(VALU_DEP_1) | instskip(SKIP_3) | instid1(VALU_DEP_1)
	v_fma_f64 v[23:24], v[12:13], v[25:26], v[10:11]
	ds_load_2addr_b64 v[10:13], v22 offset0:192 offset1:224
	s_wait_dscnt 0x0
	v_fma_f64 v[10:11], v[10:11], v[27:28], v[23:24]
	v_fma_f64 v[10:11], v[12:13], v[29:30], v[10:11]
	s_delay_alu instid0(VALU_DEP_1)
	v_mul_f64_e32 v[10:11], s[24:25], v[10:11]
	flat_store_b64 v[8:9], v[10:11]
	s_branch .LBB161_2
.LBB161_19:
	s_endpgm
	.section	.rodata,"a",@progbits
	.p2align	6, 0x0
	.amdhsa_kernel _ZL23rocblas_trmm_lTx_kernelILi32ELb1EddKPKdKPdEv13rocblas_fill_17rocblas_diagonal_iiT2_lPT3_llS9_llPT4_lli
		.amdhsa_group_segment_fixed_size 16384
		.amdhsa_private_segment_fixed_size 0
		.amdhsa_kernarg_size 108
		.amdhsa_user_sgpr_count 2
		.amdhsa_user_sgpr_dispatch_ptr 0
		.amdhsa_user_sgpr_queue_ptr 0
		.amdhsa_user_sgpr_kernarg_segment_ptr 1
		.amdhsa_user_sgpr_dispatch_id 0
		.amdhsa_user_sgpr_private_segment_size 0
		.amdhsa_wavefront_size32 1
		.amdhsa_uses_dynamic_stack 0
		.amdhsa_enable_private_segment 0
		.amdhsa_system_sgpr_workgroup_id_x 1
		.amdhsa_system_sgpr_workgroup_id_y 0
		.amdhsa_system_sgpr_workgroup_id_z 1
		.amdhsa_system_sgpr_workgroup_info 0
		.amdhsa_system_vgpr_workitem_id 1
		.amdhsa_next_free_vgpr 33
		.amdhsa_next_free_sgpr 36
		.amdhsa_reserve_vcc 1
		.amdhsa_float_round_mode_32 0
		.amdhsa_float_round_mode_16_64 0
		.amdhsa_float_denorm_mode_32 3
		.amdhsa_float_denorm_mode_16_64 3
		.amdhsa_fp16_overflow 0
		.amdhsa_workgroup_processor_mode 1
		.amdhsa_memory_ordered 1
		.amdhsa_forward_progress 1
		.amdhsa_inst_pref_size 14
		.amdhsa_round_robin_scheduling 0
		.amdhsa_exception_fp_ieee_invalid_op 0
		.amdhsa_exception_fp_denorm_src 0
		.amdhsa_exception_fp_ieee_div_zero 0
		.amdhsa_exception_fp_ieee_overflow 0
		.amdhsa_exception_fp_ieee_underflow 0
		.amdhsa_exception_fp_ieee_inexact 0
		.amdhsa_exception_int_div_zero 0
	.end_amdhsa_kernel
	.section	.text._ZL23rocblas_trmm_lTx_kernelILi32ELb1EddKPKdKPdEv13rocblas_fill_17rocblas_diagonal_iiT2_lPT3_llS9_llPT4_lli,"axG",@progbits,_ZL23rocblas_trmm_lTx_kernelILi32ELb1EddKPKdKPdEv13rocblas_fill_17rocblas_diagonal_iiT2_lPT3_llS9_llPT4_lli,comdat
.Lfunc_end161:
	.size	_ZL23rocblas_trmm_lTx_kernelILi32ELb1EddKPKdKPdEv13rocblas_fill_17rocblas_diagonal_iiT2_lPT3_llS9_llPT4_lli, .Lfunc_end161-_ZL23rocblas_trmm_lTx_kernelILi32ELb1EddKPKdKPdEv13rocblas_fill_17rocblas_diagonal_iiT2_lPT3_llS9_llPT4_lli
                                        ; -- End function
	.set _ZL23rocblas_trmm_lTx_kernelILi32ELb1EddKPKdKPdEv13rocblas_fill_17rocblas_diagonal_iiT2_lPT3_llS9_llPT4_lli.num_vgpr, 33
	.set _ZL23rocblas_trmm_lTx_kernelILi32ELb1EddKPKdKPdEv13rocblas_fill_17rocblas_diagonal_iiT2_lPT3_llS9_llPT4_lli.num_agpr, 0
	.set _ZL23rocblas_trmm_lTx_kernelILi32ELb1EddKPKdKPdEv13rocblas_fill_17rocblas_diagonal_iiT2_lPT3_llS9_llPT4_lli.numbered_sgpr, 36
	.set _ZL23rocblas_trmm_lTx_kernelILi32ELb1EddKPKdKPdEv13rocblas_fill_17rocblas_diagonal_iiT2_lPT3_llS9_llPT4_lli.num_named_barrier, 0
	.set _ZL23rocblas_trmm_lTx_kernelILi32ELb1EddKPKdKPdEv13rocblas_fill_17rocblas_diagonal_iiT2_lPT3_llS9_llPT4_lli.private_seg_size, 0
	.set _ZL23rocblas_trmm_lTx_kernelILi32ELb1EddKPKdKPdEv13rocblas_fill_17rocblas_diagonal_iiT2_lPT3_llS9_llPT4_lli.uses_vcc, 1
	.set _ZL23rocblas_trmm_lTx_kernelILi32ELb1EddKPKdKPdEv13rocblas_fill_17rocblas_diagonal_iiT2_lPT3_llS9_llPT4_lli.uses_flat_scratch, 0
	.set _ZL23rocblas_trmm_lTx_kernelILi32ELb1EddKPKdKPdEv13rocblas_fill_17rocblas_diagonal_iiT2_lPT3_llS9_llPT4_lli.has_dyn_sized_stack, 0
	.set _ZL23rocblas_trmm_lTx_kernelILi32ELb1EddKPKdKPdEv13rocblas_fill_17rocblas_diagonal_iiT2_lPT3_llS9_llPT4_lli.has_recursion, 0
	.set _ZL23rocblas_trmm_lTx_kernelILi32ELb1EddKPKdKPdEv13rocblas_fill_17rocblas_diagonal_iiT2_lPT3_llS9_llPT4_lli.has_indirect_call, 0
	.section	.AMDGPU.csdata,"",@progbits
; Kernel info:
; codeLenInByte = 1748
; TotalNumSgprs: 38
; NumVgprs: 33
; ScratchSize: 0
; MemoryBound: 0
; FloatMode: 240
; IeeeMode: 1
; LDSByteSize: 16384 bytes/workgroup (compile time only)
; SGPRBlocks: 0
; VGPRBlocks: 4
; NumSGPRsForWavesPerEU: 38
; NumVGPRsForWavesPerEU: 33
; Occupancy: 16
; WaveLimiterHint : 1
; COMPUTE_PGM_RSRC2:SCRATCH_EN: 0
; COMPUTE_PGM_RSRC2:USER_SGPR: 2
; COMPUTE_PGM_RSRC2:TRAP_HANDLER: 0
; COMPUTE_PGM_RSRC2:TGID_X_EN: 1
; COMPUTE_PGM_RSRC2:TGID_Y_EN: 0
; COMPUTE_PGM_RSRC2:TGID_Z_EN: 1
; COMPUTE_PGM_RSRC2:TIDIG_COMP_CNT: 1
	.section	.text._ZL23rocblas_trmm_rNx_kernelILi32EdPKdKS1_KPdEv13rocblas_fill_17rocblas_diagonal_iiT1_lPT2_llS9_llPT3_lli,"axG",@progbits,_ZL23rocblas_trmm_rNx_kernelILi32EdPKdKS1_KPdEv13rocblas_fill_17rocblas_diagonal_iiT1_lPT2_llS9_llPT3_lli,comdat
	.globl	_ZL23rocblas_trmm_rNx_kernelILi32EdPKdKS1_KPdEv13rocblas_fill_17rocblas_diagonal_iiT1_lPT2_llS9_llPT3_lli ; -- Begin function _ZL23rocblas_trmm_rNx_kernelILi32EdPKdKS1_KPdEv13rocblas_fill_17rocblas_diagonal_iiT1_lPT2_llS9_llPT3_lli
	.p2align	8
	.type	_ZL23rocblas_trmm_rNx_kernelILi32EdPKdKS1_KPdEv13rocblas_fill_17rocblas_diagonal_iiT1_lPT2_llS9_llPT3_lli,@function
_ZL23rocblas_trmm_rNx_kernelILi32EdPKdKS1_KPdEv13rocblas_fill_17rocblas_diagonal_iiT1_lPT2_llS9_llPT3_lli: ; @_ZL23rocblas_trmm_rNx_kernelILi32EdPKdKS1_KPdEv13rocblas_fill_17rocblas_diagonal_iiT1_lPT2_llS9_llPT3_lli
; %bb.0:
	s_load_b32 s28, s[0:1], 0x68
	s_lshr_b32 s2, ttmp7, 16
	s_wait_kmcnt 0x0
	s_cmp_ge_u32 s2, s28
	s_cbranch_scc1 .LBB162_19
; %bb.1:
	s_clause 0x3
	s_load_b128 s[24:27], s[0:1], 0x0
	s_load_b512 s[4:19], s[0:1], 0x10
	s_load_b128 s[20:23], s[0:1], 0x50
	s_load_b64 s[30:31], s[0:1], 0x60
	v_bfe_u32 v11, v0, 10, 10
	s_delay_alu instid0(VALU_DEP_1)
	v_lshlrev_b32_e32 v17, 8, v11
	s_wait_kmcnt 0x0
	s_add_co_i32 s1, s26, -1
	v_mad_co_u64_u32 v[4:5], null, s16, v11, 0
	v_mad_co_u64_u32 v[6:7], null, s22, v11, 0
	;; [unrolled: 1-line block ×3, first 2 shown]
	s_ashr_i32 s3, s1, 31
	v_dual_mov_b32 v3, v5 :: v_dual_and_b32 v12, 0x3ff, v0
	s_lshr_b32 s3, s3, 27
	v_dual_mov_b32 v5, v7 :: v_dual_lshlrev_b32 v0, 5, v11
	s_add_co_i32 s3, s1, s3
	s_delay_alu instid0(VALU_DEP_2)
	v_mad_co_u64_u32 v[7:8], null, s11, v11, v[2:3]
	s_ashr_i32 s10, s3, 5
	s_and_not1_b32 s3, s3, 31
	v_cmp_gt_i32_e64 s0, s27, v11
	v_cmp_gt_i32_e64 s1, s27, v12
	s_sub_co_i32 s3, s26, s3
	v_mad_co_u64_u32 v[8:9], null, s17, v11, v[3:4]
	s_wait_alu 0xfffe
	s_cmp_ge_i32 ttmp9, s10
	v_mad_co_u64_u32 v[9:10], null, s23, v11, v[5:6]
	s_cselect_b32 s3, s3, 32
	s_and_b32 s26, s0, s1
	v_cmp_gt_i32_e64 s1, s3, v12
	s_lshl_b32 s16, ttmp9, 5
	v_dual_mov_b32 v2, v7 :: v_dual_mov_b32 v5, v8
	v_dual_mov_b32 v7, v9 :: v_dual_lshlrev_b32 v18, 3, v12
	v_add_lshl_u32 v14, v0, v12, 3
	v_cmp_eq_u32_e32 vcc_lo, v11, v12
	s_wait_alu 0xfffe
	s_ashr_i32 s17, s16, 31
	s_and_b32 s27, s0, s1
	v_lshl_add_u32 v16, v12, 3, 0x2000
	s_cmp_eq_u32 s25, 0x84
	v_lshlrev_b64_e32 v[2:3], 3, v[1:2]
	s_cselect_b32 s0, -1, 0
	v_lshlrev_b64_e32 v[4:5], 3, v[4:5]
	v_lshlrev_b64_e32 v[6:7], 3, v[6:7]
	v_dual_mov_b32 v0, 0 :: v_dual_add_nc_u32 v15, 0x2000, v14
	s_and_b32 s25, vcc_lo, s0
	v_cmp_lt_u32_e64 s0, v12, v11
	v_cmp_gt_u32_e64 s1, v12, v11
	v_mov_b32_e32 v1, 0x3ff00000
	v_add_nc_u32_e32 v19, 0x800, v16
	v_add_nc_u32_e32 v20, 0x1000, v16
	;; [unrolled: 1-line block ×3, first 2 shown]
	s_cmp_lg_u32 s24, 0x79
	s_mov_b32 s3, 0
	s_cselect_b32 s24, -1, 0
	s_lshl_b64 s[10:11], s[12:13], 3
	s_lshl_b64 s[12:13], s[18:19], 3
	s_wait_alu 0xfffe
	s_lshl_b64 s[16:17], s[16:17], 3
	s_lshl_b64 s[18:19], s[30:31], 3
	s_branch .LBB162_4
.LBB162_2:                              ;   in Loop: Header=BB162_4 Depth=1
	s_wait_alu 0xfffe
	s_or_b32 exec_lo, exec_lo, s22
.LBB162_3:                              ;   in Loop: Header=BB162_4 Depth=1
	s_add_co_i32 s2, s2, 0x10000
	s_wait_alu 0xfffe
	s_cmp_lt_u32 s2, s28
	s_cbranch_scc0 .LBB162_19
.LBB162_4:                              ; =>This Inner Loop Header: Depth=1
	s_mul_u64 s[22:23], s[6:7], s[2:3]
	s_wait_alu 0xfffe
	s_lshl_b64 s[22:23], s[22:23], 3
	s_wait_alu 0xfffe
	s_add_nc_u64 s[22:23], s[4:5], s[22:23]
	global_load_b64 v[8:9], v0, s[22:23]
	s_wait_loadcnt 0x0
	v_cmp_eq_f64_e32 vcc_lo, 0, v[8:9]
	s_cbranch_vccnz .LBB162_3
; %bb.5:                                ;   in Loop: Header=BB162_4 Depth=1
	s_lshl_b64 s[22:23], s[2:3], 3
	s_wait_alu 0xfffe
	s_add_nc_u64 s[30:31], s[14:15], s[22:23]
	s_add_nc_u64 s[34:35], s[20:21], s[22:23]
	s_clause 0x1
	global_load_b64 v[12:13], v0, s[30:31]
	global_load_b64 v[10:11], v0, s[34:35]
	s_mov_b32 s30, s3
	s_mov_b32 s31, s3
	s_wait_alu 0xfffe
	v_dual_mov_b32 v22, s30 :: v_dual_mov_b32 v23, s31
	ds_store_b64 v14, v[22:23]
	ds_store_b64 v15, v[22:23]
	s_and_saveexec_b32 s29, s26
	s_cbranch_execnz .LBB162_10
; %bb.6:                                ;   in Loop: Header=BB162_4 Depth=1
	s_or_b32 exec_lo, exec_lo, s29
	s_and_saveexec_b32 s22, s27
	s_cbranch_execnz .LBB162_11
.LBB162_7:                              ;   in Loop: Header=BB162_4 Depth=1
	s_wait_alu 0xfffe
	s_or_b32 exec_lo, exec_lo, s22
	s_and_saveexec_b32 s22, s25
	s_cbranch_execnz .LBB162_12
.LBB162_8:                              ;   in Loop: Header=BB162_4 Depth=1
	s_wait_alu 0xfffe
	s_or_b32 exec_lo, exec_lo, s22
	s_delay_alu instid0(SALU_CYCLE_1)
	s_and_b32 vcc_lo, exec_lo, s24
	s_wait_alu 0xfffe
	s_cbranch_vccz .LBB162_13
.LBB162_9:                              ;   in Loop: Header=BB162_4 Depth=1
	s_and_b32 s22, s0, exec_lo
	s_cbranch_execz .LBB162_14
	s_branch .LBB162_15
.LBB162_10:                             ;   in Loop: Header=BB162_4 Depth=1
	s_add_nc_u64 s[22:23], s[8:9], s[22:23]
	global_load_b64 v[22:23], v0, s[22:23]
	s_wait_loadcnt 0x0
	v_add_co_u32 v22, vcc_lo, v22, s10
	s_wait_alu 0xfffd
	v_add_co_ci_u32_e64 v23, null, s11, v23, vcc_lo
	s_delay_alu instid0(VALU_DEP_2) | instskip(SKIP_1) | instid1(VALU_DEP_2)
	v_add_co_u32 v22, vcc_lo, v22, v2
	s_wait_alu 0xfffd
	v_add_co_ci_u32_e64 v23, null, v23, v3, vcc_lo
	s_delay_alu instid0(VALU_DEP_2) | instskip(SKIP_1) | instid1(VALU_DEP_2)
	v_add_co_u32 v22, vcc_lo, v22, v18
	s_wait_alu 0xfffd
	v_add_co_ci_u32_e64 v23, null, 0, v23, vcc_lo
	flat_load_b64 v[22:23], v[22:23]
	s_wait_loadcnt_dscnt 0x0
	ds_store_b64 v14, v[22:23]
	s_or_b32 exec_lo, exec_lo, s29
	s_and_saveexec_b32 s22, s27
	s_cbranch_execz .LBB162_7
.LBB162_11:                             ;   in Loop: Header=BB162_4 Depth=1
	s_wait_loadcnt 0x1
	v_add_co_u32 v12, vcc_lo, v12, s12
	s_wait_alu 0xfffd
	v_add_co_ci_u32_e64 v13, null, s13, v13, vcc_lo
	s_delay_alu instid0(VALU_DEP_2) | instskip(SKIP_1) | instid1(VALU_DEP_2)
	v_add_co_u32 v12, vcc_lo, v12, s16
	s_wait_alu 0xfffd
	v_add_co_ci_u32_e64 v13, null, s17, v13, vcc_lo
	s_delay_alu instid0(VALU_DEP_2) | instskip(SKIP_1) | instid1(VALU_DEP_2)
	;; [unrolled: 4-line block ×3, first 2 shown]
	v_add_co_u32 v12, vcc_lo, v12, v18
	s_wait_alu 0xfffd
	v_add_co_ci_u32_e64 v13, null, 0, v13, vcc_lo
	flat_load_b64 v[12:13], v[12:13]
	s_wait_loadcnt_dscnt 0x0
	ds_store_b64 v15, v[12:13]
	s_wait_alu 0xfffe
	s_or_b32 exec_lo, exec_lo, s22
	s_and_saveexec_b32 s22, s25
	s_cbranch_execz .LBB162_8
.LBB162_12:                             ;   in Loop: Header=BB162_4 Depth=1
	ds_store_b64 v14, v[0:1]
	s_wait_alu 0xfffe
	s_or_b32 exec_lo, exec_lo, s22
	s_delay_alu instid0(SALU_CYCLE_1)
	s_and_b32 vcc_lo, exec_lo, s24
	s_wait_alu 0xfffe
	s_cbranch_vccnz .LBB162_9
.LBB162_13:                             ;   in Loop: Header=BB162_4 Depth=1
	s_mov_b32 s22, 0
.LBB162_14:                             ;   in Loop: Header=BB162_4 Depth=1
	s_wait_alu 0xfffe
	s_and_not1_b32 s22, s22, exec_lo
	s_and_b32 s23, s1, exec_lo
	s_wait_alu 0xfffe
	s_or_b32 s22, s22, s23
.LBB162_15:                             ;   in Loop: Header=BB162_4 Depth=1
	s_wait_alu 0xfffe
	s_and_saveexec_b32 s23, s22
	s_cbranch_execz .LBB162_17
; %bb.16:                               ;   in Loop: Header=BB162_4 Depth=1
	s_wait_loadcnt 0x1
	v_dual_mov_b32 v12, v0 :: v_dual_mov_b32 v13, v0
	ds_store_b64 v14, v[12:13]
.LBB162_17:                             ;   in Loop: Header=BB162_4 Depth=1
	s_wait_alu 0xfffe
	s_or_b32 exec_lo, exec_lo, s23
	s_wait_loadcnt_dscnt 0x0
	s_barrier_signal -1
	s_barrier_wait -1
	global_inv scope:SCOPE_SE
	s_and_saveexec_b32 s22, s27
	s_cbranch_execz .LBB162_2
; %bb.18:                               ;   in Loop: Header=BB162_4 Depth=1
	ds_load_2addr_b64 v[22:25], v16 offset1:32
	ds_load_b128 v[26:29], v17
	ds_load_b128 v[30:33], v17 offset:16
	v_add_co_u32 v10, vcc_lo, v10, s18
	s_wait_alu 0xfffd
	v_add_co_ci_u32_e64 v11, null, s19, v11, vcc_lo
	s_delay_alu instid0(VALU_DEP_2) | instskip(SKIP_1) | instid1(VALU_DEP_2)
	v_add_co_u32 v10, vcc_lo, v10, s16
	s_wait_alu 0xfffd
	v_add_co_ci_u32_e64 v11, null, s17, v11, vcc_lo
	s_delay_alu instid0(VALU_DEP_2) | instskip(SKIP_1) | instid1(VALU_DEP_2)
	;; [unrolled: 4-line block ×3, first 2 shown]
	v_add_co_u32 v10, vcc_lo, v10, v18
	s_wait_alu 0xfffd
	v_add_co_ci_u32_e64 v11, null, 0, v11, vcc_lo
	s_wait_dscnt 0x1
	v_fma_f64 v[12:13], v[22:23], v[26:27], 0
	s_delay_alu instid0(VALU_DEP_1) | instskip(SKIP_3) | instid1(VALU_DEP_1)
	v_fma_f64 v[12:13], v[24:25], v[28:29], v[12:13]
	ds_load_2addr_b64 v[22:25], v16 offset0:64 offset1:96
	s_wait_dscnt 0x0
	v_fma_f64 v[12:13], v[22:23], v[30:31], v[12:13]
	v_fma_f64 v[12:13], v[24:25], v[32:33], v[12:13]
	ds_load_2addr_b64 v[22:25], v16 offset0:128 offset1:160
	ds_load_b128 v[26:29], v17 offset:32
	ds_load_b128 v[30:33], v17 offset:48
	s_wait_dscnt 0x1
	v_fma_f64 v[12:13], v[22:23], v[26:27], v[12:13]
	s_delay_alu instid0(VALU_DEP_1) | instskip(SKIP_3) | instid1(VALU_DEP_1)
	v_fma_f64 v[12:13], v[24:25], v[28:29], v[12:13]
	ds_load_2addr_b64 v[22:25], v16 offset0:192 offset1:224
	s_wait_dscnt 0x0
	v_fma_f64 v[12:13], v[22:23], v[30:31], v[12:13]
	v_fma_f64 v[12:13], v[24:25], v[32:33], v[12:13]
	ds_load_2addr_b64 v[22:25], v19 offset1:32
	ds_load_b128 v[26:29], v17 offset:64
	ds_load_b128 v[30:33], v17 offset:80
	s_wait_dscnt 0x1
	v_fma_f64 v[12:13], v[22:23], v[26:27], v[12:13]
	s_delay_alu instid0(VALU_DEP_1) | instskip(SKIP_3) | instid1(VALU_DEP_1)
	v_fma_f64 v[12:13], v[24:25], v[28:29], v[12:13]
	ds_load_2addr_b64 v[22:25], v19 offset0:64 offset1:96
	s_wait_dscnt 0x0
	v_fma_f64 v[12:13], v[22:23], v[30:31], v[12:13]
	v_fma_f64 v[12:13], v[24:25], v[32:33], v[12:13]
	ds_load_2addr_b64 v[22:25], v19 offset0:128 offset1:160
	ds_load_b128 v[26:29], v17 offset:96
	ds_load_b128 v[30:33], v17 offset:112
	s_wait_dscnt 0x1
	v_fma_f64 v[12:13], v[22:23], v[26:27], v[12:13]
	s_delay_alu instid0(VALU_DEP_1) | instskip(SKIP_3) | instid1(VALU_DEP_1)
	v_fma_f64 v[12:13], v[24:25], v[28:29], v[12:13]
	ds_load_2addr_b64 v[22:25], v19 offset0:192 offset1:224
	s_wait_dscnt 0x0
	v_fma_f64 v[12:13], v[22:23], v[30:31], v[12:13]
	v_fma_f64 v[12:13], v[24:25], v[32:33], v[12:13]
	ds_load_2addr_b64 v[22:25], v20 offset1:32
	ds_load_b128 v[26:29], v17 offset:128
	ds_load_b128 v[30:33], v17 offset:144
	;; [unrolled: 22-line block ×3, first 2 shown]
	s_wait_dscnt 0x1
	v_fma_f64 v[12:13], v[22:23], v[26:27], v[12:13]
	s_delay_alu instid0(VALU_DEP_1) | instskip(SKIP_3) | instid1(VALU_DEP_1)
	v_fma_f64 v[12:13], v[24:25], v[28:29], v[12:13]
	ds_load_2addr_b64 v[22:25], v21 offset0:64 offset1:96
	s_wait_dscnt 0x0
	v_fma_f64 v[12:13], v[22:23], v[30:31], v[12:13]
	v_fma_f64 v[12:13], v[24:25], v[32:33], v[12:13]
	ds_load_2addr_b64 v[22:25], v21 offset0:128 offset1:160
	ds_load_b128 v[26:29], v17 offset:224
	ds_load_b128 v[30:33], v17 offset:240
	s_wait_dscnt 0x1
	v_fma_f64 v[12:13], v[22:23], v[26:27], v[12:13]
	s_delay_alu instid0(VALU_DEP_1) | instskip(SKIP_3) | instid1(VALU_DEP_1)
	v_fma_f64 v[12:13], v[24:25], v[28:29], v[12:13]
	ds_load_2addr_b64 v[22:25], v21 offset0:192 offset1:224
	s_wait_dscnt 0x0
	v_fma_f64 v[12:13], v[22:23], v[30:31], v[12:13]
	v_fma_f64 v[12:13], v[24:25], v[32:33], v[12:13]
	s_delay_alu instid0(VALU_DEP_1)
	v_mul_f64_e32 v[8:9], v[8:9], v[12:13]
	flat_store_b64 v[10:11], v[8:9]
	s_branch .LBB162_2
.LBB162_19:
	s_endpgm
	.section	.rodata,"a",@progbits
	.p2align	6, 0x0
	.amdhsa_kernel _ZL23rocblas_trmm_rNx_kernelILi32EdPKdKS1_KPdEv13rocblas_fill_17rocblas_diagonal_iiT1_lPT2_llS9_llPT3_lli
		.amdhsa_group_segment_fixed_size 16384
		.amdhsa_private_segment_fixed_size 0
		.amdhsa_kernarg_size 108
		.amdhsa_user_sgpr_count 2
		.amdhsa_user_sgpr_dispatch_ptr 0
		.amdhsa_user_sgpr_queue_ptr 0
		.amdhsa_user_sgpr_kernarg_segment_ptr 1
		.amdhsa_user_sgpr_dispatch_id 0
		.amdhsa_user_sgpr_private_segment_size 0
		.amdhsa_wavefront_size32 1
		.amdhsa_uses_dynamic_stack 0
		.amdhsa_enable_private_segment 0
		.amdhsa_system_sgpr_workgroup_id_x 1
		.amdhsa_system_sgpr_workgroup_id_y 0
		.amdhsa_system_sgpr_workgroup_id_z 1
		.amdhsa_system_sgpr_workgroup_info 0
		.amdhsa_system_vgpr_workitem_id 1
		.amdhsa_next_free_vgpr 34
		.amdhsa_next_free_sgpr 36
		.amdhsa_reserve_vcc 1
		.amdhsa_float_round_mode_32 0
		.amdhsa_float_round_mode_16_64 0
		.amdhsa_float_denorm_mode_32 3
		.amdhsa_float_denorm_mode_16_64 3
		.amdhsa_fp16_overflow 0
		.amdhsa_workgroup_processor_mode 1
		.amdhsa_memory_ordered 1
		.amdhsa_forward_progress 1
		.amdhsa_inst_pref_size 14
		.amdhsa_round_robin_scheduling 0
		.amdhsa_exception_fp_ieee_invalid_op 0
		.amdhsa_exception_fp_denorm_src 0
		.amdhsa_exception_fp_ieee_div_zero 0
		.amdhsa_exception_fp_ieee_overflow 0
		.amdhsa_exception_fp_ieee_underflow 0
		.amdhsa_exception_fp_ieee_inexact 0
		.amdhsa_exception_int_div_zero 0
	.end_amdhsa_kernel
	.section	.text._ZL23rocblas_trmm_rNx_kernelILi32EdPKdKS1_KPdEv13rocblas_fill_17rocblas_diagonal_iiT1_lPT2_llS9_llPT3_lli,"axG",@progbits,_ZL23rocblas_trmm_rNx_kernelILi32EdPKdKS1_KPdEv13rocblas_fill_17rocblas_diagonal_iiT1_lPT2_llS9_llPT3_lli,comdat
.Lfunc_end162:
	.size	_ZL23rocblas_trmm_rNx_kernelILi32EdPKdKS1_KPdEv13rocblas_fill_17rocblas_diagonal_iiT1_lPT2_llS9_llPT3_lli, .Lfunc_end162-_ZL23rocblas_trmm_rNx_kernelILi32EdPKdKS1_KPdEv13rocblas_fill_17rocblas_diagonal_iiT1_lPT2_llS9_llPT3_lli
                                        ; -- End function
	.set _ZL23rocblas_trmm_rNx_kernelILi32EdPKdKS1_KPdEv13rocblas_fill_17rocblas_diagonal_iiT1_lPT2_llS9_llPT3_lli.num_vgpr, 34
	.set _ZL23rocblas_trmm_rNx_kernelILi32EdPKdKS1_KPdEv13rocblas_fill_17rocblas_diagonal_iiT1_lPT2_llS9_llPT3_lli.num_agpr, 0
	.set _ZL23rocblas_trmm_rNx_kernelILi32EdPKdKS1_KPdEv13rocblas_fill_17rocblas_diagonal_iiT1_lPT2_llS9_llPT3_lli.numbered_sgpr, 36
	.set _ZL23rocblas_trmm_rNx_kernelILi32EdPKdKS1_KPdEv13rocblas_fill_17rocblas_diagonal_iiT1_lPT2_llS9_llPT3_lli.num_named_barrier, 0
	.set _ZL23rocblas_trmm_rNx_kernelILi32EdPKdKS1_KPdEv13rocblas_fill_17rocblas_diagonal_iiT1_lPT2_llS9_llPT3_lli.private_seg_size, 0
	.set _ZL23rocblas_trmm_rNx_kernelILi32EdPKdKS1_KPdEv13rocblas_fill_17rocblas_diagonal_iiT1_lPT2_llS9_llPT3_lli.uses_vcc, 1
	.set _ZL23rocblas_trmm_rNx_kernelILi32EdPKdKS1_KPdEv13rocblas_fill_17rocblas_diagonal_iiT1_lPT2_llS9_llPT3_lli.uses_flat_scratch, 0
	.set _ZL23rocblas_trmm_rNx_kernelILi32EdPKdKS1_KPdEv13rocblas_fill_17rocblas_diagonal_iiT1_lPT2_llS9_llPT3_lli.has_dyn_sized_stack, 0
	.set _ZL23rocblas_trmm_rNx_kernelILi32EdPKdKS1_KPdEv13rocblas_fill_17rocblas_diagonal_iiT1_lPT2_llS9_llPT3_lli.has_recursion, 0
	.set _ZL23rocblas_trmm_rNx_kernelILi32EdPKdKS1_KPdEv13rocblas_fill_17rocblas_diagonal_iiT1_lPT2_llS9_llPT3_lli.has_indirect_call, 0
	.section	.AMDGPU.csdata,"",@progbits
; Kernel info:
; codeLenInByte = 1744
; TotalNumSgprs: 38
; NumVgprs: 34
; ScratchSize: 0
; MemoryBound: 0
; FloatMode: 240
; IeeeMode: 1
; LDSByteSize: 16384 bytes/workgroup (compile time only)
; SGPRBlocks: 0
; VGPRBlocks: 4
; NumSGPRsForWavesPerEU: 38
; NumVGPRsForWavesPerEU: 34
; Occupancy: 16
; WaveLimiterHint : 1
; COMPUTE_PGM_RSRC2:SCRATCH_EN: 0
; COMPUTE_PGM_RSRC2:USER_SGPR: 2
; COMPUTE_PGM_RSRC2:TRAP_HANDLER: 0
; COMPUTE_PGM_RSRC2:TGID_X_EN: 1
; COMPUTE_PGM_RSRC2:TGID_Y_EN: 0
; COMPUTE_PGM_RSRC2:TGID_Z_EN: 1
; COMPUTE_PGM_RSRC2:TIDIG_COMP_CNT: 1
	.section	.text._ZL23rocblas_trmm_rNx_kernelILi32EddKPKdKPdEv13rocblas_fill_17rocblas_diagonal_iiT1_lPT2_llS9_llPT3_lli,"axG",@progbits,_ZL23rocblas_trmm_rNx_kernelILi32EddKPKdKPdEv13rocblas_fill_17rocblas_diagonal_iiT1_lPT2_llS9_llPT3_lli,comdat
	.globl	_ZL23rocblas_trmm_rNx_kernelILi32EddKPKdKPdEv13rocblas_fill_17rocblas_diagonal_iiT1_lPT2_llS9_llPT3_lli ; -- Begin function _ZL23rocblas_trmm_rNx_kernelILi32EddKPKdKPdEv13rocblas_fill_17rocblas_diagonal_iiT1_lPT2_llS9_llPT3_lli
	.p2align	8
	.type	_ZL23rocblas_trmm_rNx_kernelILi32EddKPKdKPdEv13rocblas_fill_17rocblas_diagonal_iiT1_lPT2_llS9_llPT3_lli,@function
_ZL23rocblas_trmm_rNx_kernelILi32EddKPKdKPdEv13rocblas_fill_17rocblas_diagonal_iiT1_lPT2_llS9_llPT3_lli: ; @_ZL23rocblas_trmm_rNx_kernelILi32EddKPKdKPdEv13rocblas_fill_17rocblas_diagonal_iiT1_lPT2_llS9_llPT3_lli
; %bb.0:
	s_load_b32 s26, s[0:1], 0x68
	s_lshr_b32 s2, ttmp7, 16
	s_wait_kmcnt 0x0
	s_cmp_ge_u32 s2, s26
	s_cbranch_scc1 .LBB163_19
; %bb.1:
	s_clause 0x3
	s_load_b128 s[20:23], s[0:1], 0x0
	s_load_b512 s[4:19], s[0:1], 0x20
	s_load_b64 s[24:25], s[0:1], 0x10
	s_load_b64 s[28:29], s[0:1], 0x60
	v_bfe_u32 v11, v0, 10, 10
	s_delay_alu instid0(VALU_DEP_1)
	v_lshlrev_b32_e32 v15, 8, v11
	s_wait_kmcnt 0x0
	s_add_co_i32 s1, s22, -1
	v_cmp_neq_f64_e64 s27, s[24:25], 0
	v_mad_co_u64_u32 v[4:5], null, s12, v11, 0
	v_mad_co_u64_u32 v[6:7], null, s18, v11, 0
	;; [unrolled: 1-line block ×3, first 2 shown]
	s_ashr_i32 s3, s1, 31
	v_dual_mov_b32 v3, v5 :: v_dual_and_b32 v16, 0x3ff, v0
	s_lshr_b32 s3, s3, 27
	v_dual_mov_b32 v5, v7 :: v_dual_lshlrev_b32 v0, 5, v11
	s_add_co_i32 s3, s1, s3
	v_cmp_gt_i32_e64 s0, s23, v11
	s_ashr_i32 s6, s3, 5
	s_and_not1_b32 s3, s3, 31
	v_cmp_gt_i32_e64 s1, s23, v16
	s_sub_co_i32 s3, s22, s3
	v_mad_co_u64_u32 v[7:8], null, s7, v11, v[2:3]
	s_wait_alu 0xfffe
	s_cmp_ge_i32 ttmp9, s6
	v_mad_co_u64_u32 v[8:9], null, s13, v11, v[3:4]
	v_mad_co_u64_u32 v[9:10], null, s19, v11, v[5:6]
	s_cselect_b32 s3, s3, 32
	s_and_b32 s22, s0, s1
	v_cmp_gt_i32_e64 s1, s3, v16
	s_lshl_b32 s12, ttmp9, 5
	v_cmp_eq_u32_e32 vcc_lo, v11, v16
	s_wait_alu 0xfffe
	s_ashr_i32 s13, s12, 31
	v_dual_mov_b32 v2, v7 :: v_dual_mov_b32 v5, v8
	s_and_b32 s23, s0, s1
	v_mov_b32_e32 v7, v9
	v_add_lshl_u32 v12, v0, v16, 3
	s_cmp_eq_u32 s21, 0x84
	v_lshl_add_u32 v14, v16, 3, 0x2000
	s_cselect_b32 s0, -1, 0
	v_cmp_gt_u32_e64 s1, v16, v11
	s_and_b32 s21, vcc_lo, s0
	v_cmp_lt_u32_e64 s0, v16, v11
	v_lshlrev_b64_e32 v[2:3], 3, v[1:2]
	v_lshlrev_b64_e32 v[4:5], 3, v[4:5]
	v_lshlrev_b32_e32 v16, 3, v16
	v_lshlrev_b64_e32 v[6:7], 3, v[6:7]
	v_dual_mov_b32 v0, 0 :: v_dual_add_nc_u32 v13, 0x2000, v12
	v_mov_b32_e32 v1, 0x3ff00000
	v_add_nc_u32_e32 v17, 0x800, v14
	v_add_nc_u32_e32 v18, 0x1000, v14
	;; [unrolled: 1-line block ×3, first 2 shown]
	s_cmp_lg_u32 s20, 0x79
	s_mov_b32 s3, 0
	s_cselect_b32 s20, -1, 0
	s_lshl_b64 s[6:7], s[8:9], 3
	s_lshl_b64 s[8:9], s[14:15], 3
	s_wait_alu 0xfffe
	s_lshl_b64 s[12:13], s[12:13], 3
	s_lshl_b64 s[14:15], s[28:29], 3
	s_branch .LBB163_4
.LBB163_2:                              ;   in Loop: Header=BB163_4 Depth=1
	s_wait_alu 0xfffe
	s_or_b32 exec_lo, exec_lo, s18
.LBB163_3:                              ;   in Loop: Header=BB163_4 Depth=1
	s_add_co_i32 s2, s2, 0x10000
	s_wait_alu 0xfffe
	s_cmp_lt_u32 s2, s26
	s_cbranch_scc0 .LBB163_19
.LBB163_4:                              ; =>This Inner Loop Header: Depth=1
	s_and_not1_b32 vcc_lo, exec_lo, s27
	s_wait_alu 0xfffe
	s_cbranch_vccnz .LBB163_3
; %bb.5:                                ;   in Loop: Header=BB163_4 Depth=1
	s_lshl_b64 s[18:19], s[2:3], 3
	s_wait_alu 0xfffe
	s_add_nc_u64 s[28:29], s[10:11], s[18:19]
	s_add_nc_u64 s[30:31], s[16:17], s[18:19]
	s_clause 0x1
	global_load_b64 v[10:11], v0, s[28:29]
	global_load_b64 v[8:9], v0, s[30:31]
	s_mov_b32 s28, s3
	s_mov_b32 s29, s3
	s_wait_alu 0xfffe
	v_dual_mov_b32 v20, s28 :: v_dual_mov_b32 v21, s29
	ds_store_b64 v12, v[20:21]
	ds_store_b64 v13, v[20:21]
	s_and_saveexec_b32 s28, s22
	s_cbranch_execnz .LBB163_10
; %bb.6:                                ;   in Loop: Header=BB163_4 Depth=1
	s_wait_alu 0xfffe
	s_or_b32 exec_lo, exec_lo, s28
	s_and_saveexec_b32 s18, s23
	s_cbranch_execnz .LBB163_11
.LBB163_7:                              ;   in Loop: Header=BB163_4 Depth=1
	s_wait_alu 0xfffe
	s_or_b32 exec_lo, exec_lo, s18
	s_and_saveexec_b32 s18, s21
	s_cbranch_execnz .LBB163_12
.LBB163_8:                              ;   in Loop: Header=BB163_4 Depth=1
	s_wait_alu 0xfffe
	s_or_b32 exec_lo, exec_lo, s18
	s_delay_alu instid0(SALU_CYCLE_1)
	s_and_b32 vcc_lo, exec_lo, s20
	s_wait_alu 0xfffe
	s_cbranch_vccz .LBB163_13
.LBB163_9:                              ;   in Loop: Header=BB163_4 Depth=1
	s_and_b32 s18, s0, exec_lo
	s_cbranch_execz .LBB163_14
	s_branch .LBB163_15
.LBB163_10:                             ;   in Loop: Header=BB163_4 Depth=1
	s_add_nc_u64 s[18:19], s[4:5], s[18:19]
	global_load_b64 v[20:21], v0, s[18:19]
	s_wait_loadcnt 0x0
	v_add_co_u32 v20, vcc_lo, v20, s6
	s_wait_alu 0xfffd
	v_add_co_ci_u32_e64 v21, null, s7, v21, vcc_lo
	s_delay_alu instid0(VALU_DEP_2) | instskip(SKIP_1) | instid1(VALU_DEP_2)
	v_add_co_u32 v20, vcc_lo, v20, v2
	s_wait_alu 0xfffd
	v_add_co_ci_u32_e64 v21, null, v21, v3, vcc_lo
	s_delay_alu instid0(VALU_DEP_2) | instskip(SKIP_1) | instid1(VALU_DEP_2)
	v_add_co_u32 v20, vcc_lo, v20, v16
	s_wait_alu 0xfffd
	v_add_co_ci_u32_e64 v21, null, 0, v21, vcc_lo
	flat_load_b64 v[20:21], v[20:21]
	s_wait_loadcnt_dscnt 0x0
	ds_store_b64 v12, v[20:21]
	s_wait_alu 0xfffe
	s_or_b32 exec_lo, exec_lo, s28
	s_and_saveexec_b32 s18, s23
	s_cbranch_execz .LBB163_7
.LBB163_11:                             ;   in Loop: Header=BB163_4 Depth=1
	s_wait_loadcnt 0x1
	v_add_co_u32 v10, vcc_lo, v10, s8
	s_wait_alu 0xfffd
	v_add_co_ci_u32_e64 v11, null, s9, v11, vcc_lo
	s_delay_alu instid0(VALU_DEP_2) | instskip(SKIP_1) | instid1(VALU_DEP_2)
	v_add_co_u32 v10, vcc_lo, v10, s12
	s_wait_alu 0xfffd
	v_add_co_ci_u32_e64 v11, null, s13, v11, vcc_lo
	s_delay_alu instid0(VALU_DEP_2) | instskip(SKIP_1) | instid1(VALU_DEP_2)
	;; [unrolled: 4-line block ×3, first 2 shown]
	v_add_co_u32 v10, vcc_lo, v10, v16
	s_wait_alu 0xfffd
	v_add_co_ci_u32_e64 v11, null, 0, v11, vcc_lo
	flat_load_b64 v[10:11], v[10:11]
	s_wait_loadcnt_dscnt 0x0
	ds_store_b64 v13, v[10:11]
	s_wait_alu 0xfffe
	s_or_b32 exec_lo, exec_lo, s18
	s_and_saveexec_b32 s18, s21
	s_cbranch_execz .LBB163_8
.LBB163_12:                             ;   in Loop: Header=BB163_4 Depth=1
	ds_store_b64 v12, v[0:1]
	s_wait_alu 0xfffe
	s_or_b32 exec_lo, exec_lo, s18
	s_delay_alu instid0(SALU_CYCLE_1)
	s_and_b32 vcc_lo, exec_lo, s20
	s_wait_alu 0xfffe
	s_cbranch_vccnz .LBB163_9
.LBB163_13:                             ;   in Loop: Header=BB163_4 Depth=1
	s_mov_b32 s18, 0
.LBB163_14:                             ;   in Loop: Header=BB163_4 Depth=1
	s_wait_alu 0xfffe
	s_and_not1_b32 s18, s18, exec_lo
	s_and_b32 s19, s1, exec_lo
	s_wait_alu 0xfffe
	s_or_b32 s18, s18, s19
.LBB163_15:                             ;   in Loop: Header=BB163_4 Depth=1
	s_wait_alu 0xfffe
	s_and_saveexec_b32 s19, s18
	s_cbranch_execz .LBB163_17
; %bb.16:                               ;   in Loop: Header=BB163_4 Depth=1
	s_wait_loadcnt 0x1
	v_dual_mov_b32 v10, v0 :: v_dual_mov_b32 v11, v0
	ds_store_b64 v12, v[10:11]
.LBB163_17:                             ;   in Loop: Header=BB163_4 Depth=1
	s_wait_alu 0xfffe
	s_or_b32 exec_lo, exec_lo, s19
	s_wait_loadcnt_dscnt 0x0
	s_barrier_signal -1
	s_barrier_wait -1
	global_inv scope:SCOPE_SE
	s_and_saveexec_b32 s18, s23
	s_cbranch_execz .LBB163_2
; %bb.18:                               ;   in Loop: Header=BB163_4 Depth=1
	ds_load_2addr_b64 v[20:23], v14 offset1:32
	ds_load_b128 v[24:27], v15
	ds_load_b128 v[28:31], v15 offset:16
	v_add_co_u32 v8, vcc_lo, v8, s14
	s_wait_alu 0xfffd
	v_add_co_ci_u32_e64 v9, null, s15, v9, vcc_lo
	s_delay_alu instid0(VALU_DEP_2) | instskip(SKIP_1) | instid1(VALU_DEP_2)
	v_add_co_u32 v8, vcc_lo, v8, s12
	s_wait_alu 0xfffd
	v_add_co_ci_u32_e64 v9, null, s13, v9, vcc_lo
	s_delay_alu instid0(VALU_DEP_2) | instskip(SKIP_1) | instid1(VALU_DEP_2)
	;; [unrolled: 4-line block ×3, first 2 shown]
	v_add_co_u32 v8, vcc_lo, v8, v16
	s_wait_alu 0xfffd
	v_add_co_ci_u32_e64 v9, null, 0, v9, vcc_lo
	s_wait_dscnt 0x1
	v_fma_f64 v[10:11], v[20:21], v[24:25], 0
	s_delay_alu instid0(VALU_DEP_1) | instskip(SKIP_3) | instid1(VALU_DEP_1)
	v_fma_f64 v[10:11], v[22:23], v[26:27], v[10:11]
	ds_load_2addr_b64 v[20:23], v14 offset0:64 offset1:96
	s_wait_dscnt 0x0
	v_fma_f64 v[10:11], v[20:21], v[28:29], v[10:11]
	v_fma_f64 v[10:11], v[22:23], v[30:31], v[10:11]
	ds_load_2addr_b64 v[20:23], v14 offset0:128 offset1:160
	ds_load_b128 v[24:27], v15 offset:32
	ds_load_b128 v[28:31], v15 offset:48
	s_wait_dscnt 0x1
	v_fma_f64 v[10:11], v[20:21], v[24:25], v[10:11]
	s_delay_alu instid0(VALU_DEP_1) | instskip(SKIP_3) | instid1(VALU_DEP_1)
	v_fma_f64 v[10:11], v[22:23], v[26:27], v[10:11]
	ds_load_2addr_b64 v[20:23], v14 offset0:192 offset1:224
	s_wait_dscnt 0x0
	v_fma_f64 v[10:11], v[20:21], v[28:29], v[10:11]
	v_fma_f64 v[10:11], v[22:23], v[30:31], v[10:11]
	ds_load_2addr_b64 v[20:23], v17 offset1:32
	ds_load_b128 v[24:27], v15 offset:64
	ds_load_b128 v[28:31], v15 offset:80
	s_wait_dscnt 0x1
	v_fma_f64 v[10:11], v[20:21], v[24:25], v[10:11]
	s_delay_alu instid0(VALU_DEP_1) | instskip(SKIP_3) | instid1(VALU_DEP_1)
	v_fma_f64 v[10:11], v[22:23], v[26:27], v[10:11]
	ds_load_2addr_b64 v[20:23], v17 offset0:64 offset1:96
	s_wait_dscnt 0x0
	v_fma_f64 v[10:11], v[20:21], v[28:29], v[10:11]
	v_fma_f64 v[10:11], v[22:23], v[30:31], v[10:11]
	ds_load_2addr_b64 v[20:23], v17 offset0:128 offset1:160
	ds_load_b128 v[24:27], v15 offset:96
	ds_load_b128 v[28:31], v15 offset:112
	s_wait_dscnt 0x1
	v_fma_f64 v[10:11], v[20:21], v[24:25], v[10:11]
	s_delay_alu instid0(VALU_DEP_1) | instskip(SKIP_3) | instid1(VALU_DEP_1)
	v_fma_f64 v[10:11], v[22:23], v[26:27], v[10:11]
	ds_load_2addr_b64 v[20:23], v17 offset0:192 offset1:224
	s_wait_dscnt 0x0
	v_fma_f64 v[10:11], v[20:21], v[28:29], v[10:11]
	v_fma_f64 v[10:11], v[22:23], v[30:31], v[10:11]
	ds_load_2addr_b64 v[20:23], v18 offset1:32
	ds_load_b128 v[24:27], v15 offset:128
	ds_load_b128 v[28:31], v15 offset:144
	;; [unrolled: 22-line block ×3, first 2 shown]
	s_wait_dscnt 0x1
	v_fma_f64 v[10:11], v[20:21], v[24:25], v[10:11]
	s_delay_alu instid0(VALU_DEP_1) | instskip(SKIP_3) | instid1(VALU_DEP_1)
	v_fma_f64 v[10:11], v[22:23], v[26:27], v[10:11]
	ds_load_2addr_b64 v[20:23], v19 offset0:64 offset1:96
	s_wait_dscnt 0x0
	v_fma_f64 v[10:11], v[20:21], v[28:29], v[10:11]
	v_fma_f64 v[10:11], v[22:23], v[30:31], v[10:11]
	ds_load_2addr_b64 v[20:23], v19 offset0:128 offset1:160
	ds_load_b128 v[24:27], v15 offset:224
	ds_load_b128 v[28:31], v15 offset:240
	s_wait_dscnt 0x1
	v_fma_f64 v[10:11], v[20:21], v[24:25], v[10:11]
	s_delay_alu instid0(VALU_DEP_1) | instskip(SKIP_3) | instid1(VALU_DEP_1)
	v_fma_f64 v[10:11], v[22:23], v[26:27], v[10:11]
	ds_load_2addr_b64 v[20:23], v19 offset0:192 offset1:224
	s_wait_dscnt 0x0
	v_fma_f64 v[10:11], v[20:21], v[28:29], v[10:11]
	v_fma_f64 v[10:11], v[22:23], v[30:31], v[10:11]
	s_delay_alu instid0(VALU_DEP_1)
	v_mul_f64_e32 v[10:11], s[24:25], v[10:11]
	flat_store_b64 v[8:9], v[10:11]
	s_branch .LBB163_2
.LBB163_19:
	s_endpgm
	.section	.rodata,"a",@progbits
	.p2align	6, 0x0
	.amdhsa_kernel _ZL23rocblas_trmm_rNx_kernelILi32EddKPKdKPdEv13rocblas_fill_17rocblas_diagonal_iiT1_lPT2_llS9_llPT3_lli
		.amdhsa_group_segment_fixed_size 16384
		.amdhsa_private_segment_fixed_size 0
		.amdhsa_kernarg_size 108
		.amdhsa_user_sgpr_count 2
		.amdhsa_user_sgpr_dispatch_ptr 0
		.amdhsa_user_sgpr_queue_ptr 0
		.amdhsa_user_sgpr_kernarg_segment_ptr 1
		.amdhsa_user_sgpr_dispatch_id 0
		.amdhsa_user_sgpr_private_segment_size 0
		.amdhsa_wavefront_size32 1
		.amdhsa_uses_dynamic_stack 0
		.amdhsa_enable_private_segment 0
		.amdhsa_system_sgpr_workgroup_id_x 1
		.amdhsa_system_sgpr_workgroup_id_y 0
		.amdhsa_system_sgpr_workgroup_id_z 1
		.amdhsa_system_sgpr_workgroup_info 0
		.amdhsa_system_vgpr_workitem_id 1
		.amdhsa_next_free_vgpr 32
		.amdhsa_next_free_sgpr 32
		.amdhsa_reserve_vcc 1
		.amdhsa_float_round_mode_32 0
		.amdhsa_float_round_mode_16_64 0
		.amdhsa_float_denorm_mode_32 3
		.amdhsa_float_denorm_mode_16_64 3
		.amdhsa_fp16_overflow 0
		.amdhsa_workgroup_processor_mode 1
		.amdhsa_memory_ordered 1
		.amdhsa_forward_progress 1
		.amdhsa_inst_pref_size 14
		.amdhsa_round_robin_scheduling 0
		.amdhsa_exception_fp_ieee_invalid_op 0
		.amdhsa_exception_fp_denorm_src 0
		.amdhsa_exception_fp_ieee_div_zero 0
		.amdhsa_exception_fp_ieee_overflow 0
		.amdhsa_exception_fp_ieee_underflow 0
		.amdhsa_exception_fp_ieee_inexact 0
		.amdhsa_exception_int_div_zero 0
	.end_amdhsa_kernel
	.section	.text._ZL23rocblas_trmm_rNx_kernelILi32EddKPKdKPdEv13rocblas_fill_17rocblas_diagonal_iiT1_lPT2_llS9_llPT3_lli,"axG",@progbits,_ZL23rocblas_trmm_rNx_kernelILi32EddKPKdKPdEv13rocblas_fill_17rocblas_diagonal_iiT1_lPT2_llS9_llPT3_lli,comdat
.Lfunc_end163:
	.size	_ZL23rocblas_trmm_rNx_kernelILi32EddKPKdKPdEv13rocblas_fill_17rocblas_diagonal_iiT1_lPT2_llS9_llPT3_lli, .Lfunc_end163-_ZL23rocblas_trmm_rNx_kernelILi32EddKPKdKPdEv13rocblas_fill_17rocblas_diagonal_iiT1_lPT2_llS9_llPT3_lli
                                        ; -- End function
	.set _ZL23rocblas_trmm_rNx_kernelILi32EddKPKdKPdEv13rocblas_fill_17rocblas_diagonal_iiT1_lPT2_llS9_llPT3_lli.num_vgpr, 32
	.set _ZL23rocblas_trmm_rNx_kernelILi32EddKPKdKPdEv13rocblas_fill_17rocblas_diagonal_iiT1_lPT2_llS9_llPT3_lli.num_agpr, 0
	.set _ZL23rocblas_trmm_rNx_kernelILi32EddKPKdKPdEv13rocblas_fill_17rocblas_diagonal_iiT1_lPT2_llS9_llPT3_lli.numbered_sgpr, 32
	.set _ZL23rocblas_trmm_rNx_kernelILi32EddKPKdKPdEv13rocblas_fill_17rocblas_diagonal_iiT1_lPT2_llS9_llPT3_lli.num_named_barrier, 0
	.set _ZL23rocblas_trmm_rNx_kernelILi32EddKPKdKPdEv13rocblas_fill_17rocblas_diagonal_iiT1_lPT2_llS9_llPT3_lli.private_seg_size, 0
	.set _ZL23rocblas_trmm_rNx_kernelILi32EddKPKdKPdEv13rocblas_fill_17rocblas_diagonal_iiT1_lPT2_llS9_llPT3_lli.uses_vcc, 1
	.set _ZL23rocblas_trmm_rNx_kernelILi32EddKPKdKPdEv13rocblas_fill_17rocblas_diagonal_iiT1_lPT2_llS9_llPT3_lli.uses_flat_scratch, 0
	.set _ZL23rocblas_trmm_rNx_kernelILi32EddKPKdKPdEv13rocblas_fill_17rocblas_diagonal_iiT1_lPT2_llS9_llPT3_lli.has_dyn_sized_stack, 0
	.set _ZL23rocblas_trmm_rNx_kernelILi32EddKPKdKPdEv13rocblas_fill_17rocblas_diagonal_iiT1_lPT2_llS9_llPT3_lli.has_recursion, 0
	.set _ZL23rocblas_trmm_rNx_kernelILi32EddKPKdKPdEv13rocblas_fill_17rocblas_diagonal_iiT1_lPT2_llS9_llPT3_lli.has_indirect_call, 0
	.section	.AMDGPU.csdata,"",@progbits
; Kernel info:
; codeLenInByte = 1724
; TotalNumSgprs: 34
; NumVgprs: 32
; ScratchSize: 0
; MemoryBound: 0
; FloatMode: 240
; IeeeMode: 1
; LDSByteSize: 16384 bytes/workgroup (compile time only)
; SGPRBlocks: 0
; VGPRBlocks: 3
; NumSGPRsForWavesPerEU: 34
; NumVGPRsForWavesPerEU: 32
; Occupancy: 16
; WaveLimiterHint : 1
; COMPUTE_PGM_RSRC2:SCRATCH_EN: 0
; COMPUTE_PGM_RSRC2:USER_SGPR: 2
; COMPUTE_PGM_RSRC2:TRAP_HANDLER: 0
; COMPUTE_PGM_RSRC2:TGID_X_EN: 1
; COMPUTE_PGM_RSRC2:TGID_Y_EN: 0
; COMPUTE_PGM_RSRC2:TGID_Z_EN: 1
; COMPUTE_PGM_RSRC2:TIDIG_COMP_CNT: 1
	.section	.text._ZL23rocblas_trmm_rTx_kernelILi32ELb0EdPKdKS1_KPdEv13rocblas_fill_17rocblas_diagonal_iiT2_lPT3_llS9_llPT4_lli,"axG",@progbits,_ZL23rocblas_trmm_rTx_kernelILi32ELb0EdPKdKS1_KPdEv13rocblas_fill_17rocblas_diagonal_iiT2_lPT3_llS9_llPT4_lli,comdat
	.globl	_ZL23rocblas_trmm_rTx_kernelILi32ELb0EdPKdKS1_KPdEv13rocblas_fill_17rocblas_diagonal_iiT2_lPT3_llS9_llPT4_lli ; -- Begin function _ZL23rocblas_trmm_rTx_kernelILi32ELb0EdPKdKS1_KPdEv13rocblas_fill_17rocblas_diagonal_iiT2_lPT3_llS9_llPT4_lli
	.p2align	8
	.type	_ZL23rocblas_trmm_rTx_kernelILi32ELb0EdPKdKS1_KPdEv13rocblas_fill_17rocblas_diagonal_iiT2_lPT3_llS9_llPT4_lli,@function
_ZL23rocblas_trmm_rTx_kernelILi32ELb0EdPKdKS1_KPdEv13rocblas_fill_17rocblas_diagonal_iiT2_lPT3_llS9_llPT4_lli: ; @_ZL23rocblas_trmm_rTx_kernelILi32ELb0EdPKdKS1_KPdEv13rocblas_fill_17rocblas_diagonal_iiT2_lPT3_llS9_llPT4_lli
; %bb.0:
	s_load_b32 s28, s[0:1], 0x68
	s_lshr_b32 s2, ttmp7, 16
	s_wait_kmcnt 0x0
	s_cmp_ge_u32 s2, s28
	s_cbranch_scc1 .LBB164_19
; %bb.1:
	s_clause 0x3
	s_load_b128 s[24:27], s[0:1], 0x0
	s_load_b512 s[4:19], s[0:1], 0x10
	s_load_b128 s[20:23], s[0:1], 0x50
	s_load_b64 s[30:31], s[0:1], 0x60
	v_bfe_u32 v11, v0, 10, 10
	s_delay_alu instid0(VALU_DEP_1) | instskip(NEXT) | instid1(VALU_DEP_1)
	v_lshlrev_b32_e32 v17, 3, v11
	v_add_nc_u32_e32 v20, 0x800, v17
	v_add_nc_u32_e32 v22, 0x1000, v17
	;; [unrolled: 1-line block ×3, first 2 shown]
	s_wait_kmcnt 0x0
	s_add_co_i32 s1, s26, -1
	v_mad_co_u64_u32 v[4:5], null, s16, v11, 0
	v_mad_co_u64_u32 v[6:7], null, s22, v11, 0
	;; [unrolled: 1-line block ×3, first 2 shown]
	s_ashr_i32 s3, s1, 31
	v_dual_mov_b32 v3, v5 :: v_dual_and_b32 v12, 0x3ff, v0
	s_lshr_b32 s3, s3, 27
	v_dual_mov_b32 v5, v7 :: v_dual_lshlrev_b32 v0, 5, v11
	s_add_co_i32 s3, s1, s3
	s_delay_alu instid0(VALU_DEP_2)
	v_mad_co_u64_u32 v[7:8], null, s11, v11, v[2:3]
	s_ashr_i32 s10, s3, 5
	s_and_not1_b32 s3, s3, 31
	v_cmp_gt_i32_e64 s0, s27, v11
	v_cmp_gt_i32_e64 s1, s27, v12
	s_sub_co_i32 s3, s26, s3
	v_mad_co_u64_u32 v[8:9], null, s17, v11, v[3:4]
	s_wait_alu 0xfffe
	s_cmp_ge_i32 ttmp9, s10
	v_mad_co_u64_u32 v[9:10], null, s23, v11, v[5:6]
	s_cselect_b32 s3, s3, 32
	s_and_b32 s26, s0, s1
	v_cmp_gt_i32_e64 s1, s3, v12
	s_lshl_b32 s16, ttmp9, 5
	v_dual_mov_b32 v2, v7 :: v_dual_mov_b32 v5, v8
	v_dual_mov_b32 v7, v9 :: v_dual_lshlrev_b32 v18, 3, v12
	v_add_lshl_u32 v14, v0, v12, 3
	v_cmp_eq_u32_e32 vcc_lo, v11, v12
	s_wait_alu 0xfffe
	s_ashr_i32 s17, s16, 31
	s_and_b32 s27, s0, s1
	v_lshl_add_u32 v16, v12, 3, 0x2000
	s_cmp_eq_u32 s25, 0x84
	v_lshlrev_b64_e32 v[2:3], 3, v[1:2]
	s_cselect_b32 s0, -1, 0
	v_lshlrev_b64_e32 v[4:5], 3, v[4:5]
	v_lshlrev_b64_e32 v[6:7], 3, v[6:7]
	v_dual_mov_b32 v0, 0 :: v_dual_add_nc_u32 v15, 0x2000, v14
	s_and_b32 s25, vcc_lo, s0
	v_cmp_lt_u32_e64 s0, v12, v11
	v_cmp_gt_u32_e64 s1, v12, v11
	v_mov_b32_e32 v1, 0x3ff00000
	v_add_nc_u32_e32 v19, 0x800, v16
	v_add_nc_u32_e32 v21, 0x1000, v16
	;; [unrolled: 1-line block ×3, first 2 shown]
	s_cmp_lg_u32 s24, 0x79
	s_mov_b32 s3, 0
	s_cselect_b32 s24, -1, 0
	s_lshl_b64 s[10:11], s[12:13], 3
	s_lshl_b64 s[12:13], s[18:19], 3
	s_wait_alu 0xfffe
	s_lshl_b64 s[16:17], s[16:17], 3
	s_lshl_b64 s[18:19], s[30:31], 3
	s_branch .LBB164_4
.LBB164_2:                              ;   in Loop: Header=BB164_4 Depth=1
	s_wait_alu 0xfffe
	s_or_b32 exec_lo, exec_lo, s22
.LBB164_3:                              ;   in Loop: Header=BB164_4 Depth=1
	s_add_co_i32 s2, s2, 0x10000
	s_wait_alu 0xfffe
	s_cmp_lt_u32 s2, s28
	s_cbranch_scc0 .LBB164_19
.LBB164_4:                              ; =>This Inner Loop Header: Depth=1
	s_mul_u64 s[22:23], s[6:7], s[2:3]
	s_wait_alu 0xfffe
	s_lshl_b64 s[22:23], s[22:23], 3
	s_wait_alu 0xfffe
	s_add_nc_u64 s[22:23], s[4:5], s[22:23]
	global_load_b64 v[8:9], v0, s[22:23]
	s_wait_loadcnt 0x0
	v_cmp_eq_f64_e32 vcc_lo, 0, v[8:9]
	s_cbranch_vccnz .LBB164_3
; %bb.5:                                ;   in Loop: Header=BB164_4 Depth=1
	s_lshl_b64 s[22:23], s[2:3], 3
	s_wait_alu 0xfffe
	s_add_nc_u64 s[30:31], s[14:15], s[22:23]
	s_add_nc_u64 s[34:35], s[20:21], s[22:23]
	s_clause 0x1
	global_load_b64 v[12:13], v0, s[30:31]
	global_load_b64 v[10:11], v0, s[34:35]
	s_mov_b32 s30, s3
	s_mov_b32 s31, s3
	s_wait_alu 0xfffe
	v_dual_mov_b32 v25, s30 :: v_dual_mov_b32 v26, s31
	ds_store_b64 v14, v[25:26]
	ds_store_b64 v15, v[25:26]
	s_and_saveexec_b32 s29, s26
	s_cbranch_execnz .LBB164_10
; %bb.6:                                ;   in Loop: Header=BB164_4 Depth=1
	s_or_b32 exec_lo, exec_lo, s29
	s_and_saveexec_b32 s22, s27
	s_cbranch_execnz .LBB164_11
.LBB164_7:                              ;   in Loop: Header=BB164_4 Depth=1
	s_wait_alu 0xfffe
	s_or_b32 exec_lo, exec_lo, s22
	s_and_saveexec_b32 s22, s25
	s_cbranch_execnz .LBB164_12
.LBB164_8:                              ;   in Loop: Header=BB164_4 Depth=1
	s_wait_alu 0xfffe
	s_or_b32 exec_lo, exec_lo, s22
	s_delay_alu instid0(SALU_CYCLE_1)
	s_and_b32 vcc_lo, exec_lo, s24
	s_wait_alu 0xfffe
	s_cbranch_vccz .LBB164_13
.LBB164_9:                              ;   in Loop: Header=BB164_4 Depth=1
	s_and_b32 s22, s0, exec_lo
	s_cbranch_execz .LBB164_14
	s_branch .LBB164_15
.LBB164_10:                             ;   in Loop: Header=BB164_4 Depth=1
	s_add_nc_u64 s[22:23], s[8:9], s[22:23]
	global_load_b64 v[25:26], v0, s[22:23]
	s_wait_loadcnt 0x0
	v_add_co_u32 v25, vcc_lo, v25, s10
	s_wait_alu 0xfffd
	v_add_co_ci_u32_e64 v26, null, s11, v26, vcc_lo
	s_delay_alu instid0(VALU_DEP_2) | instskip(SKIP_1) | instid1(VALU_DEP_2)
	v_add_co_u32 v25, vcc_lo, v25, v2
	s_wait_alu 0xfffd
	v_add_co_ci_u32_e64 v26, null, v26, v3, vcc_lo
	s_delay_alu instid0(VALU_DEP_2) | instskip(SKIP_1) | instid1(VALU_DEP_2)
	v_add_co_u32 v25, vcc_lo, v25, v18
	s_wait_alu 0xfffd
	v_add_co_ci_u32_e64 v26, null, 0, v26, vcc_lo
	flat_load_b64 v[25:26], v[25:26]
	s_wait_loadcnt_dscnt 0x0
	ds_store_b64 v14, v[25:26]
	s_or_b32 exec_lo, exec_lo, s29
	s_and_saveexec_b32 s22, s27
	s_cbranch_execz .LBB164_7
.LBB164_11:                             ;   in Loop: Header=BB164_4 Depth=1
	s_wait_loadcnt 0x1
	v_add_co_u32 v12, vcc_lo, v12, s12
	s_wait_alu 0xfffd
	v_add_co_ci_u32_e64 v13, null, s13, v13, vcc_lo
	s_delay_alu instid0(VALU_DEP_2) | instskip(SKIP_1) | instid1(VALU_DEP_2)
	v_add_co_u32 v12, vcc_lo, v12, s16
	s_wait_alu 0xfffd
	v_add_co_ci_u32_e64 v13, null, s17, v13, vcc_lo
	s_delay_alu instid0(VALU_DEP_2) | instskip(SKIP_1) | instid1(VALU_DEP_2)
	;; [unrolled: 4-line block ×3, first 2 shown]
	v_add_co_u32 v12, vcc_lo, v12, v18
	s_wait_alu 0xfffd
	v_add_co_ci_u32_e64 v13, null, 0, v13, vcc_lo
	flat_load_b64 v[12:13], v[12:13]
	s_wait_loadcnt_dscnt 0x0
	ds_store_b64 v15, v[12:13]
	s_wait_alu 0xfffe
	s_or_b32 exec_lo, exec_lo, s22
	s_and_saveexec_b32 s22, s25
	s_cbranch_execz .LBB164_8
.LBB164_12:                             ;   in Loop: Header=BB164_4 Depth=1
	ds_store_b64 v14, v[0:1]
	s_wait_alu 0xfffe
	s_or_b32 exec_lo, exec_lo, s22
	s_delay_alu instid0(SALU_CYCLE_1)
	s_and_b32 vcc_lo, exec_lo, s24
	s_wait_alu 0xfffe
	s_cbranch_vccnz .LBB164_9
.LBB164_13:                             ;   in Loop: Header=BB164_4 Depth=1
	s_mov_b32 s22, 0
.LBB164_14:                             ;   in Loop: Header=BB164_4 Depth=1
	s_wait_alu 0xfffe
	s_and_not1_b32 s22, s22, exec_lo
	s_and_b32 s23, s1, exec_lo
	s_wait_alu 0xfffe
	s_or_b32 s22, s22, s23
.LBB164_15:                             ;   in Loop: Header=BB164_4 Depth=1
	s_wait_alu 0xfffe
	s_and_saveexec_b32 s23, s22
	s_cbranch_execz .LBB164_17
; %bb.16:                               ;   in Loop: Header=BB164_4 Depth=1
	s_wait_loadcnt 0x1
	v_dual_mov_b32 v12, v0 :: v_dual_mov_b32 v13, v0
	ds_store_b64 v14, v[12:13]
.LBB164_17:                             ;   in Loop: Header=BB164_4 Depth=1
	s_wait_alu 0xfffe
	s_or_b32 exec_lo, exec_lo, s23
	s_wait_loadcnt_dscnt 0x0
	s_barrier_signal -1
	s_barrier_wait -1
	global_inv scope:SCOPE_SE
	s_and_saveexec_b32 s22, s27
	s_cbranch_execz .LBB164_2
; %bb.18:                               ;   in Loop: Header=BB164_4 Depth=1
	ds_load_2addr_b64 v[25:28], v16 offset1:32
	ds_load_2addr_b64 v[29:32], v17 offset1:32
	v_add_co_u32 v10, vcc_lo, v10, s18
	s_wait_alu 0xfffd
	v_add_co_ci_u32_e64 v11, null, s19, v11, vcc_lo
	s_delay_alu instid0(VALU_DEP_2) | instskip(SKIP_1) | instid1(VALU_DEP_2)
	v_add_co_u32 v10, vcc_lo, v10, s16
	s_wait_alu 0xfffd
	v_add_co_ci_u32_e64 v11, null, s17, v11, vcc_lo
	s_delay_alu instid0(VALU_DEP_2) | instskip(SKIP_1) | instid1(VALU_DEP_2)
	;; [unrolled: 4-line block ×3, first 2 shown]
	v_add_co_u32 v10, vcc_lo, v10, v18
	s_wait_alu 0xfffd
	v_add_co_ci_u32_e64 v11, null, 0, v11, vcc_lo
	s_wait_dscnt 0x0
	v_fma_f64 v[12:13], v[25:26], v[29:30], 0
	s_delay_alu instid0(VALU_DEP_1) | instskip(SKIP_4) | instid1(VALU_DEP_1)
	v_fma_f64 v[12:13], v[27:28], v[31:32], v[12:13]
	ds_load_2addr_b64 v[25:28], v16 offset0:64 offset1:96
	ds_load_2addr_b64 v[29:32], v17 offset0:64 offset1:96
	s_wait_dscnt 0x0
	v_fma_f64 v[12:13], v[25:26], v[29:30], v[12:13]
	v_fma_f64 v[12:13], v[27:28], v[31:32], v[12:13]
	ds_load_2addr_b64 v[25:28], v16 offset0:128 offset1:160
	ds_load_2addr_b64 v[29:32], v17 offset0:128 offset1:160
	s_wait_dscnt 0x0
	v_fma_f64 v[12:13], v[25:26], v[29:30], v[12:13]
	s_delay_alu instid0(VALU_DEP_1) | instskip(SKIP_4) | instid1(VALU_DEP_1)
	v_fma_f64 v[12:13], v[27:28], v[31:32], v[12:13]
	ds_load_2addr_b64 v[25:28], v16 offset0:192 offset1:224
	ds_load_2addr_b64 v[29:32], v17 offset0:192 offset1:224
	s_wait_dscnt 0x0
	v_fma_f64 v[12:13], v[25:26], v[29:30], v[12:13]
	v_fma_f64 v[12:13], v[27:28], v[31:32], v[12:13]
	ds_load_2addr_b64 v[25:28], v19 offset1:32
	ds_load_2addr_b64 v[29:32], v20 offset1:32
	s_wait_dscnt 0x0
	v_fma_f64 v[12:13], v[25:26], v[29:30], v[12:13]
	s_delay_alu instid0(VALU_DEP_1) | instskip(SKIP_4) | instid1(VALU_DEP_1)
	v_fma_f64 v[12:13], v[27:28], v[31:32], v[12:13]
	ds_load_2addr_b64 v[25:28], v19 offset0:64 offset1:96
	ds_load_2addr_b64 v[29:32], v20 offset0:64 offset1:96
	s_wait_dscnt 0x0
	v_fma_f64 v[12:13], v[25:26], v[29:30], v[12:13]
	v_fma_f64 v[12:13], v[27:28], v[31:32], v[12:13]
	ds_load_2addr_b64 v[25:28], v19 offset0:128 offset1:160
	ds_load_2addr_b64 v[29:32], v20 offset0:128 offset1:160
	s_wait_dscnt 0x0
	v_fma_f64 v[12:13], v[25:26], v[29:30], v[12:13]
	s_delay_alu instid0(VALU_DEP_1) | instskip(SKIP_4) | instid1(VALU_DEP_1)
	v_fma_f64 v[12:13], v[27:28], v[31:32], v[12:13]
	ds_load_2addr_b64 v[25:28], v19 offset0:192 offset1:224
	ds_load_2addr_b64 v[29:32], v20 offset0:192 offset1:224
	s_wait_dscnt 0x0
	v_fma_f64 v[12:13], v[25:26], v[29:30], v[12:13]
	v_fma_f64 v[12:13], v[27:28], v[31:32], v[12:13]
	ds_load_2addr_b64 v[25:28], v21 offset1:32
	ds_load_2addr_b64 v[29:32], v22 offset1:32
	;; [unrolled: 22-line block ×3, first 2 shown]
	s_wait_dscnt 0x0
	v_fma_f64 v[12:13], v[25:26], v[29:30], v[12:13]
	s_delay_alu instid0(VALU_DEP_1) | instskip(SKIP_4) | instid1(VALU_DEP_1)
	v_fma_f64 v[12:13], v[27:28], v[31:32], v[12:13]
	ds_load_2addr_b64 v[25:28], v23 offset0:64 offset1:96
	ds_load_2addr_b64 v[29:32], v24 offset0:64 offset1:96
	s_wait_dscnt 0x0
	v_fma_f64 v[12:13], v[25:26], v[29:30], v[12:13]
	v_fma_f64 v[12:13], v[27:28], v[31:32], v[12:13]
	ds_load_2addr_b64 v[25:28], v23 offset0:128 offset1:160
	ds_load_2addr_b64 v[29:32], v24 offset0:128 offset1:160
	s_wait_dscnt 0x0
	v_fma_f64 v[12:13], v[25:26], v[29:30], v[12:13]
	s_delay_alu instid0(VALU_DEP_1) | instskip(SKIP_4) | instid1(VALU_DEP_1)
	v_fma_f64 v[12:13], v[27:28], v[31:32], v[12:13]
	ds_load_2addr_b64 v[25:28], v23 offset0:192 offset1:224
	ds_load_2addr_b64 v[29:32], v24 offset0:192 offset1:224
	s_wait_dscnt 0x0
	v_fma_f64 v[12:13], v[25:26], v[29:30], v[12:13]
	v_fma_f64 v[12:13], v[27:28], v[31:32], v[12:13]
	s_delay_alu instid0(VALU_DEP_1)
	v_mul_f64_e32 v[8:9], v[8:9], v[12:13]
	flat_store_b64 v[10:11], v[8:9]
	s_branch .LBB164_2
.LBB164_19:
	s_endpgm
	.section	.rodata,"a",@progbits
	.p2align	6, 0x0
	.amdhsa_kernel _ZL23rocblas_trmm_rTx_kernelILi32ELb0EdPKdKS1_KPdEv13rocblas_fill_17rocblas_diagonal_iiT2_lPT3_llS9_llPT4_lli
		.amdhsa_group_segment_fixed_size 16384
		.amdhsa_private_segment_fixed_size 0
		.amdhsa_kernarg_size 108
		.amdhsa_user_sgpr_count 2
		.amdhsa_user_sgpr_dispatch_ptr 0
		.amdhsa_user_sgpr_queue_ptr 0
		.amdhsa_user_sgpr_kernarg_segment_ptr 1
		.amdhsa_user_sgpr_dispatch_id 0
		.amdhsa_user_sgpr_private_segment_size 0
		.amdhsa_wavefront_size32 1
		.amdhsa_uses_dynamic_stack 0
		.amdhsa_enable_private_segment 0
		.amdhsa_system_sgpr_workgroup_id_x 1
		.amdhsa_system_sgpr_workgroup_id_y 0
		.amdhsa_system_sgpr_workgroup_id_z 1
		.amdhsa_system_sgpr_workgroup_info 0
		.amdhsa_system_vgpr_workitem_id 1
		.amdhsa_next_free_vgpr 33
		.amdhsa_next_free_sgpr 36
		.amdhsa_reserve_vcc 1
		.amdhsa_float_round_mode_32 0
		.amdhsa_float_round_mode_16_64 0
		.amdhsa_float_denorm_mode_32 3
		.amdhsa_float_denorm_mode_16_64 3
		.amdhsa_fp16_overflow 0
		.amdhsa_workgroup_processor_mode 1
		.amdhsa_memory_ordered 1
		.amdhsa_forward_progress 1
		.amdhsa_inst_pref_size 14
		.amdhsa_round_robin_scheduling 0
		.amdhsa_exception_fp_ieee_invalid_op 0
		.amdhsa_exception_fp_denorm_src 0
		.amdhsa_exception_fp_ieee_div_zero 0
		.amdhsa_exception_fp_ieee_overflow 0
		.amdhsa_exception_fp_ieee_underflow 0
		.amdhsa_exception_fp_ieee_inexact 0
		.amdhsa_exception_int_div_zero 0
	.end_amdhsa_kernel
	.section	.text._ZL23rocblas_trmm_rTx_kernelILi32ELb0EdPKdKS1_KPdEv13rocblas_fill_17rocblas_diagonal_iiT2_lPT3_llS9_llPT4_lli,"axG",@progbits,_ZL23rocblas_trmm_rTx_kernelILi32ELb0EdPKdKS1_KPdEv13rocblas_fill_17rocblas_diagonal_iiT2_lPT3_llS9_llPT4_lli,comdat
.Lfunc_end164:
	.size	_ZL23rocblas_trmm_rTx_kernelILi32ELb0EdPKdKS1_KPdEv13rocblas_fill_17rocblas_diagonal_iiT2_lPT3_llS9_llPT4_lli, .Lfunc_end164-_ZL23rocblas_trmm_rTx_kernelILi32ELb0EdPKdKS1_KPdEv13rocblas_fill_17rocblas_diagonal_iiT2_lPT3_llS9_llPT4_lli
                                        ; -- End function
	.set _ZL23rocblas_trmm_rTx_kernelILi32ELb0EdPKdKS1_KPdEv13rocblas_fill_17rocblas_diagonal_iiT2_lPT3_llS9_llPT4_lli.num_vgpr, 33
	.set _ZL23rocblas_trmm_rTx_kernelILi32ELb0EdPKdKS1_KPdEv13rocblas_fill_17rocblas_diagonal_iiT2_lPT3_llS9_llPT4_lli.num_agpr, 0
	.set _ZL23rocblas_trmm_rTx_kernelILi32ELb0EdPKdKS1_KPdEv13rocblas_fill_17rocblas_diagonal_iiT2_lPT3_llS9_llPT4_lli.numbered_sgpr, 36
	.set _ZL23rocblas_trmm_rTx_kernelILi32ELb0EdPKdKS1_KPdEv13rocblas_fill_17rocblas_diagonal_iiT2_lPT3_llS9_llPT4_lli.num_named_barrier, 0
	.set _ZL23rocblas_trmm_rTx_kernelILi32ELb0EdPKdKS1_KPdEv13rocblas_fill_17rocblas_diagonal_iiT2_lPT3_llS9_llPT4_lli.private_seg_size, 0
	.set _ZL23rocblas_trmm_rTx_kernelILi32ELb0EdPKdKS1_KPdEv13rocblas_fill_17rocblas_diagonal_iiT2_lPT3_llS9_llPT4_lli.uses_vcc, 1
	.set _ZL23rocblas_trmm_rTx_kernelILi32ELb0EdPKdKS1_KPdEv13rocblas_fill_17rocblas_diagonal_iiT2_lPT3_llS9_llPT4_lli.uses_flat_scratch, 0
	.set _ZL23rocblas_trmm_rTx_kernelILi32ELb0EdPKdKS1_KPdEv13rocblas_fill_17rocblas_diagonal_iiT2_lPT3_llS9_llPT4_lli.has_dyn_sized_stack, 0
	.set _ZL23rocblas_trmm_rTx_kernelILi32ELb0EdPKdKS1_KPdEv13rocblas_fill_17rocblas_diagonal_iiT2_lPT3_llS9_llPT4_lli.has_recursion, 0
	.set _ZL23rocblas_trmm_rTx_kernelILi32ELb0EdPKdKS1_KPdEv13rocblas_fill_17rocblas_diagonal_iiT2_lPT3_llS9_llPT4_lli.has_indirect_call, 0
	.section	.AMDGPU.csdata,"",@progbits
; Kernel info:
; codeLenInByte = 1768
; TotalNumSgprs: 38
; NumVgprs: 33
; ScratchSize: 0
; MemoryBound: 0
; FloatMode: 240
; IeeeMode: 1
; LDSByteSize: 16384 bytes/workgroup (compile time only)
; SGPRBlocks: 0
; VGPRBlocks: 4
; NumSGPRsForWavesPerEU: 38
; NumVGPRsForWavesPerEU: 33
; Occupancy: 16
; WaveLimiterHint : 1
; COMPUTE_PGM_RSRC2:SCRATCH_EN: 0
; COMPUTE_PGM_RSRC2:USER_SGPR: 2
; COMPUTE_PGM_RSRC2:TRAP_HANDLER: 0
; COMPUTE_PGM_RSRC2:TGID_X_EN: 1
; COMPUTE_PGM_RSRC2:TGID_Y_EN: 0
; COMPUTE_PGM_RSRC2:TGID_Z_EN: 1
; COMPUTE_PGM_RSRC2:TIDIG_COMP_CNT: 1
	.section	.text._ZL23rocblas_trmm_rTx_kernelILi32ELb0EddKPKdKPdEv13rocblas_fill_17rocblas_diagonal_iiT2_lPT3_llS9_llPT4_lli,"axG",@progbits,_ZL23rocblas_trmm_rTx_kernelILi32ELb0EddKPKdKPdEv13rocblas_fill_17rocblas_diagonal_iiT2_lPT3_llS9_llPT4_lli,comdat
	.globl	_ZL23rocblas_trmm_rTx_kernelILi32ELb0EddKPKdKPdEv13rocblas_fill_17rocblas_diagonal_iiT2_lPT3_llS9_llPT4_lli ; -- Begin function _ZL23rocblas_trmm_rTx_kernelILi32ELb0EddKPKdKPdEv13rocblas_fill_17rocblas_diagonal_iiT2_lPT3_llS9_llPT4_lli
	.p2align	8
	.type	_ZL23rocblas_trmm_rTx_kernelILi32ELb0EddKPKdKPdEv13rocblas_fill_17rocblas_diagonal_iiT2_lPT3_llS9_llPT4_lli,@function
_ZL23rocblas_trmm_rTx_kernelILi32ELb0EddKPKdKPdEv13rocblas_fill_17rocblas_diagonal_iiT2_lPT3_llS9_llPT4_lli: ; @_ZL23rocblas_trmm_rTx_kernelILi32ELb0EddKPKdKPdEv13rocblas_fill_17rocblas_diagonal_iiT2_lPT3_llS9_llPT4_lli
; %bb.0:
	s_load_b32 s26, s[0:1], 0x68
	s_lshr_b32 s2, ttmp7, 16
	s_wait_kmcnt 0x0
	s_cmp_ge_u32 s2, s26
	s_cbranch_scc1 .LBB165_19
; %bb.1:
	s_clause 0x3
	s_load_b128 s[20:23], s[0:1], 0x0
	s_load_b512 s[4:19], s[0:1], 0x20
	s_load_b64 s[24:25], s[0:1], 0x10
	s_load_b64 s[28:29], s[0:1], 0x60
	v_bfe_u32 v11, v0, 10, 10
	s_delay_alu instid0(VALU_DEP_1) | instskip(NEXT) | instid1(VALU_DEP_1)
	v_lshlrev_b32_e32 v15, 3, v11
	v_add_nc_u32_e32 v18, 0x800, v15
	v_add_nc_u32_e32 v20, 0x1000, v15
	;; [unrolled: 1-line block ×3, first 2 shown]
	s_wait_kmcnt 0x0
	s_add_co_i32 s1, s22, -1
	v_cmp_neq_f64_e64 s27, s[24:25], 0
	v_mad_co_u64_u32 v[4:5], null, s12, v11, 0
	v_mad_co_u64_u32 v[6:7], null, s18, v11, 0
	;; [unrolled: 1-line block ×3, first 2 shown]
	s_ashr_i32 s3, s1, 31
	v_dual_mov_b32 v3, v5 :: v_dual_and_b32 v16, 0x3ff, v0
	s_lshr_b32 s3, s3, 27
	v_dual_mov_b32 v5, v7 :: v_dual_lshlrev_b32 v0, 5, v11
	s_add_co_i32 s3, s1, s3
	v_cmp_gt_i32_e64 s0, s23, v11
	s_ashr_i32 s6, s3, 5
	s_and_not1_b32 s3, s3, 31
	v_cmp_gt_i32_e64 s1, s23, v16
	s_sub_co_i32 s3, s22, s3
	v_mad_co_u64_u32 v[7:8], null, s7, v11, v[2:3]
	s_wait_alu 0xfffe
	s_cmp_ge_i32 ttmp9, s6
	v_mad_co_u64_u32 v[8:9], null, s13, v11, v[3:4]
	v_mad_co_u64_u32 v[9:10], null, s19, v11, v[5:6]
	s_cselect_b32 s3, s3, 32
	s_and_b32 s22, s0, s1
	v_cmp_gt_i32_e64 s1, s3, v16
	s_lshl_b32 s12, ttmp9, 5
	v_cmp_eq_u32_e32 vcc_lo, v11, v16
	s_wait_alu 0xfffe
	s_ashr_i32 s13, s12, 31
	v_dual_mov_b32 v2, v7 :: v_dual_mov_b32 v5, v8
	s_and_b32 s23, s0, s1
	v_mov_b32_e32 v7, v9
	v_add_lshl_u32 v12, v0, v16, 3
	s_cmp_eq_u32 s21, 0x84
	v_lshl_add_u32 v14, v16, 3, 0x2000
	s_cselect_b32 s0, -1, 0
	v_cmp_gt_u32_e64 s1, v16, v11
	s_and_b32 s21, vcc_lo, s0
	v_cmp_lt_u32_e64 s0, v16, v11
	v_lshlrev_b64_e32 v[2:3], 3, v[1:2]
	v_lshlrev_b64_e32 v[4:5], 3, v[4:5]
	v_lshlrev_b32_e32 v16, 3, v16
	v_lshlrev_b64_e32 v[6:7], 3, v[6:7]
	v_dual_mov_b32 v0, 0 :: v_dual_add_nc_u32 v13, 0x2000, v12
	v_mov_b32_e32 v1, 0x3ff00000
	v_add_nc_u32_e32 v17, 0x800, v14
	v_add_nc_u32_e32 v19, 0x1000, v14
	;; [unrolled: 1-line block ×3, first 2 shown]
	s_cmp_lg_u32 s20, 0x79
	s_mov_b32 s3, 0
	s_cselect_b32 s20, -1, 0
	s_lshl_b64 s[6:7], s[8:9], 3
	s_lshl_b64 s[8:9], s[14:15], 3
	s_wait_alu 0xfffe
	s_lshl_b64 s[12:13], s[12:13], 3
	s_lshl_b64 s[14:15], s[28:29], 3
	s_branch .LBB165_4
.LBB165_2:                              ;   in Loop: Header=BB165_4 Depth=1
	s_wait_alu 0xfffe
	s_or_b32 exec_lo, exec_lo, s18
.LBB165_3:                              ;   in Loop: Header=BB165_4 Depth=1
	s_add_co_i32 s2, s2, 0x10000
	s_wait_alu 0xfffe
	s_cmp_lt_u32 s2, s26
	s_cbranch_scc0 .LBB165_19
.LBB165_4:                              ; =>This Inner Loop Header: Depth=1
	s_and_not1_b32 vcc_lo, exec_lo, s27
	s_wait_alu 0xfffe
	s_cbranch_vccnz .LBB165_3
; %bb.5:                                ;   in Loop: Header=BB165_4 Depth=1
	s_lshl_b64 s[18:19], s[2:3], 3
	s_wait_alu 0xfffe
	s_add_nc_u64 s[28:29], s[10:11], s[18:19]
	s_add_nc_u64 s[30:31], s[16:17], s[18:19]
	s_clause 0x1
	global_load_b64 v[10:11], v0, s[28:29]
	global_load_b64 v[8:9], v0, s[30:31]
	s_mov_b32 s28, s3
	s_mov_b32 s29, s3
	s_wait_alu 0xfffe
	v_dual_mov_b32 v23, s28 :: v_dual_mov_b32 v24, s29
	ds_store_b64 v12, v[23:24]
	ds_store_b64 v13, v[23:24]
	s_and_saveexec_b32 s28, s22
	s_cbranch_execnz .LBB165_10
; %bb.6:                                ;   in Loop: Header=BB165_4 Depth=1
	s_wait_alu 0xfffe
	s_or_b32 exec_lo, exec_lo, s28
	s_and_saveexec_b32 s18, s23
	s_cbranch_execnz .LBB165_11
.LBB165_7:                              ;   in Loop: Header=BB165_4 Depth=1
	s_wait_alu 0xfffe
	s_or_b32 exec_lo, exec_lo, s18
	s_and_saveexec_b32 s18, s21
	s_cbranch_execnz .LBB165_12
.LBB165_8:                              ;   in Loop: Header=BB165_4 Depth=1
	s_wait_alu 0xfffe
	s_or_b32 exec_lo, exec_lo, s18
	s_delay_alu instid0(SALU_CYCLE_1)
	s_and_b32 vcc_lo, exec_lo, s20
	s_wait_alu 0xfffe
	s_cbranch_vccz .LBB165_13
.LBB165_9:                              ;   in Loop: Header=BB165_4 Depth=1
	s_and_b32 s18, s0, exec_lo
	s_cbranch_execz .LBB165_14
	s_branch .LBB165_15
.LBB165_10:                             ;   in Loop: Header=BB165_4 Depth=1
	s_add_nc_u64 s[18:19], s[4:5], s[18:19]
	global_load_b64 v[23:24], v0, s[18:19]
	s_wait_loadcnt 0x0
	v_add_co_u32 v23, vcc_lo, v23, s6
	s_wait_alu 0xfffd
	v_add_co_ci_u32_e64 v24, null, s7, v24, vcc_lo
	s_delay_alu instid0(VALU_DEP_2) | instskip(SKIP_1) | instid1(VALU_DEP_2)
	v_add_co_u32 v23, vcc_lo, v23, v2
	s_wait_alu 0xfffd
	v_add_co_ci_u32_e64 v24, null, v24, v3, vcc_lo
	s_delay_alu instid0(VALU_DEP_2) | instskip(SKIP_1) | instid1(VALU_DEP_2)
	v_add_co_u32 v23, vcc_lo, v23, v16
	s_wait_alu 0xfffd
	v_add_co_ci_u32_e64 v24, null, 0, v24, vcc_lo
	flat_load_b64 v[23:24], v[23:24]
	s_wait_loadcnt_dscnt 0x0
	ds_store_b64 v12, v[23:24]
	s_wait_alu 0xfffe
	s_or_b32 exec_lo, exec_lo, s28
	s_and_saveexec_b32 s18, s23
	s_cbranch_execz .LBB165_7
.LBB165_11:                             ;   in Loop: Header=BB165_4 Depth=1
	s_wait_loadcnt 0x1
	v_add_co_u32 v10, vcc_lo, v10, s8
	s_wait_alu 0xfffd
	v_add_co_ci_u32_e64 v11, null, s9, v11, vcc_lo
	s_delay_alu instid0(VALU_DEP_2) | instskip(SKIP_1) | instid1(VALU_DEP_2)
	v_add_co_u32 v10, vcc_lo, v10, s12
	s_wait_alu 0xfffd
	v_add_co_ci_u32_e64 v11, null, s13, v11, vcc_lo
	s_delay_alu instid0(VALU_DEP_2) | instskip(SKIP_1) | instid1(VALU_DEP_2)
	;; [unrolled: 4-line block ×3, first 2 shown]
	v_add_co_u32 v10, vcc_lo, v10, v16
	s_wait_alu 0xfffd
	v_add_co_ci_u32_e64 v11, null, 0, v11, vcc_lo
	flat_load_b64 v[10:11], v[10:11]
	s_wait_loadcnt_dscnt 0x0
	ds_store_b64 v13, v[10:11]
	s_wait_alu 0xfffe
	s_or_b32 exec_lo, exec_lo, s18
	s_and_saveexec_b32 s18, s21
	s_cbranch_execz .LBB165_8
.LBB165_12:                             ;   in Loop: Header=BB165_4 Depth=1
	ds_store_b64 v12, v[0:1]
	s_wait_alu 0xfffe
	s_or_b32 exec_lo, exec_lo, s18
	s_delay_alu instid0(SALU_CYCLE_1)
	s_and_b32 vcc_lo, exec_lo, s20
	s_wait_alu 0xfffe
	s_cbranch_vccnz .LBB165_9
.LBB165_13:                             ;   in Loop: Header=BB165_4 Depth=1
	s_mov_b32 s18, 0
.LBB165_14:                             ;   in Loop: Header=BB165_4 Depth=1
	s_wait_alu 0xfffe
	s_and_not1_b32 s18, s18, exec_lo
	s_and_b32 s19, s1, exec_lo
	s_wait_alu 0xfffe
	s_or_b32 s18, s18, s19
.LBB165_15:                             ;   in Loop: Header=BB165_4 Depth=1
	s_wait_alu 0xfffe
	s_and_saveexec_b32 s19, s18
	s_cbranch_execz .LBB165_17
; %bb.16:                               ;   in Loop: Header=BB165_4 Depth=1
	s_wait_loadcnt 0x1
	v_dual_mov_b32 v10, v0 :: v_dual_mov_b32 v11, v0
	ds_store_b64 v12, v[10:11]
.LBB165_17:                             ;   in Loop: Header=BB165_4 Depth=1
	s_wait_alu 0xfffe
	s_or_b32 exec_lo, exec_lo, s19
	s_wait_loadcnt_dscnt 0x0
	s_barrier_signal -1
	s_barrier_wait -1
	global_inv scope:SCOPE_SE
	s_and_saveexec_b32 s18, s23
	s_cbranch_execz .LBB165_2
; %bb.18:                               ;   in Loop: Header=BB165_4 Depth=1
	ds_load_2addr_b64 v[23:26], v14 offset1:32
	ds_load_2addr_b64 v[27:30], v15 offset1:32
	v_add_co_u32 v8, vcc_lo, v8, s14
	s_wait_alu 0xfffd
	v_add_co_ci_u32_e64 v9, null, s15, v9, vcc_lo
	s_delay_alu instid0(VALU_DEP_2) | instskip(SKIP_1) | instid1(VALU_DEP_2)
	v_add_co_u32 v8, vcc_lo, v8, s12
	s_wait_alu 0xfffd
	v_add_co_ci_u32_e64 v9, null, s13, v9, vcc_lo
	s_delay_alu instid0(VALU_DEP_2) | instskip(SKIP_1) | instid1(VALU_DEP_2)
	v_add_co_u32 v8, vcc_lo, v8, v6
	s_wait_alu 0xfffd
	v_add_co_ci_u32_e64 v9, null, v9, v7, vcc_lo
	s_delay_alu instid0(VALU_DEP_2) | instskip(SKIP_1) | instid1(VALU_DEP_2)
	v_add_co_u32 v8, vcc_lo, v8, v16
	s_wait_alu 0xfffd
	v_add_co_ci_u32_e64 v9, null, 0, v9, vcc_lo
	s_wait_dscnt 0x0
	v_fma_f64 v[10:11], v[23:24], v[27:28], 0
	s_delay_alu instid0(VALU_DEP_1) | instskip(SKIP_4) | instid1(VALU_DEP_1)
	v_fma_f64 v[10:11], v[25:26], v[29:30], v[10:11]
	ds_load_2addr_b64 v[23:26], v14 offset0:64 offset1:96
	ds_load_2addr_b64 v[27:30], v15 offset0:64 offset1:96
	s_wait_dscnt 0x0
	v_fma_f64 v[10:11], v[23:24], v[27:28], v[10:11]
	v_fma_f64 v[10:11], v[25:26], v[29:30], v[10:11]
	ds_load_2addr_b64 v[23:26], v14 offset0:128 offset1:160
	ds_load_2addr_b64 v[27:30], v15 offset0:128 offset1:160
	s_wait_dscnt 0x0
	v_fma_f64 v[10:11], v[23:24], v[27:28], v[10:11]
	s_delay_alu instid0(VALU_DEP_1) | instskip(SKIP_4) | instid1(VALU_DEP_1)
	v_fma_f64 v[10:11], v[25:26], v[29:30], v[10:11]
	ds_load_2addr_b64 v[23:26], v14 offset0:192 offset1:224
	ds_load_2addr_b64 v[27:30], v15 offset0:192 offset1:224
	s_wait_dscnt 0x0
	v_fma_f64 v[10:11], v[23:24], v[27:28], v[10:11]
	v_fma_f64 v[10:11], v[25:26], v[29:30], v[10:11]
	ds_load_2addr_b64 v[23:26], v17 offset1:32
	ds_load_2addr_b64 v[27:30], v18 offset1:32
	s_wait_dscnt 0x0
	v_fma_f64 v[10:11], v[23:24], v[27:28], v[10:11]
	s_delay_alu instid0(VALU_DEP_1) | instskip(SKIP_4) | instid1(VALU_DEP_1)
	v_fma_f64 v[10:11], v[25:26], v[29:30], v[10:11]
	ds_load_2addr_b64 v[23:26], v17 offset0:64 offset1:96
	ds_load_2addr_b64 v[27:30], v18 offset0:64 offset1:96
	s_wait_dscnt 0x0
	v_fma_f64 v[10:11], v[23:24], v[27:28], v[10:11]
	v_fma_f64 v[10:11], v[25:26], v[29:30], v[10:11]
	ds_load_2addr_b64 v[23:26], v17 offset0:128 offset1:160
	ds_load_2addr_b64 v[27:30], v18 offset0:128 offset1:160
	s_wait_dscnt 0x0
	v_fma_f64 v[10:11], v[23:24], v[27:28], v[10:11]
	s_delay_alu instid0(VALU_DEP_1) | instskip(SKIP_4) | instid1(VALU_DEP_1)
	v_fma_f64 v[10:11], v[25:26], v[29:30], v[10:11]
	ds_load_2addr_b64 v[23:26], v17 offset0:192 offset1:224
	ds_load_2addr_b64 v[27:30], v18 offset0:192 offset1:224
	s_wait_dscnt 0x0
	v_fma_f64 v[10:11], v[23:24], v[27:28], v[10:11]
	v_fma_f64 v[10:11], v[25:26], v[29:30], v[10:11]
	ds_load_2addr_b64 v[23:26], v19 offset1:32
	ds_load_2addr_b64 v[27:30], v20 offset1:32
	s_wait_dscnt 0x0
	v_fma_f64 v[10:11], v[23:24], v[27:28], v[10:11]
	s_delay_alu instid0(VALU_DEP_1) | instskip(SKIP_4) | instid1(VALU_DEP_1)
	v_fma_f64 v[10:11], v[25:26], v[29:30], v[10:11]
	ds_load_2addr_b64 v[23:26], v19 offset0:64 offset1:96
	ds_load_2addr_b64 v[27:30], v20 offset0:64 offset1:96
	s_wait_dscnt 0x0
	v_fma_f64 v[10:11], v[23:24], v[27:28], v[10:11]
	v_fma_f64 v[10:11], v[25:26], v[29:30], v[10:11]
	ds_load_2addr_b64 v[23:26], v19 offset0:128 offset1:160
	ds_load_2addr_b64 v[27:30], v20 offset0:128 offset1:160
	s_wait_dscnt 0x0
	v_fma_f64 v[10:11], v[23:24], v[27:28], v[10:11]
	s_delay_alu instid0(VALU_DEP_1) | instskip(SKIP_4) | instid1(VALU_DEP_1)
	v_fma_f64 v[10:11], v[25:26], v[29:30], v[10:11]
	ds_load_2addr_b64 v[23:26], v19 offset0:192 offset1:224
	ds_load_2addr_b64 v[27:30], v20 offset0:192 offset1:224
	s_wait_dscnt 0x0
	v_fma_f64 v[10:11], v[23:24], v[27:28], v[10:11]
	v_fma_f64 v[10:11], v[25:26], v[29:30], v[10:11]
	ds_load_2addr_b64 v[23:26], v21 offset1:32
	ds_load_2addr_b64 v[27:30], v22 offset1:32
	s_wait_dscnt 0x0
	v_fma_f64 v[10:11], v[23:24], v[27:28], v[10:11]
	s_delay_alu instid0(VALU_DEP_1) | instskip(SKIP_4) | instid1(VALU_DEP_1)
	v_fma_f64 v[10:11], v[25:26], v[29:30], v[10:11]
	ds_load_2addr_b64 v[23:26], v21 offset0:64 offset1:96
	ds_load_2addr_b64 v[27:30], v22 offset0:64 offset1:96
	s_wait_dscnt 0x0
	v_fma_f64 v[10:11], v[23:24], v[27:28], v[10:11]
	v_fma_f64 v[10:11], v[25:26], v[29:30], v[10:11]
	ds_load_2addr_b64 v[23:26], v21 offset0:128 offset1:160
	ds_load_2addr_b64 v[27:30], v22 offset0:128 offset1:160
	s_wait_dscnt 0x0
	v_fma_f64 v[10:11], v[23:24], v[27:28], v[10:11]
	s_delay_alu instid0(VALU_DEP_1) | instskip(SKIP_4) | instid1(VALU_DEP_1)
	v_fma_f64 v[10:11], v[25:26], v[29:30], v[10:11]
	ds_load_2addr_b64 v[23:26], v21 offset0:192 offset1:224
	ds_load_2addr_b64 v[27:30], v22 offset0:192 offset1:224
	s_wait_dscnt 0x0
	v_fma_f64 v[10:11], v[23:24], v[27:28], v[10:11]
	v_fma_f64 v[10:11], v[25:26], v[29:30], v[10:11]
	s_delay_alu instid0(VALU_DEP_1)
	v_mul_f64_e32 v[10:11], s[24:25], v[10:11]
	flat_store_b64 v[8:9], v[10:11]
	s_branch .LBB165_2
.LBB165_19:
	s_endpgm
	.section	.rodata,"a",@progbits
	.p2align	6, 0x0
	.amdhsa_kernel _ZL23rocblas_trmm_rTx_kernelILi32ELb0EddKPKdKPdEv13rocblas_fill_17rocblas_diagonal_iiT2_lPT3_llS9_llPT4_lli
		.amdhsa_group_segment_fixed_size 16384
		.amdhsa_private_segment_fixed_size 0
		.amdhsa_kernarg_size 108
		.amdhsa_user_sgpr_count 2
		.amdhsa_user_sgpr_dispatch_ptr 0
		.amdhsa_user_sgpr_queue_ptr 0
		.amdhsa_user_sgpr_kernarg_segment_ptr 1
		.amdhsa_user_sgpr_dispatch_id 0
		.amdhsa_user_sgpr_private_segment_size 0
		.amdhsa_wavefront_size32 1
		.amdhsa_uses_dynamic_stack 0
		.amdhsa_enable_private_segment 0
		.amdhsa_system_sgpr_workgroup_id_x 1
		.amdhsa_system_sgpr_workgroup_id_y 0
		.amdhsa_system_sgpr_workgroup_id_z 1
		.amdhsa_system_sgpr_workgroup_info 0
		.amdhsa_system_vgpr_workitem_id 1
		.amdhsa_next_free_vgpr 31
		.amdhsa_next_free_sgpr 32
		.amdhsa_reserve_vcc 1
		.amdhsa_float_round_mode_32 0
		.amdhsa_float_round_mode_16_64 0
		.amdhsa_float_denorm_mode_32 3
		.amdhsa_float_denorm_mode_16_64 3
		.amdhsa_fp16_overflow 0
		.amdhsa_workgroup_processor_mode 1
		.amdhsa_memory_ordered 1
		.amdhsa_forward_progress 1
		.amdhsa_inst_pref_size 14
		.amdhsa_round_robin_scheduling 0
		.amdhsa_exception_fp_ieee_invalid_op 0
		.amdhsa_exception_fp_denorm_src 0
		.amdhsa_exception_fp_ieee_div_zero 0
		.amdhsa_exception_fp_ieee_overflow 0
		.amdhsa_exception_fp_ieee_underflow 0
		.amdhsa_exception_fp_ieee_inexact 0
		.amdhsa_exception_int_div_zero 0
	.end_amdhsa_kernel
	.section	.text._ZL23rocblas_trmm_rTx_kernelILi32ELb0EddKPKdKPdEv13rocblas_fill_17rocblas_diagonal_iiT2_lPT3_llS9_llPT4_lli,"axG",@progbits,_ZL23rocblas_trmm_rTx_kernelILi32ELb0EddKPKdKPdEv13rocblas_fill_17rocblas_diagonal_iiT2_lPT3_llS9_llPT4_lli,comdat
.Lfunc_end165:
	.size	_ZL23rocblas_trmm_rTx_kernelILi32ELb0EddKPKdKPdEv13rocblas_fill_17rocblas_diagonal_iiT2_lPT3_llS9_llPT4_lli, .Lfunc_end165-_ZL23rocblas_trmm_rTx_kernelILi32ELb0EddKPKdKPdEv13rocblas_fill_17rocblas_diagonal_iiT2_lPT3_llS9_llPT4_lli
                                        ; -- End function
	.set _ZL23rocblas_trmm_rTx_kernelILi32ELb0EddKPKdKPdEv13rocblas_fill_17rocblas_diagonal_iiT2_lPT3_llS9_llPT4_lli.num_vgpr, 31
	.set _ZL23rocblas_trmm_rTx_kernelILi32ELb0EddKPKdKPdEv13rocblas_fill_17rocblas_diagonal_iiT2_lPT3_llS9_llPT4_lli.num_agpr, 0
	.set _ZL23rocblas_trmm_rTx_kernelILi32ELb0EddKPKdKPdEv13rocblas_fill_17rocblas_diagonal_iiT2_lPT3_llS9_llPT4_lli.numbered_sgpr, 32
	.set _ZL23rocblas_trmm_rTx_kernelILi32ELb0EddKPKdKPdEv13rocblas_fill_17rocblas_diagonal_iiT2_lPT3_llS9_llPT4_lli.num_named_barrier, 0
	.set _ZL23rocblas_trmm_rTx_kernelILi32ELb0EddKPKdKPdEv13rocblas_fill_17rocblas_diagonal_iiT2_lPT3_llS9_llPT4_lli.private_seg_size, 0
	.set _ZL23rocblas_trmm_rTx_kernelILi32ELb0EddKPKdKPdEv13rocblas_fill_17rocblas_diagonal_iiT2_lPT3_llS9_llPT4_lli.uses_vcc, 1
	.set _ZL23rocblas_trmm_rTx_kernelILi32ELb0EddKPKdKPdEv13rocblas_fill_17rocblas_diagonal_iiT2_lPT3_llS9_llPT4_lli.uses_flat_scratch, 0
	.set _ZL23rocblas_trmm_rTx_kernelILi32ELb0EddKPKdKPdEv13rocblas_fill_17rocblas_diagonal_iiT2_lPT3_llS9_llPT4_lli.has_dyn_sized_stack, 0
	.set _ZL23rocblas_trmm_rTx_kernelILi32ELb0EddKPKdKPdEv13rocblas_fill_17rocblas_diagonal_iiT2_lPT3_llS9_llPT4_lli.has_recursion, 0
	.set _ZL23rocblas_trmm_rTx_kernelILi32ELb0EddKPKdKPdEv13rocblas_fill_17rocblas_diagonal_iiT2_lPT3_llS9_llPT4_lli.has_indirect_call, 0
	.section	.AMDGPU.csdata,"",@progbits
; Kernel info:
; codeLenInByte = 1748
; TotalNumSgprs: 34
; NumVgprs: 31
; ScratchSize: 0
; MemoryBound: 0
; FloatMode: 240
; IeeeMode: 1
; LDSByteSize: 16384 bytes/workgroup (compile time only)
; SGPRBlocks: 0
; VGPRBlocks: 3
; NumSGPRsForWavesPerEU: 34
; NumVGPRsForWavesPerEU: 31
; Occupancy: 16
; WaveLimiterHint : 1
; COMPUTE_PGM_RSRC2:SCRATCH_EN: 0
; COMPUTE_PGM_RSRC2:USER_SGPR: 2
; COMPUTE_PGM_RSRC2:TRAP_HANDLER: 0
; COMPUTE_PGM_RSRC2:TGID_X_EN: 1
; COMPUTE_PGM_RSRC2:TGID_Y_EN: 0
; COMPUTE_PGM_RSRC2:TGID_Z_EN: 1
; COMPUTE_PGM_RSRC2:TIDIG_COMP_CNT: 1
	.section	.text._ZL23rocblas_trmm_rTx_kernelILi32ELb1EdPKdKS1_KPdEv13rocblas_fill_17rocblas_diagonal_iiT2_lPT3_llS9_llPT4_lli,"axG",@progbits,_ZL23rocblas_trmm_rTx_kernelILi32ELb1EdPKdKS1_KPdEv13rocblas_fill_17rocblas_diagonal_iiT2_lPT3_llS9_llPT4_lli,comdat
	.globl	_ZL23rocblas_trmm_rTx_kernelILi32ELb1EdPKdKS1_KPdEv13rocblas_fill_17rocblas_diagonal_iiT2_lPT3_llS9_llPT4_lli ; -- Begin function _ZL23rocblas_trmm_rTx_kernelILi32ELb1EdPKdKS1_KPdEv13rocblas_fill_17rocblas_diagonal_iiT2_lPT3_llS9_llPT4_lli
	.p2align	8
	.type	_ZL23rocblas_trmm_rTx_kernelILi32ELb1EdPKdKS1_KPdEv13rocblas_fill_17rocblas_diagonal_iiT2_lPT3_llS9_llPT4_lli,@function
_ZL23rocblas_trmm_rTx_kernelILi32ELb1EdPKdKS1_KPdEv13rocblas_fill_17rocblas_diagonal_iiT2_lPT3_llS9_llPT4_lli: ; @_ZL23rocblas_trmm_rTx_kernelILi32ELb1EdPKdKS1_KPdEv13rocblas_fill_17rocblas_diagonal_iiT2_lPT3_llS9_llPT4_lli
; %bb.0:
	s_load_b32 s28, s[0:1], 0x68
	s_lshr_b32 s2, ttmp7, 16
	s_wait_kmcnt 0x0
	s_cmp_ge_u32 s2, s28
	s_cbranch_scc1 .LBB166_19
; %bb.1:
	s_clause 0x3
	s_load_b128 s[24:27], s[0:1], 0x0
	s_load_b512 s[4:19], s[0:1], 0x10
	s_load_b128 s[20:23], s[0:1], 0x50
	s_load_b64 s[30:31], s[0:1], 0x60
	v_bfe_u32 v11, v0, 10, 10
	s_delay_alu instid0(VALU_DEP_1) | instskip(NEXT) | instid1(VALU_DEP_1)
	v_lshlrev_b32_e32 v17, 3, v11
	v_add_nc_u32_e32 v20, 0x800, v17
	v_add_nc_u32_e32 v22, 0x1000, v17
	;; [unrolled: 1-line block ×3, first 2 shown]
	s_wait_kmcnt 0x0
	s_add_co_i32 s1, s26, -1
	v_mad_co_u64_u32 v[4:5], null, s16, v11, 0
	v_mad_co_u64_u32 v[6:7], null, s22, v11, 0
	;; [unrolled: 1-line block ×3, first 2 shown]
	s_ashr_i32 s3, s1, 31
	v_dual_mov_b32 v3, v5 :: v_dual_and_b32 v12, 0x3ff, v0
	s_lshr_b32 s3, s3, 27
	v_dual_mov_b32 v5, v7 :: v_dual_lshlrev_b32 v0, 5, v11
	s_add_co_i32 s3, s1, s3
	s_delay_alu instid0(VALU_DEP_2)
	v_mad_co_u64_u32 v[7:8], null, s11, v11, v[2:3]
	s_ashr_i32 s10, s3, 5
	s_and_not1_b32 s3, s3, 31
	v_cmp_gt_i32_e64 s0, s27, v11
	v_cmp_gt_i32_e64 s1, s27, v12
	s_sub_co_i32 s3, s26, s3
	v_mad_co_u64_u32 v[8:9], null, s17, v11, v[3:4]
	s_wait_alu 0xfffe
	s_cmp_ge_i32 ttmp9, s10
	v_mad_co_u64_u32 v[9:10], null, s23, v11, v[5:6]
	s_cselect_b32 s3, s3, 32
	s_and_b32 s26, s0, s1
	v_cmp_gt_i32_e64 s1, s3, v12
	s_lshl_b32 s16, ttmp9, 5
	v_dual_mov_b32 v2, v7 :: v_dual_mov_b32 v5, v8
	v_dual_mov_b32 v7, v9 :: v_dual_lshlrev_b32 v18, 3, v12
	v_add_lshl_u32 v14, v0, v12, 3
	v_cmp_eq_u32_e32 vcc_lo, v11, v12
	s_wait_alu 0xfffe
	s_ashr_i32 s17, s16, 31
	s_and_b32 s27, s0, s1
	v_lshl_add_u32 v16, v12, 3, 0x2000
	s_cmp_eq_u32 s25, 0x84
	v_lshlrev_b64_e32 v[2:3], 3, v[1:2]
	s_cselect_b32 s0, -1, 0
	v_lshlrev_b64_e32 v[4:5], 3, v[4:5]
	v_lshlrev_b64_e32 v[6:7], 3, v[6:7]
	v_dual_mov_b32 v0, 0 :: v_dual_add_nc_u32 v15, 0x2000, v14
	s_and_b32 s25, vcc_lo, s0
	v_cmp_lt_u32_e64 s0, v12, v11
	v_cmp_gt_u32_e64 s1, v12, v11
	v_mov_b32_e32 v1, 0x3ff00000
	v_add_nc_u32_e32 v19, 0x800, v16
	v_add_nc_u32_e32 v21, 0x1000, v16
	;; [unrolled: 1-line block ×3, first 2 shown]
	s_cmp_lg_u32 s24, 0x79
	s_mov_b32 s3, 0
	s_cselect_b32 s24, -1, 0
	s_lshl_b64 s[10:11], s[12:13], 3
	s_lshl_b64 s[12:13], s[18:19], 3
	s_wait_alu 0xfffe
	s_lshl_b64 s[16:17], s[16:17], 3
	s_lshl_b64 s[18:19], s[30:31], 3
	s_branch .LBB166_4
.LBB166_2:                              ;   in Loop: Header=BB166_4 Depth=1
	s_wait_alu 0xfffe
	s_or_b32 exec_lo, exec_lo, s22
.LBB166_3:                              ;   in Loop: Header=BB166_4 Depth=1
	s_add_co_i32 s2, s2, 0x10000
	s_wait_alu 0xfffe
	s_cmp_lt_u32 s2, s28
	s_cbranch_scc0 .LBB166_19
.LBB166_4:                              ; =>This Inner Loop Header: Depth=1
	s_mul_u64 s[22:23], s[6:7], s[2:3]
	s_wait_alu 0xfffe
	s_lshl_b64 s[22:23], s[22:23], 3
	s_wait_alu 0xfffe
	s_add_nc_u64 s[22:23], s[4:5], s[22:23]
	global_load_b64 v[8:9], v0, s[22:23]
	s_wait_loadcnt 0x0
	v_cmp_eq_f64_e32 vcc_lo, 0, v[8:9]
	s_cbranch_vccnz .LBB166_3
; %bb.5:                                ;   in Loop: Header=BB166_4 Depth=1
	s_lshl_b64 s[22:23], s[2:3], 3
	s_wait_alu 0xfffe
	s_add_nc_u64 s[30:31], s[14:15], s[22:23]
	s_add_nc_u64 s[34:35], s[20:21], s[22:23]
	s_clause 0x1
	global_load_b64 v[12:13], v0, s[30:31]
	global_load_b64 v[10:11], v0, s[34:35]
	s_mov_b32 s30, s3
	s_mov_b32 s31, s3
	s_wait_alu 0xfffe
	v_dual_mov_b32 v25, s30 :: v_dual_mov_b32 v26, s31
	ds_store_b64 v14, v[25:26]
	ds_store_b64 v15, v[25:26]
	s_and_saveexec_b32 s29, s26
	s_cbranch_execnz .LBB166_10
; %bb.6:                                ;   in Loop: Header=BB166_4 Depth=1
	s_or_b32 exec_lo, exec_lo, s29
	s_and_saveexec_b32 s22, s27
	s_cbranch_execnz .LBB166_11
.LBB166_7:                              ;   in Loop: Header=BB166_4 Depth=1
	s_wait_alu 0xfffe
	s_or_b32 exec_lo, exec_lo, s22
	s_and_saveexec_b32 s22, s25
	s_cbranch_execnz .LBB166_12
.LBB166_8:                              ;   in Loop: Header=BB166_4 Depth=1
	s_wait_alu 0xfffe
	s_or_b32 exec_lo, exec_lo, s22
	s_delay_alu instid0(SALU_CYCLE_1)
	s_and_b32 vcc_lo, exec_lo, s24
	s_wait_alu 0xfffe
	s_cbranch_vccz .LBB166_13
.LBB166_9:                              ;   in Loop: Header=BB166_4 Depth=1
	s_and_b32 s22, s0, exec_lo
	s_cbranch_execz .LBB166_14
	s_branch .LBB166_15
.LBB166_10:                             ;   in Loop: Header=BB166_4 Depth=1
	s_add_nc_u64 s[22:23], s[8:9], s[22:23]
	global_load_b64 v[25:26], v0, s[22:23]
	s_wait_loadcnt 0x0
	v_add_co_u32 v25, vcc_lo, v25, s10
	s_wait_alu 0xfffd
	v_add_co_ci_u32_e64 v26, null, s11, v26, vcc_lo
	s_delay_alu instid0(VALU_DEP_2) | instskip(SKIP_1) | instid1(VALU_DEP_2)
	v_add_co_u32 v25, vcc_lo, v25, v2
	s_wait_alu 0xfffd
	v_add_co_ci_u32_e64 v26, null, v26, v3, vcc_lo
	s_delay_alu instid0(VALU_DEP_2) | instskip(SKIP_1) | instid1(VALU_DEP_2)
	v_add_co_u32 v25, vcc_lo, v25, v18
	s_wait_alu 0xfffd
	v_add_co_ci_u32_e64 v26, null, 0, v26, vcc_lo
	flat_load_b64 v[25:26], v[25:26]
	s_wait_loadcnt_dscnt 0x0
	ds_store_b64 v14, v[25:26]
	s_or_b32 exec_lo, exec_lo, s29
	s_and_saveexec_b32 s22, s27
	s_cbranch_execz .LBB166_7
.LBB166_11:                             ;   in Loop: Header=BB166_4 Depth=1
	s_wait_loadcnt 0x1
	v_add_co_u32 v12, vcc_lo, v12, s12
	s_wait_alu 0xfffd
	v_add_co_ci_u32_e64 v13, null, s13, v13, vcc_lo
	s_delay_alu instid0(VALU_DEP_2) | instskip(SKIP_1) | instid1(VALU_DEP_2)
	v_add_co_u32 v12, vcc_lo, v12, s16
	s_wait_alu 0xfffd
	v_add_co_ci_u32_e64 v13, null, s17, v13, vcc_lo
	s_delay_alu instid0(VALU_DEP_2) | instskip(SKIP_1) | instid1(VALU_DEP_2)
	;; [unrolled: 4-line block ×3, first 2 shown]
	v_add_co_u32 v12, vcc_lo, v12, v18
	s_wait_alu 0xfffd
	v_add_co_ci_u32_e64 v13, null, 0, v13, vcc_lo
	flat_load_b64 v[12:13], v[12:13]
	s_wait_loadcnt_dscnt 0x0
	ds_store_b64 v15, v[12:13]
	s_wait_alu 0xfffe
	s_or_b32 exec_lo, exec_lo, s22
	s_and_saveexec_b32 s22, s25
	s_cbranch_execz .LBB166_8
.LBB166_12:                             ;   in Loop: Header=BB166_4 Depth=1
	ds_store_b64 v14, v[0:1]
	s_wait_alu 0xfffe
	s_or_b32 exec_lo, exec_lo, s22
	s_delay_alu instid0(SALU_CYCLE_1)
	s_and_b32 vcc_lo, exec_lo, s24
	s_wait_alu 0xfffe
	s_cbranch_vccnz .LBB166_9
.LBB166_13:                             ;   in Loop: Header=BB166_4 Depth=1
	s_mov_b32 s22, 0
.LBB166_14:                             ;   in Loop: Header=BB166_4 Depth=1
	s_wait_alu 0xfffe
	s_and_not1_b32 s22, s22, exec_lo
	s_and_b32 s23, s1, exec_lo
	s_wait_alu 0xfffe
	s_or_b32 s22, s22, s23
.LBB166_15:                             ;   in Loop: Header=BB166_4 Depth=1
	s_wait_alu 0xfffe
	s_and_saveexec_b32 s23, s22
	s_cbranch_execz .LBB166_17
; %bb.16:                               ;   in Loop: Header=BB166_4 Depth=1
	s_wait_loadcnt 0x1
	v_dual_mov_b32 v12, v0 :: v_dual_mov_b32 v13, v0
	ds_store_b64 v14, v[12:13]
.LBB166_17:                             ;   in Loop: Header=BB166_4 Depth=1
	s_wait_alu 0xfffe
	s_or_b32 exec_lo, exec_lo, s23
	s_wait_loadcnt_dscnt 0x0
	s_barrier_signal -1
	s_barrier_wait -1
	global_inv scope:SCOPE_SE
	s_and_saveexec_b32 s22, s27
	s_cbranch_execz .LBB166_2
; %bb.18:                               ;   in Loop: Header=BB166_4 Depth=1
	ds_load_2addr_b64 v[25:28], v16 offset1:32
	ds_load_2addr_b64 v[29:32], v17 offset1:32
	v_add_co_u32 v10, vcc_lo, v10, s18
	s_wait_alu 0xfffd
	v_add_co_ci_u32_e64 v11, null, s19, v11, vcc_lo
	s_delay_alu instid0(VALU_DEP_2) | instskip(SKIP_1) | instid1(VALU_DEP_2)
	v_add_co_u32 v10, vcc_lo, v10, s16
	s_wait_alu 0xfffd
	v_add_co_ci_u32_e64 v11, null, s17, v11, vcc_lo
	s_delay_alu instid0(VALU_DEP_2) | instskip(SKIP_1) | instid1(VALU_DEP_2)
	;; [unrolled: 4-line block ×3, first 2 shown]
	v_add_co_u32 v10, vcc_lo, v10, v18
	s_wait_alu 0xfffd
	v_add_co_ci_u32_e64 v11, null, 0, v11, vcc_lo
	s_wait_dscnt 0x0
	v_fma_f64 v[12:13], v[25:26], v[29:30], 0
	s_delay_alu instid0(VALU_DEP_1) | instskip(SKIP_4) | instid1(VALU_DEP_1)
	v_fma_f64 v[12:13], v[27:28], v[31:32], v[12:13]
	ds_load_2addr_b64 v[25:28], v16 offset0:64 offset1:96
	ds_load_2addr_b64 v[29:32], v17 offset0:64 offset1:96
	s_wait_dscnt 0x0
	v_fma_f64 v[12:13], v[25:26], v[29:30], v[12:13]
	v_fma_f64 v[12:13], v[27:28], v[31:32], v[12:13]
	ds_load_2addr_b64 v[25:28], v16 offset0:128 offset1:160
	ds_load_2addr_b64 v[29:32], v17 offset0:128 offset1:160
	s_wait_dscnt 0x0
	v_fma_f64 v[12:13], v[25:26], v[29:30], v[12:13]
	s_delay_alu instid0(VALU_DEP_1) | instskip(SKIP_4) | instid1(VALU_DEP_1)
	v_fma_f64 v[12:13], v[27:28], v[31:32], v[12:13]
	ds_load_2addr_b64 v[25:28], v16 offset0:192 offset1:224
	ds_load_2addr_b64 v[29:32], v17 offset0:192 offset1:224
	s_wait_dscnt 0x0
	v_fma_f64 v[12:13], v[25:26], v[29:30], v[12:13]
	v_fma_f64 v[12:13], v[27:28], v[31:32], v[12:13]
	ds_load_2addr_b64 v[25:28], v19 offset1:32
	ds_load_2addr_b64 v[29:32], v20 offset1:32
	s_wait_dscnt 0x0
	v_fma_f64 v[12:13], v[25:26], v[29:30], v[12:13]
	s_delay_alu instid0(VALU_DEP_1) | instskip(SKIP_4) | instid1(VALU_DEP_1)
	v_fma_f64 v[12:13], v[27:28], v[31:32], v[12:13]
	ds_load_2addr_b64 v[25:28], v19 offset0:64 offset1:96
	ds_load_2addr_b64 v[29:32], v20 offset0:64 offset1:96
	s_wait_dscnt 0x0
	v_fma_f64 v[12:13], v[25:26], v[29:30], v[12:13]
	v_fma_f64 v[12:13], v[27:28], v[31:32], v[12:13]
	ds_load_2addr_b64 v[25:28], v19 offset0:128 offset1:160
	ds_load_2addr_b64 v[29:32], v20 offset0:128 offset1:160
	s_wait_dscnt 0x0
	v_fma_f64 v[12:13], v[25:26], v[29:30], v[12:13]
	s_delay_alu instid0(VALU_DEP_1) | instskip(SKIP_4) | instid1(VALU_DEP_1)
	v_fma_f64 v[12:13], v[27:28], v[31:32], v[12:13]
	ds_load_2addr_b64 v[25:28], v19 offset0:192 offset1:224
	ds_load_2addr_b64 v[29:32], v20 offset0:192 offset1:224
	s_wait_dscnt 0x0
	v_fma_f64 v[12:13], v[25:26], v[29:30], v[12:13]
	v_fma_f64 v[12:13], v[27:28], v[31:32], v[12:13]
	ds_load_2addr_b64 v[25:28], v21 offset1:32
	ds_load_2addr_b64 v[29:32], v22 offset1:32
	;; [unrolled: 22-line block ×3, first 2 shown]
	s_wait_dscnt 0x0
	v_fma_f64 v[12:13], v[25:26], v[29:30], v[12:13]
	s_delay_alu instid0(VALU_DEP_1) | instskip(SKIP_4) | instid1(VALU_DEP_1)
	v_fma_f64 v[12:13], v[27:28], v[31:32], v[12:13]
	ds_load_2addr_b64 v[25:28], v23 offset0:64 offset1:96
	ds_load_2addr_b64 v[29:32], v24 offset0:64 offset1:96
	s_wait_dscnt 0x0
	v_fma_f64 v[12:13], v[25:26], v[29:30], v[12:13]
	v_fma_f64 v[12:13], v[27:28], v[31:32], v[12:13]
	ds_load_2addr_b64 v[25:28], v23 offset0:128 offset1:160
	ds_load_2addr_b64 v[29:32], v24 offset0:128 offset1:160
	s_wait_dscnt 0x0
	v_fma_f64 v[12:13], v[25:26], v[29:30], v[12:13]
	s_delay_alu instid0(VALU_DEP_1) | instskip(SKIP_4) | instid1(VALU_DEP_1)
	v_fma_f64 v[12:13], v[27:28], v[31:32], v[12:13]
	ds_load_2addr_b64 v[25:28], v23 offset0:192 offset1:224
	ds_load_2addr_b64 v[29:32], v24 offset0:192 offset1:224
	s_wait_dscnt 0x0
	v_fma_f64 v[12:13], v[25:26], v[29:30], v[12:13]
	v_fma_f64 v[12:13], v[27:28], v[31:32], v[12:13]
	s_delay_alu instid0(VALU_DEP_1)
	v_mul_f64_e32 v[8:9], v[8:9], v[12:13]
	flat_store_b64 v[10:11], v[8:9]
	s_branch .LBB166_2
.LBB166_19:
	s_endpgm
	.section	.rodata,"a",@progbits
	.p2align	6, 0x0
	.amdhsa_kernel _ZL23rocblas_trmm_rTx_kernelILi32ELb1EdPKdKS1_KPdEv13rocblas_fill_17rocblas_diagonal_iiT2_lPT3_llS9_llPT4_lli
		.amdhsa_group_segment_fixed_size 16384
		.amdhsa_private_segment_fixed_size 0
		.amdhsa_kernarg_size 108
		.amdhsa_user_sgpr_count 2
		.amdhsa_user_sgpr_dispatch_ptr 0
		.amdhsa_user_sgpr_queue_ptr 0
		.amdhsa_user_sgpr_kernarg_segment_ptr 1
		.amdhsa_user_sgpr_dispatch_id 0
		.amdhsa_user_sgpr_private_segment_size 0
		.amdhsa_wavefront_size32 1
		.amdhsa_uses_dynamic_stack 0
		.amdhsa_enable_private_segment 0
		.amdhsa_system_sgpr_workgroup_id_x 1
		.amdhsa_system_sgpr_workgroup_id_y 0
		.amdhsa_system_sgpr_workgroup_id_z 1
		.amdhsa_system_sgpr_workgroup_info 0
		.amdhsa_system_vgpr_workitem_id 1
		.amdhsa_next_free_vgpr 33
		.amdhsa_next_free_sgpr 36
		.amdhsa_reserve_vcc 1
		.amdhsa_float_round_mode_32 0
		.amdhsa_float_round_mode_16_64 0
		.amdhsa_float_denorm_mode_32 3
		.amdhsa_float_denorm_mode_16_64 3
		.amdhsa_fp16_overflow 0
		.amdhsa_workgroup_processor_mode 1
		.amdhsa_memory_ordered 1
		.amdhsa_forward_progress 1
		.amdhsa_inst_pref_size 14
		.amdhsa_round_robin_scheduling 0
		.amdhsa_exception_fp_ieee_invalid_op 0
		.amdhsa_exception_fp_denorm_src 0
		.amdhsa_exception_fp_ieee_div_zero 0
		.amdhsa_exception_fp_ieee_overflow 0
		.amdhsa_exception_fp_ieee_underflow 0
		.amdhsa_exception_fp_ieee_inexact 0
		.amdhsa_exception_int_div_zero 0
	.end_amdhsa_kernel
	.section	.text._ZL23rocblas_trmm_rTx_kernelILi32ELb1EdPKdKS1_KPdEv13rocblas_fill_17rocblas_diagonal_iiT2_lPT3_llS9_llPT4_lli,"axG",@progbits,_ZL23rocblas_trmm_rTx_kernelILi32ELb1EdPKdKS1_KPdEv13rocblas_fill_17rocblas_diagonal_iiT2_lPT3_llS9_llPT4_lli,comdat
.Lfunc_end166:
	.size	_ZL23rocblas_trmm_rTx_kernelILi32ELb1EdPKdKS1_KPdEv13rocblas_fill_17rocblas_diagonal_iiT2_lPT3_llS9_llPT4_lli, .Lfunc_end166-_ZL23rocblas_trmm_rTx_kernelILi32ELb1EdPKdKS1_KPdEv13rocblas_fill_17rocblas_diagonal_iiT2_lPT3_llS9_llPT4_lli
                                        ; -- End function
	.set _ZL23rocblas_trmm_rTx_kernelILi32ELb1EdPKdKS1_KPdEv13rocblas_fill_17rocblas_diagonal_iiT2_lPT3_llS9_llPT4_lli.num_vgpr, 33
	.set _ZL23rocblas_trmm_rTx_kernelILi32ELb1EdPKdKS1_KPdEv13rocblas_fill_17rocblas_diagonal_iiT2_lPT3_llS9_llPT4_lli.num_agpr, 0
	.set _ZL23rocblas_trmm_rTx_kernelILi32ELb1EdPKdKS1_KPdEv13rocblas_fill_17rocblas_diagonal_iiT2_lPT3_llS9_llPT4_lli.numbered_sgpr, 36
	.set _ZL23rocblas_trmm_rTx_kernelILi32ELb1EdPKdKS1_KPdEv13rocblas_fill_17rocblas_diagonal_iiT2_lPT3_llS9_llPT4_lli.num_named_barrier, 0
	.set _ZL23rocblas_trmm_rTx_kernelILi32ELb1EdPKdKS1_KPdEv13rocblas_fill_17rocblas_diagonal_iiT2_lPT3_llS9_llPT4_lli.private_seg_size, 0
	.set _ZL23rocblas_trmm_rTx_kernelILi32ELb1EdPKdKS1_KPdEv13rocblas_fill_17rocblas_diagonal_iiT2_lPT3_llS9_llPT4_lli.uses_vcc, 1
	.set _ZL23rocblas_trmm_rTx_kernelILi32ELb1EdPKdKS1_KPdEv13rocblas_fill_17rocblas_diagonal_iiT2_lPT3_llS9_llPT4_lli.uses_flat_scratch, 0
	.set _ZL23rocblas_trmm_rTx_kernelILi32ELb1EdPKdKS1_KPdEv13rocblas_fill_17rocblas_diagonal_iiT2_lPT3_llS9_llPT4_lli.has_dyn_sized_stack, 0
	.set _ZL23rocblas_trmm_rTx_kernelILi32ELb1EdPKdKS1_KPdEv13rocblas_fill_17rocblas_diagonal_iiT2_lPT3_llS9_llPT4_lli.has_recursion, 0
	.set _ZL23rocblas_trmm_rTx_kernelILi32ELb1EdPKdKS1_KPdEv13rocblas_fill_17rocblas_diagonal_iiT2_lPT3_llS9_llPT4_lli.has_indirect_call, 0
	.section	.AMDGPU.csdata,"",@progbits
; Kernel info:
; codeLenInByte = 1768
; TotalNumSgprs: 38
; NumVgprs: 33
; ScratchSize: 0
; MemoryBound: 0
; FloatMode: 240
; IeeeMode: 1
; LDSByteSize: 16384 bytes/workgroup (compile time only)
; SGPRBlocks: 0
; VGPRBlocks: 4
; NumSGPRsForWavesPerEU: 38
; NumVGPRsForWavesPerEU: 33
; Occupancy: 16
; WaveLimiterHint : 1
; COMPUTE_PGM_RSRC2:SCRATCH_EN: 0
; COMPUTE_PGM_RSRC2:USER_SGPR: 2
; COMPUTE_PGM_RSRC2:TRAP_HANDLER: 0
; COMPUTE_PGM_RSRC2:TGID_X_EN: 1
; COMPUTE_PGM_RSRC2:TGID_Y_EN: 0
; COMPUTE_PGM_RSRC2:TGID_Z_EN: 1
; COMPUTE_PGM_RSRC2:TIDIG_COMP_CNT: 1
	.section	.text._ZL23rocblas_trmm_rTx_kernelILi32ELb1EddKPKdKPdEv13rocblas_fill_17rocblas_diagonal_iiT2_lPT3_llS9_llPT4_lli,"axG",@progbits,_ZL23rocblas_trmm_rTx_kernelILi32ELb1EddKPKdKPdEv13rocblas_fill_17rocblas_diagonal_iiT2_lPT3_llS9_llPT4_lli,comdat
	.globl	_ZL23rocblas_trmm_rTx_kernelILi32ELb1EddKPKdKPdEv13rocblas_fill_17rocblas_diagonal_iiT2_lPT3_llS9_llPT4_lli ; -- Begin function _ZL23rocblas_trmm_rTx_kernelILi32ELb1EddKPKdKPdEv13rocblas_fill_17rocblas_diagonal_iiT2_lPT3_llS9_llPT4_lli
	.p2align	8
	.type	_ZL23rocblas_trmm_rTx_kernelILi32ELb1EddKPKdKPdEv13rocblas_fill_17rocblas_diagonal_iiT2_lPT3_llS9_llPT4_lli,@function
_ZL23rocblas_trmm_rTx_kernelILi32ELb1EddKPKdKPdEv13rocblas_fill_17rocblas_diagonal_iiT2_lPT3_llS9_llPT4_lli: ; @_ZL23rocblas_trmm_rTx_kernelILi32ELb1EddKPKdKPdEv13rocblas_fill_17rocblas_diagonal_iiT2_lPT3_llS9_llPT4_lli
; %bb.0:
	s_load_b32 s26, s[0:1], 0x68
	s_lshr_b32 s2, ttmp7, 16
	s_wait_kmcnt 0x0
	s_cmp_ge_u32 s2, s26
	s_cbranch_scc1 .LBB167_19
; %bb.1:
	s_clause 0x3
	s_load_b128 s[20:23], s[0:1], 0x0
	s_load_b512 s[4:19], s[0:1], 0x20
	s_load_b64 s[24:25], s[0:1], 0x10
	s_load_b64 s[28:29], s[0:1], 0x60
	v_bfe_u32 v11, v0, 10, 10
	s_delay_alu instid0(VALU_DEP_1) | instskip(NEXT) | instid1(VALU_DEP_1)
	v_lshlrev_b32_e32 v15, 3, v11
	v_add_nc_u32_e32 v18, 0x800, v15
	v_add_nc_u32_e32 v20, 0x1000, v15
	;; [unrolled: 1-line block ×3, first 2 shown]
	s_wait_kmcnt 0x0
	s_add_co_i32 s1, s22, -1
	v_cmp_neq_f64_e64 s27, s[24:25], 0
	v_mad_co_u64_u32 v[4:5], null, s12, v11, 0
	v_mad_co_u64_u32 v[6:7], null, s18, v11, 0
	;; [unrolled: 1-line block ×3, first 2 shown]
	s_ashr_i32 s3, s1, 31
	v_dual_mov_b32 v3, v5 :: v_dual_and_b32 v16, 0x3ff, v0
	s_lshr_b32 s3, s3, 27
	v_dual_mov_b32 v5, v7 :: v_dual_lshlrev_b32 v0, 5, v11
	s_add_co_i32 s3, s1, s3
	v_cmp_gt_i32_e64 s0, s23, v11
	s_ashr_i32 s6, s3, 5
	s_and_not1_b32 s3, s3, 31
	v_cmp_gt_i32_e64 s1, s23, v16
	s_sub_co_i32 s3, s22, s3
	v_mad_co_u64_u32 v[7:8], null, s7, v11, v[2:3]
	s_wait_alu 0xfffe
	s_cmp_ge_i32 ttmp9, s6
	v_mad_co_u64_u32 v[8:9], null, s13, v11, v[3:4]
	v_mad_co_u64_u32 v[9:10], null, s19, v11, v[5:6]
	s_cselect_b32 s3, s3, 32
	s_and_b32 s22, s0, s1
	v_cmp_gt_i32_e64 s1, s3, v16
	s_lshl_b32 s12, ttmp9, 5
	v_cmp_eq_u32_e32 vcc_lo, v11, v16
	s_wait_alu 0xfffe
	s_ashr_i32 s13, s12, 31
	v_dual_mov_b32 v2, v7 :: v_dual_mov_b32 v5, v8
	s_and_b32 s23, s0, s1
	v_mov_b32_e32 v7, v9
	v_add_lshl_u32 v12, v0, v16, 3
	s_cmp_eq_u32 s21, 0x84
	v_lshl_add_u32 v14, v16, 3, 0x2000
	s_cselect_b32 s0, -1, 0
	v_cmp_gt_u32_e64 s1, v16, v11
	s_and_b32 s21, vcc_lo, s0
	v_cmp_lt_u32_e64 s0, v16, v11
	v_lshlrev_b64_e32 v[2:3], 3, v[1:2]
	v_lshlrev_b64_e32 v[4:5], 3, v[4:5]
	v_lshlrev_b32_e32 v16, 3, v16
	v_lshlrev_b64_e32 v[6:7], 3, v[6:7]
	v_dual_mov_b32 v0, 0 :: v_dual_add_nc_u32 v13, 0x2000, v12
	v_mov_b32_e32 v1, 0x3ff00000
	v_add_nc_u32_e32 v17, 0x800, v14
	v_add_nc_u32_e32 v19, 0x1000, v14
	;; [unrolled: 1-line block ×3, first 2 shown]
	s_cmp_lg_u32 s20, 0x79
	s_mov_b32 s3, 0
	s_cselect_b32 s20, -1, 0
	s_lshl_b64 s[6:7], s[8:9], 3
	s_lshl_b64 s[8:9], s[14:15], 3
	s_wait_alu 0xfffe
	s_lshl_b64 s[12:13], s[12:13], 3
	s_lshl_b64 s[14:15], s[28:29], 3
	s_branch .LBB167_4
.LBB167_2:                              ;   in Loop: Header=BB167_4 Depth=1
	s_wait_alu 0xfffe
	s_or_b32 exec_lo, exec_lo, s18
.LBB167_3:                              ;   in Loop: Header=BB167_4 Depth=1
	s_add_co_i32 s2, s2, 0x10000
	s_wait_alu 0xfffe
	s_cmp_lt_u32 s2, s26
	s_cbranch_scc0 .LBB167_19
.LBB167_4:                              ; =>This Inner Loop Header: Depth=1
	s_and_not1_b32 vcc_lo, exec_lo, s27
	s_wait_alu 0xfffe
	s_cbranch_vccnz .LBB167_3
; %bb.5:                                ;   in Loop: Header=BB167_4 Depth=1
	s_lshl_b64 s[18:19], s[2:3], 3
	s_wait_alu 0xfffe
	s_add_nc_u64 s[28:29], s[10:11], s[18:19]
	s_add_nc_u64 s[30:31], s[16:17], s[18:19]
	s_clause 0x1
	global_load_b64 v[10:11], v0, s[28:29]
	global_load_b64 v[8:9], v0, s[30:31]
	s_mov_b32 s28, s3
	s_mov_b32 s29, s3
	s_wait_alu 0xfffe
	v_dual_mov_b32 v23, s28 :: v_dual_mov_b32 v24, s29
	ds_store_b64 v12, v[23:24]
	ds_store_b64 v13, v[23:24]
	s_and_saveexec_b32 s28, s22
	s_cbranch_execnz .LBB167_10
; %bb.6:                                ;   in Loop: Header=BB167_4 Depth=1
	s_wait_alu 0xfffe
	s_or_b32 exec_lo, exec_lo, s28
	s_and_saveexec_b32 s18, s23
	s_cbranch_execnz .LBB167_11
.LBB167_7:                              ;   in Loop: Header=BB167_4 Depth=1
	s_wait_alu 0xfffe
	s_or_b32 exec_lo, exec_lo, s18
	s_and_saveexec_b32 s18, s21
	s_cbranch_execnz .LBB167_12
.LBB167_8:                              ;   in Loop: Header=BB167_4 Depth=1
	s_wait_alu 0xfffe
	s_or_b32 exec_lo, exec_lo, s18
	s_delay_alu instid0(SALU_CYCLE_1)
	s_and_b32 vcc_lo, exec_lo, s20
	s_wait_alu 0xfffe
	s_cbranch_vccz .LBB167_13
.LBB167_9:                              ;   in Loop: Header=BB167_4 Depth=1
	s_and_b32 s18, s0, exec_lo
	s_cbranch_execz .LBB167_14
	s_branch .LBB167_15
.LBB167_10:                             ;   in Loop: Header=BB167_4 Depth=1
	s_add_nc_u64 s[18:19], s[4:5], s[18:19]
	global_load_b64 v[23:24], v0, s[18:19]
	s_wait_loadcnt 0x0
	v_add_co_u32 v23, vcc_lo, v23, s6
	s_wait_alu 0xfffd
	v_add_co_ci_u32_e64 v24, null, s7, v24, vcc_lo
	s_delay_alu instid0(VALU_DEP_2) | instskip(SKIP_1) | instid1(VALU_DEP_2)
	v_add_co_u32 v23, vcc_lo, v23, v2
	s_wait_alu 0xfffd
	v_add_co_ci_u32_e64 v24, null, v24, v3, vcc_lo
	s_delay_alu instid0(VALU_DEP_2) | instskip(SKIP_1) | instid1(VALU_DEP_2)
	v_add_co_u32 v23, vcc_lo, v23, v16
	s_wait_alu 0xfffd
	v_add_co_ci_u32_e64 v24, null, 0, v24, vcc_lo
	flat_load_b64 v[23:24], v[23:24]
	s_wait_loadcnt_dscnt 0x0
	ds_store_b64 v12, v[23:24]
	s_wait_alu 0xfffe
	s_or_b32 exec_lo, exec_lo, s28
	s_and_saveexec_b32 s18, s23
	s_cbranch_execz .LBB167_7
.LBB167_11:                             ;   in Loop: Header=BB167_4 Depth=1
	s_wait_loadcnt 0x1
	v_add_co_u32 v10, vcc_lo, v10, s8
	s_wait_alu 0xfffd
	v_add_co_ci_u32_e64 v11, null, s9, v11, vcc_lo
	s_delay_alu instid0(VALU_DEP_2) | instskip(SKIP_1) | instid1(VALU_DEP_2)
	v_add_co_u32 v10, vcc_lo, v10, s12
	s_wait_alu 0xfffd
	v_add_co_ci_u32_e64 v11, null, s13, v11, vcc_lo
	s_delay_alu instid0(VALU_DEP_2) | instskip(SKIP_1) | instid1(VALU_DEP_2)
	;; [unrolled: 4-line block ×3, first 2 shown]
	v_add_co_u32 v10, vcc_lo, v10, v16
	s_wait_alu 0xfffd
	v_add_co_ci_u32_e64 v11, null, 0, v11, vcc_lo
	flat_load_b64 v[10:11], v[10:11]
	s_wait_loadcnt_dscnt 0x0
	ds_store_b64 v13, v[10:11]
	s_wait_alu 0xfffe
	s_or_b32 exec_lo, exec_lo, s18
	s_and_saveexec_b32 s18, s21
	s_cbranch_execz .LBB167_8
.LBB167_12:                             ;   in Loop: Header=BB167_4 Depth=1
	ds_store_b64 v12, v[0:1]
	s_wait_alu 0xfffe
	s_or_b32 exec_lo, exec_lo, s18
	s_delay_alu instid0(SALU_CYCLE_1)
	s_and_b32 vcc_lo, exec_lo, s20
	s_wait_alu 0xfffe
	s_cbranch_vccnz .LBB167_9
.LBB167_13:                             ;   in Loop: Header=BB167_4 Depth=1
	s_mov_b32 s18, 0
.LBB167_14:                             ;   in Loop: Header=BB167_4 Depth=1
	s_wait_alu 0xfffe
	s_and_not1_b32 s18, s18, exec_lo
	s_and_b32 s19, s1, exec_lo
	s_wait_alu 0xfffe
	s_or_b32 s18, s18, s19
.LBB167_15:                             ;   in Loop: Header=BB167_4 Depth=1
	s_wait_alu 0xfffe
	s_and_saveexec_b32 s19, s18
	s_cbranch_execz .LBB167_17
; %bb.16:                               ;   in Loop: Header=BB167_4 Depth=1
	s_wait_loadcnt 0x1
	v_dual_mov_b32 v10, v0 :: v_dual_mov_b32 v11, v0
	ds_store_b64 v12, v[10:11]
.LBB167_17:                             ;   in Loop: Header=BB167_4 Depth=1
	s_wait_alu 0xfffe
	s_or_b32 exec_lo, exec_lo, s19
	s_wait_loadcnt_dscnt 0x0
	s_barrier_signal -1
	s_barrier_wait -1
	global_inv scope:SCOPE_SE
	s_and_saveexec_b32 s18, s23
	s_cbranch_execz .LBB167_2
; %bb.18:                               ;   in Loop: Header=BB167_4 Depth=1
	ds_load_2addr_b64 v[23:26], v14 offset1:32
	ds_load_2addr_b64 v[27:30], v15 offset1:32
	v_add_co_u32 v8, vcc_lo, v8, s14
	s_wait_alu 0xfffd
	v_add_co_ci_u32_e64 v9, null, s15, v9, vcc_lo
	s_delay_alu instid0(VALU_DEP_2) | instskip(SKIP_1) | instid1(VALU_DEP_2)
	v_add_co_u32 v8, vcc_lo, v8, s12
	s_wait_alu 0xfffd
	v_add_co_ci_u32_e64 v9, null, s13, v9, vcc_lo
	s_delay_alu instid0(VALU_DEP_2) | instskip(SKIP_1) | instid1(VALU_DEP_2)
	;; [unrolled: 4-line block ×3, first 2 shown]
	v_add_co_u32 v8, vcc_lo, v8, v16
	s_wait_alu 0xfffd
	v_add_co_ci_u32_e64 v9, null, 0, v9, vcc_lo
	s_wait_dscnt 0x0
	v_fma_f64 v[10:11], v[23:24], v[27:28], 0
	s_delay_alu instid0(VALU_DEP_1) | instskip(SKIP_4) | instid1(VALU_DEP_1)
	v_fma_f64 v[10:11], v[25:26], v[29:30], v[10:11]
	ds_load_2addr_b64 v[23:26], v14 offset0:64 offset1:96
	ds_load_2addr_b64 v[27:30], v15 offset0:64 offset1:96
	s_wait_dscnt 0x0
	v_fma_f64 v[10:11], v[23:24], v[27:28], v[10:11]
	v_fma_f64 v[10:11], v[25:26], v[29:30], v[10:11]
	ds_load_2addr_b64 v[23:26], v14 offset0:128 offset1:160
	ds_load_2addr_b64 v[27:30], v15 offset0:128 offset1:160
	s_wait_dscnt 0x0
	v_fma_f64 v[10:11], v[23:24], v[27:28], v[10:11]
	s_delay_alu instid0(VALU_DEP_1) | instskip(SKIP_4) | instid1(VALU_DEP_1)
	v_fma_f64 v[10:11], v[25:26], v[29:30], v[10:11]
	ds_load_2addr_b64 v[23:26], v14 offset0:192 offset1:224
	ds_load_2addr_b64 v[27:30], v15 offset0:192 offset1:224
	s_wait_dscnt 0x0
	v_fma_f64 v[10:11], v[23:24], v[27:28], v[10:11]
	v_fma_f64 v[10:11], v[25:26], v[29:30], v[10:11]
	ds_load_2addr_b64 v[23:26], v17 offset1:32
	ds_load_2addr_b64 v[27:30], v18 offset1:32
	s_wait_dscnt 0x0
	v_fma_f64 v[10:11], v[23:24], v[27:28], v[10:11]
	s_delay_alu instid0(VALU_DEP_1) | instskip(SKIP_4) | instid1(VALU_DEP_1)
	v_fma_f64 v[10:11], v[25:26], v[29:30], v[10:11]
	ds_load_2addr_b64 v[23:26], v17 offset0:64 offset1:96
	ds_load_2addr_b64 v[27:30], v18 offset0:64 offset1:96
	s_wait_dscnt 0x0
	v_fma_f64 v[10:11], v[23:24], v[27:28], v[10:11]
	v_fma_f64 v[10:11], v[25:26], v[29:30], v[10:11]
	ds_load_2addr_b64 v[23:26], v17 offset0:128 offset1:160
	ds_load_2addr_b64 v[27:30], v18 offset0:128 offset1:160
	s_wait_dscnt 0x0
	v_fma_f64 v[10:11], v[23:24], v[27:28], v[10:11]
	s_delay_alu instid0(VALU_DEP_1) | instskip(SKIP_4) | instid1(VALU_DEP_1)
	v_fma_f64 v[10:11], v[25:26], v[29:30], v[10:11]
	ds_load_2addr_b64 v[23:26], v17 offset0:192 offset1:224
	ds_load_2addr_b64 v[27:30], v18 offset0:192 offset1:224
	s_wait_dscnt 0x0
	v_fma_f64 v[10:11], v[23:24], v[27:28], v[10:11]
	v_fma_f64 v[10:11], v[25:26], v[29:30], v[10:11]
	ds_load_2addr_b64 v[23:26], v19 offset1:32
	ds_load_2addr_b64 v[27:30], v20 offset1:32
	;; [unrolled: 22-line block ×3, first 2 shown]
	s_wait_dscnt 0x0
	v_fma_f64 v[10:11], v[23:24], v[27:28], v[10:11]
	s_delay_alu instid0(VALU_DEP_1) | instskip(SKIP_4) | instid1(VALU_DEP_1)
	v_fma_f64 v[10:11], v[25:26], v[29:30], v[10:11]
	ds_load_2addr_b64 v[23:26], v21 offset0:64 offset1:96
	ds_load_2addr_b64 v[27:30], v22 offset0:64 offset1:96
	s_wait_dscnt 0x0
	v_fma_f64 v[10:11], v[23:24], v[27:28], v[10:11]
	v_fma_f64 v[10:11], v[25:26], v[29:30], v[10:11]
	ds_load_2addr_b64 v[23:26], v21 offset0:128 offset1:160
	ds_load_2addr_b64 v[27:30], v22 offset0:128 offset1:160
	s_wait_dscnt 0x0
	v_fma_f64 v[10:11], v[23:24], v[27:28], v[10:11]
	s_delay_alu instid0(VALU_DEP_1) | instskip(SKIP_4) | instid1(VALU_DEP_1)
	v_fma_f64 v[10:11], v[25:26], v[29:30], v[10:11]
	ds_load_2addr_b64 v[23:26], v21 offset0:192 offset1:224
	ds_load_2addr_b64 v[27:30], v22 offset0:192 offset1:224
	s_wait_dscnt 0x0
	v_fma_f64 v[10:11], v[23:24], v[27:28], v[10:11]
	v_fma_f64 v[10:11], v[25:26], v[29:30], v[10:11]
	s_delay_alu instid0(VALU_DEP_1)
	v_mul_f64_e32 v[10:11], s[24:25], v[10:11]
	flat_store_b64 v[8:9], v[10:11]
	s_branch .LBB167_2
.LBB167_19:
	s_endpgm
	.section	.rodata,"a",@progbits
	.p2align	6, 0x0
	.amdhsa_kernel _ZL23rocblas_trmm_rTx_kernelILi32ELb1EddKPKdKPdEv13rocblas_fill_17rocblas_diagonal_iiT2_lPT3_llS9_llPT4_lli
		.amdhsa_group_segment_fixed_size 16384
		.amdhsa_private_segment_fixed_size 0
		.amdhsa_kernarg_size 108
		.amdhsa_user_sgpr_count 2
		.amdhsa_user_sgpr_dispatch_ptr 0
		.amdhsa_user_sgpr_queue_ptr 0
		.amdhsa_user_sgpr_kernarg_segment_ptr 1
		.amdhsa_user_sgpr_dispatch_id 0
		.amdhsa_user_sgpr_private_segment_size 0
		.amdhsa_wavefront_size32 1
		.amdhsa_uses_dynamic_stack 0
		.amdhsa_enable_private_segment 0
		.amdhsa_system_sgpr_workgroup_id_x 1
		.amdhsa_system_sgpr_workgroup_id_y 0
		.amdhsa_system_sgpr_workgroup_id_z 1
		.amdhsa_system_sgpr_workgroup_info 0
		.amdhsa_system_vgpr_workitem_id 1
		.amdhsa_next_free_vgpr 31
		.amdhsa_next_free_sgpr 32
		.amdhsa_reserve_vcc 1
		.amdhsa_float_round_mode_32 0
		.amdhsa_float_round_mode_16_64 0
		.amdhsa_float_denorm_mode_32 3
		.amdhsa_float_denorm_mode_16_64 3
		.amdhsa_fp16_overflow 0
		.amdhsa_workgroup_processor_mode 1
		.amdhsa_memory_ordered 1
		.amdhsa_forward_progress 1
		.amdhsa_inst_pref_size 14
		.amdhsa_round_robin_scheduling 0
		.amdhsa_exception_fp_ieee_invalid_op 0
		.amdhsa_exception_fp_denorm_src 0
		.amdhsa_exception_fp_ieee_div_zero 0
		.amdhsa_exception_fp_ieee_overflow 0
		.amdhsa_exception_fp_ieee_underflow 0
		.amdhsa_exception_fp_ieee_inexact 0
		.amdhsa_exception_int_div_zero 0
	.end_amdhsa_kernel
	.section	.text._ZL23rocblas_trmm_rTx_kernelILi32ELb1EddKPKdKPdEv13rocblas_fill_17rocblas_diagonal_iiT2_lPT3_llS9_llPT4_lli,"axG",@progbits,_ZL23rocblas_trmm_rTx_kernelILi32ELb1EddKPKdKPdEv13rocblas_fill_17rocblas_diagonal_iiT2_lPT3_llS9_llPT4_lli,comdat
.Lfunc_end167:
	.size	_ZL23rocblas_trmm_rTx_kernelILi32ELb1EddKPKdKPdEv13rocblas_fill_17rocblas_diagonal_iiT2_lPT3_llS9_llPT4_lli, .Lfunc_end167-_ZL23rocblas_trmm_rTx_kernelILi32ELb1EddKPKdKPdEv13rocblas_fill_17rocblas_diagonal_iiT2_lPT3_llS9_llPT4_lli
                                        ; -- End function
	.set _ZL23rocblas_trmm_rTx_kernelILi32ELb1EddKPKdKPdEv13rocblas_fill_17rocblas_diagonal_iiT2_lPT3_llS9_llPT4_lli.num_vgpr, 31
	.set _ZL23rocblas_trmm_rTx_kernelILi32ELb1EddKPKdKPdEv13rocblas_fill_17rocblas_diagonal_iiT2_lPT3_llS9_llPT4_lli.num_agpr, 0
	.set _ZL23rocblas_trmm_rTx_kernelILi32ELb1EddKPKdKPdEv13rocblas_fill_17rocblas_diagonal_iiT2_lPT3_llS9_llPT4_lli.numbered_sgpr, 32
	.set _ZL23rocblas_trmm_rTx_kernelILi32ELb1EddKPKdKPdEv13rocblas_fill_17rocblas_diagonal_iiT2_lPT3_llS9_llPT4_lli.num_named_barrier, 0
	.set _ZL23rocblas_trmm_rTx_kernelILi32ELb1EddKPKdKPdEv13rocblas_fill_17rocblas_diagonal_iiT2_lPT3_llS9_llPT4_lli.private_seg_size, 0
	.set _ZL23rocblas_trmm_rTx_kernelILi32ELb1EddKPKdKPdEv13rocblas_fill_17rocblas_diagonal_iiT2_lPT3_llS9_llPT4_lli.uses_vcc, 1
	.set _ZL23rocblas_trmm_rTx_kernelILi32ELb1EddKPKdKPdEv13rocblas_fill_17rocblas_diagonal_iiT2_lPT3_llS9_llPT4_lli.uses_flat_scratch, 0
	.set _ZL23rocblas_trmm_rTx_kernelILi32ELb1EddKPKdKPdEv13rocblas_fill_17rocblas_diagonal_iiT2_lPT3_llS9_llPT4_lli.has_dyn_sized_stack, 0
	.set _ZL23rocblas_trmm_rTx_kernelILi32ELb1EddKPKdKPdEv13rocblas_fill_17rocblas_diagonal_iiT2_lPT3_llS9_llPT4_lli.has_recursion, 0
	.set _ZL23rocblas_trmm_rTx_kernelILi32ELb1EddKPKdKPdEv13rocblas_fill_17rocblas_diagonal_iiT2_lPT3_llS9_llPT4_lli.has_indirect_call, 0
	.section	.AMDGPU.csdata,"",@progbits
; Kernel info:
; codeLenInByte = 1748
; TotalNumSgprs: 34
; NumVgprs: 31
; ScratchSize: 0
; MemoryBound: 0
; FloatMode: 240
; IeeeMode: 1
; LDSByteSize: 16384 bytes/workgroup (compile time only)
; SGPRBlocks: 0
; VGPRBlocks: 3
; NumSGPRsForWavesPerEU: 34
; NumVGPRsForWavesPerEU: 31
; Occupancy: 16
; WaveLimiterHint : 1
; COMPUTE_PGM_RSRC2:SCRATCH_EN: 0
; COMPUTE_PGM_RSRC2:USER_SGPR: 2
; COMPUTE_PGM_RSRC2:TRAP_HANDLER: 0
; COMPUTE_PGM_RSRC2:TGID_X_EN: 1
; COMPUTE_PGM_RSRC2:TGID_Y_EN: 0
; COMPUTE_PGM_RSRC2:TGID_Z_EN: 1
; COMPUTE_PGM_RSRC2:TIDIG_COMP_CNT: 1
	.section	.text._ZL23rocblas_trmm_lNx_kernelILi16E19rocblas_complex_numIfEPKS1_KS3_KPS1_Ev13rocblas_fill_17rocblas_diagonal_iiT1_lPT2_llSB_llPT3_lli,"axG",@progbits,_ZL23rocblas_trmm_lNx_kernelILi16E19rocblas_complex_numIfEPKS1_KS3_KPS1_Ev13rocblas_fill_17rocblas_diagonal_iiT1_lPT2_llSB_llPT3_lli,comdat
	.globl	_ZL23rocblas_trmm_lNx_kernelILi16E19rocblas_complex_numIfEPKS1_KS3_KPS1_Ev13rocblas_fill_17rocblas_diagonal_iiT1_lPT2_llSB_llPT3_lli ; -- Begin function _ZL23rocblas_trmm_lNx_kernelILi16E19rocblas_complex_numIfEPKS1_KS3_KPS1_Ev13rocblas_fill_17rocblas_diagonal_iiT1_lPT2_llSB_llPT3_lli
	.p2align	8
	.type	_ZL23rocblas_trmm_lNx_kernelILi16E19rocblas_complex_numIfEPKS1_KS3_KPS1_Ev13rocblas_fill_17rocblas_diagonal_iiT1_lPT2_llSB_llPT3_lli,@function
_ZL23rocblas_trmm_lNx_kernelILi16E19rocblas_complex_numIfEPKS1_KS3_KPS1_Ev13rocblas_fill_17rocblas_diagonal_iiT1_lPT2_llSB_llPT3_lli: ; @_ZL23rocblas_trmm_lNx_kernelILi16E19rocblas_complex_numIfEPKS1_KS3_KPS1_Ev13rocblas_fill_17rocblas_diagonal_iiT1_lPT2_llSB_llPT3_lli
; %bb.0:
	s_load_b32 s30, s[0:1], 0x68
	s_lshr_b32 s28, ttmp7, 16
	s_wait_kmcnt 0x0
	s_cmp_ge_u32 s28, s30
	s_cbranch_scc1 .LBB168_19
; %bb.1:
	s_clause 0x3
	s_load_b128 s[24:27], s[0:1], 0x0
	s_load_b512 s[4:19], s[0:1], 0x10
	s_load_b128 s[20:23], s[0:1], 0x50
	s_load_b64 s[2:3], s[0:1], 0x60
	v_bfe_u32 v11, v0, 10, 10
	v_dual_mov_b32 v1, 0 :: v_dual_and_b32 v12, 0x3ff, v0
	s_mov_b32 s29, 0
	s_delay_alu instid0(VALU_DEP_2) | instskip(NEXT) | instid1(VALU_DEP_2)
	v_lshl_add_u32 v17, v11, 7, 0x800
	v_cmp_eq_u32_e32 vcc_lo, v11, v12
	v_lshlrev_b32_e32 v16, 3, v12
	v_lshlrev_b32_e32 v18, 3, v12
	s_wait_kmcnt 0x0
	s_add_co_i32 s1, s27, -1
	v_mad_co_u64_u32 v[4:5], null, s16, v11, 0
	v_lshlrev_b32_e32 v0, 4, v11
	v_mad_co_u64_u32 v[2:3], null, s10, v11, 0
	v_mad_co_u64_u32 v[6:7], null, s22, v11, 0
	s_delay_alu instid0(VALU_DEP_3)
	v_add_lshl_u32 v14, v0, v12, 3
	s_ashr_i32 s10, s1, 31
	v_cmp_gt_i32_e64 s0, s26, v11
	s_wait_alu 0xfffe
	s_lshr_b32 s10, s10, 28
	v_dual_mov_b32 v0, v3 :: v_dual_add_nc_u32 v15, 0x800, v14
	v_mov_b32_e32 v3, v5
	s_wait_alu 0xfffe
	s_add_co_i32 s10, s1, s10
	v_mov_b32_e32 v5, v7
	v_cmp_gt_i32_e64 s1, s26, v12
	s_wait_alu 0xfffe
	s_ashr_i32 s26, s10, 4
	s_and_b32 s10, s10, -16
	v_mad_co_u64_u32 v[7:8], null, s11, v11, v[0:1]
	s_wait_alu 0xfffe
	s_sub_co_i32 s10, s27, s10
	v_mad_co_u64_u32 v[8:9], null, s17, v11, v[3:4]
	s_cmp_ge_i32 ttmp9, s26
	v_mad_co_u64_u32 v[9:10], null, s23, v11, v[5:6]
	s_wait_alu 0xfffe
	s_cselect_b32 s27, s10, 16
	s_and_b32 s26, s0, s1
	s_wait_alu 0xfffe
	v_cmp_gt_i32_e64 s0, s27, v11
	s_lshl_b32 s10, ttmp9, 4
	v_mov_b32_e32 v3, v7
	v_dual_mov_b32 v5, v8 :: v_dual_mov_b32 v0, 1.0
	v_mov_b32_e32 v7, v9
	s_wait_alu 0xfffe
	s_ashr_i32 s11, s10, 31
	s_and_b32 s27, s1, s0
	s_cmp_eq_u32 s25, 0x84
	v_lshlrev_b64_e32 v[2:3], 3, v[2:3]
	s_cselect_b32 s0, -1, 0
	v_lshlrev_b64_e32 v[4:5], 3, v[4:5]
	v_lshlrev_b64_e32 v[6:7], 3, v[6:7]
	s_and_b32 s25, vcc_lo, s0
	v_cmp_lt_u32_e64 s0, v12, v11
	v_cmp_gt_u32_e64 s1, v12, v11
	s_wait_alu 0xfffe
	s_mul_u64 s[16:17], s[16:17], s[10:11]
	s_mul_u64 s[34:35], s[22:23], s[10:11]
	s_cmp_lg_u32 s24, 0x79
	s_cselect_b32 s24, -1, 0
	s_lshl_b64 s[10:11], s[12:13], 3
	s_lshl_b64 s[12:13], s[18:19], 3
	s_wait_alu 0xfffe
	s_lshl_b64 s[16:17], s[16:17], 3
	s_lshl_b64 s[18:19], s[2:3], 3
	;; [unrolled: 1-line block ×3, first 2 shown]
	s_branch .LBB168_4
.LBB168_2:                              ;   in Loop: Header=BB168_4 Depth=1
	s_or_b32 exec_lo, exec_lo, s2
.LBB168_3:                              ;   in Loop: Header=BB168_4 Depth=1
	s_add_co_i32 s28, s28, 0x10000
	s_delay_alu instid0(SALU_CYCLE_1)
	s_cmp_lt_u32 s28, s30
	s_cbranch_scc0 .LBB168_19
.LBB168_4:                              ; =>This Inner Loop Header: Depth=1
	s_mul_u64 s[2:3], s[6:7], s[28:29]
	s_delay_alu instid0(SALU_CYCLE_1) | instskip(NEXT) | instid1(SALU_CYCLE_1)
	s_lshl_b64 s[2:3], s[2:3], 3
	s_add_nc_u64 s[2:3], s[4:5], s[2:3]
	global_load_b64 v[8:9], v1, s[2:3]
	s_wait_loadcnt 0x0
	v_cmp_neq_f32_e32 vcc_lo, 0, v8
	v_cmp_neq_f32_e64 s2, 0, v9
	s_or_b32 s2, vcc_lo, s2
	s_delay_alu instid0(SALU_CYCLE_1)
	s_and_not1_b32 vcc_lo, exec_lo, s2
	s_wait_alu 0xfffe
	s_cbranch_vccnz .LBB168_3
; %bb.5:                                ;   in Loop: Header=BB168_4 Depth=1
	s_lshl_b64 s[2:3], s[28:29], 3
	s_delay_alu instid0(SALU_CYCLE_1)
	s_add_nc_u64 s[34:35], s[14:15], s[2:3]
	s_add_nc_u64 s[36:37], s[20:21], s[2:3]
	s_clause 0x1
	global_load_b64 v[12:13], v1, s[34:35]
	global_load_b64 v[10:11], v1, s[36:37]
	s_mov_b32 s34, s29
	s_mov_b32 s35, s29
	s_wait_alu 0xfffe
	v_dual_mov_b32 v19, s34 :: v_dual_mov_b32 v20, s35
	ds_store_b64 v14, v[19:20]
	ds_store_b64 v15, v[19:20]
	s_and_saveexec_b32 s31, s26
	s_cbranch_execnz .LBB168_10
; %bb.6:                                ;   in Loop: Header=BB168_4 Depth=1
	s_or_b32 exec_lo, exec_lo, s31
	s_and_saveexec_b32 s2, s27
	s_cbranch_execnz .LBB168_11
.LBB168_7:                              ;   in Loop: Header=BB168_4 Depth=1
	s_or_b32 exec_lo, exec_lo, s2
	s_and_saveexec_b32 s2, s25
	s_cbranch_execnz .LBB168_12
.LBB168_8:                              ;   in Loop: Header=BB168_4 Depth=1
	s_or_b32 exec_lo, exec_lo, s2
	s_delay_alu instid0(SALU_CYCLE_1)
	s_and_b32 vcc_lo, exec_lo, s24
	s_wait_alu 0xfffe
	s_cbranch_vccz .LBB168_13
.LBB168_9:                              ;   in Loop: Header=BB168_4 Depth=1
	s_and_b32 s2, s0, exec_lo
	s_cbranch_execz .LBB168_14
	s_branch .LBB168_15
.LBB168_10:                             ;   in Loop: Header=BB168_4 Depth=1
	s_add_nc_u64 s[2:3], s[8:9], s[2:3]
	global_load_b64 v[19:20], v1, s[2:3]
	s_wait_loadcnt 0x0
	v_add_co_u32 v19, vcc_lo, v19, s10
	s_wait_alu 0xfffd
	v_add_co_ci_u32_e64 v20, null, s11, v20, vcc_lo
	s_delay_alu instid0(VALU_DEP_2) | instskip(SKIP_1) | instid1(VALU_DEP_2)
	v_add_co_u32 v19, vcc_lo, v19, v2
	s_wait_alu 0xfffd
	v_add_co_ci_u32_e64 v20, null, v20, v3, vcc_lo
	s_delay_alu instid0(VALU_DEP_2) | instskip(SKIP_1) | instid1(VALU_DEP_2)
	v_add_co_u32 v19, vcc_lo, v19, v18
	s_wait_alu 0xfffd
	v_add_co_ci_u32_e64 v20, null, 0, v20, vcc_lo
	flat_load_b64 v[19:20], v[19:20]
	s_wait_loadcnt_dscnt 0x0
	ds_store_b64 v14, v[19:20]
	s_or_b32 exec_lo, exec_lo, s31
	s_and_saveexec_b32 s2, s27
	s_cbranch_execz .LBB168_7
.LBB168_11:                             ;   in Loop: Header=BB168_4 Depth=1
	s_wait_loadcnt 0x1
	v_add_co_u32 v12, vcc_lo, v12, s12
	s_wait_alu 0xfffd
	v_add_co_ci_u32_e64 v13, null, s13, v13, vcc_lo
	s_wait_alu 0xfffe
	s_delay_alu instid0(VALU_DEP_2) | instskip(SKIP_1) | instid1(VALU_DEP_2)
	v_add_co_u32 v12, vcc_lo, v12, s16
	s_wait_alu 0xfffd
	v_add_co_ci_u32_e64 v13, null, s17, v13, vcc_lo
	s_delay_alu instid0(VALU_DEP_2) | instskip(SKIP_1) | instid1(VALU_DEP_2)
	v_add_co_u32 v12, vcc_lo, v12, v4
	s_wait_alu 0xfffd
	v_add_co_ci_u32_e64 v13, null, v13, v5, vcc_lo
	;; [unrolled: 4-line block ×3, first 2 shown]
	flat_load_b64 v[12:13], v[12:13]
	s_wait_loadcnt_dscnt 0x0
	ds_store_b64 v15, v[12:13]
	s_or_b32 exec_lo, exec_lo, s2
	s_and_saveexec_b32 s2, s25
	s_cbranch_execz .LBB168_8
.LBB168_12:                             ;   in Loop: Header=BB168_4 Depth=1
	ds_store_b64 v14, v[0:1]
	s_or_b32 exec_lo, exec_lo, s2
	s_delay_alu instid0(SALU_CYCLE_1)
	s_and_b32 vcc_lo, exec_lo, s24
	s_wait_alu 0xfffe
	s_cbranch_vccnz .LBB168_9
.LBB168_13:                             ;   in Loop: Header=BB168_4 Depth=1
	s_mov_b32 s2, 0
.LBB168_14:                             ;   in Loop: Header=BB168_4 Depth=1
	s_delay_alu instid0(SALU_CYCLE_1) | instskip(SKIP_1) | instid1(SALU_CYCLE_1)
	s_and_not1_b32 s2, s2, exec_lo
	s_and_b32 s3, s1, exec_lo
	s_or_b32 s2, s2, s3
.LBB168_15:                             ;   in Loop: Header=BB168_4 Depth=1
	s_delay_alu instid0(SALU_CYCLE_1)
	s_and_saveexec_b32 s3, s2
	s_cbranch_execz .LBB168_17
; %bb.16:                               ;   in Loop: Header=BB168_4 Depth=1
	s_wait_loadcnt 0x1
	v_dual_mov_b32 v12, v1 :: v_dual_mov_b32 v13, v1
	ds_store_b64 v14, v[12:13]
.LBB168_17:                             ;   in Loop: Header=BB168_4 Depth=1
	s_or_b32 exec_lo, exec_lo, s3
	s_wait_loadcnt_dscnt 0x0
	s_barrier_signal -1
	s_barrier_wait -1
	global_inv scope:SCOPE_SE
	s_and_saveexec_b32 s2, s27
	s_cbranch_execz .LBB168_2
; %bb.18:                               ;   in Loop: Header=BB168_4 Depth=1
	ds_load_2addr_b64 v[19:22], v16 offset1:16
	ds_load_b128 v[23:26], v17
	ds_load_b128 v[27:30], v17 offset:16
	ds_load_2addr_b64 v[31:34], v16 offset0:32 offset1:48
	ds_load_2addr_b64 v[35:38], v16 offset0:64 offset1:80
	ds_load_b128 v[39:42], v17 offset:32
	ds_load_b128 v[43:46], v17 offset:48
	ds_load_2addr_b64 v[47:50], v16 offset0:96 offset1:112
	ds_load_2addr_b64 v[51:54], v16 offset0:128 offset1:144
	ds_load_b128 v[55:58], v17 offset:64
	ds_load_b128 v[59:62], v17 offset:80
	ds_load_2addr_b64 v[63:66], v16 offset0:160 offset1:176
	ds_load_2addr_b64 v[67:70], v16 offset0:192 offset1:208
	ds_load_b128 v[71:74], v17 offset:96
	ds_load_b128 v[75:78], v17 offset:112
	ds_load_2addr_b64 v[79:82], v16 offset0:224 offset1:240
	s_wait_dscnt 0xe
	v_dual_mul_f32 v12, v23, v20 :: v_dual_mul_f32 v13, v25, v22
	v_mul_f32_e32 v20, v24, v20
	s_wait_dscnt 0xc
	v_dual_mul_f32 v83, v27, v32 :: v_dual_mul_f32 v84, v29, v34
	s_wait_dscnt 0xa
	v_dual_mul_f32 v85, v39, v36 :: v_dual_mul_f32 v86, v41, v38
	v_fmac_f32_e32 v13, v26, v21
	s_wait_dscnt 0x6
	v_dual_mul_f32 v89, v55, v52 :: v_dual_fmac_f32 v12, v24, v19
	v_fma_f32 v19, v23, v19, -v20
	v_mul_f32_e32 v22, v26, v22
	s_wait_dscnt 0x4
	v_dual_mul_f32 v24, v61, v66 :: v_dual_fmac_f32 v83, v28, v31
	s_delay_alu instid0(VALU_DEP_3) | instskip(NEXT) | instid1(VALU_DEP_3)
	v_dual_add_f32 v12, 0, v12 :: v_dual_add_f32 v19, 0, v19
	v_fma_f32 v20, v25, v21, -v22
	v_fmac_f32_e32 v84, v30, v33
	s_delay_alu instid0(VALU_DEP_3) | instskip(SKIP_1) | instid1(VALU_DEP_4)
	v_dual_mul_f32 v21, v30, v34 :: v_dual_add_f32 v12, v12, v13
	v_mul_f32_e32 v13, v28, v32
	v_add_f32_e32 v19, v19, v20
	v_dual_fmac_f32 v85, v40, v35 :: v_dual_fmac_f32 v86, v42, v37
	s_delay_alu instid0(VALU_DEP_4) | instskip(NEXT) | instid1(VALU_DEP_4)
	v_fma_f32 v21, v29, v33, -v21
	v_fma_f32 v13, v27, v31, -v13
	v_dual_add_f32 v12, v12, v83 :: v_dual_mul_f32 v87, v43, v48
	v_mul_f32_e32 v88, v45, v50
	v_dual_mul_f32 v90, v57, v54 :: v_dual_mul_f32 v91, v59, v64
	s_delay_alu instid0(VALU_DEP_3) | instskip(SKIP_1) | instid1(VALU_DEP_4)
	v_dual_add_f32 v13, v19, v13 :: v_dual_add_f32 v12, v12, v84
	v_dual_mul_f32 v19, v42, v38 :: v_dual_mul_f32 v20, v40, v36
	v_dual_fmac_f32 v87, v44, v47 :: v_dual_fmac_f32 v88, v46, v49
	s_delay_alu instid0(VALU_DEP_3) | instskip(SKIP_1) | instid1(VALU_DEP_4)
	v_add_f32_e32 v13, v13, v21
	v_mul_f32_e32 v21, v44, v48
	v_fma_f32 v20, v39, v35, -v20
	v_add_f32_e32 v12, v12, v85
	v_fma_f32 v19, v41, v37, -v19
	v_dual_fmac_f32 v89, v56, v51 :: v_dual_fmac_f32 v90, v58, v53
	s_delay_alu instid0(VALU_DEP_3)
	v_dual_add_f32 v13, v13, v20 :: v_dual_add_f32 v12, v12, v86
	v_mul_f32_e32 v20, v46, v50
	v_fma_f32 v21, v43, v47, -v21
	s_wait_dscnt 0x2
	v_dual_fmac_f32 v91, v60, v63 :: v_dual_mul_f32 v22, v73, v70
	v_add_f32_e32 v13, v13, v19
	v_add_f32_e32 v12, v12, v87
	v_dual_mul_f32 v19, v56, v52 :: v_dual_fmac_f32 v24, v62, v65
	v_fma_f32 v20, v45, v49, -v20
	s_delay_alu instid0(VALU_DEP_3) | instskip(SKIP_1) | instid1(VALU_DEP_4)
	v_dual_add_f32 v13, v13, v21 :: v_dual_add_f32 v12, v12, v88
	v_mul_f32_e32 v21, v58, v54
	v_fma_f32 v19, v55, v51, -v19
	s_delay_alu instid0(VALU_DEP_3) | instskip(NEXT) | instid1(VALU_DEP_4)
	v_dual_fmac_f32 v22, v74, v69 :: v_dual_add_f32 v13, v13, v20
	v_add_f32_e32 v12, v12, v89
	s_delay_alu instid0(VALU_DEP_4) | instskip(NEXT) | instid1(VALU_DEP_2)
	v_fma_f32 v21, v57, v53, -v21
	v_dual_add_f32 v13, v13, v19 :: v_dual_add_f32 v12, v12, v90
	v_mul_f32_e32 v20, v60, v64
	v_mul_f32_e32 v19, v71, v68
	s_delay_alu instid0(VALU_DEP_3) | instskip(NEXT) | instid1(VALU_DEP_3)
	v_dual_add_f32 v13, v13, v21 :: v_dual_add_f32 v12, v12, v91
	v_fma_f32 v20, v59, v63, -v20
	v_mul_f32_e32 v21, v62, v66
	s_delay_alu instid0(VALU_DEP_4) | instskip(NEXT) | instid1(VALU_DEP_4)
	v_fmac_f32_e32 v19, v72, v67
	v_add_f32_e32 v12, v12, v24
	s_delay_alu instid0(VALU_DEP_4) | instskip(NEXT) | instid1(VALU_DEP_4)
	v_add_f32_e32 v13, v13, v20
	v_fma_f32 v20, v61, v65, -v21
	v_mul_f32_e32 v21, v72, v68
	s_wait_dscnt 0x0
	v_dual_add_f32 v12, v12, v19 :: v_dual_mul_f32 v19, v75, v80
	s_delay_alu instid0(VALU_DEP_1) | instskip(NEXT) | instid1(VALU_DEP_2)
	v_add_f32_e32 v12, v12, v22
	v_dual_mul_f32 v22, v77, v82 :: v_dual_fmac_f32 v19, v76, v79
	s_delay_alu instid0(VALU_DEP_1) | instskip(NEXT) | instid1(VALU_DEP_2)
	v_dual_fmac_f32 v22, v78, v81 :: v_dual_add_f32 v13, v13, v20
	v_add_f32_e32 v12, v12, v19
	v_fma_f32 v20, v71, v67, -v21
	s_delay_alu instid0(VALU_DEP_2) | instskip(SKIP_1) | instid1(VALU_DEP_3)
	v_add_f32_e32 v12, v12, v22
	v_mul_f32_e32 v21, v74, v70
	v_add_f32_e32 v13, v13, v20
	s_delay_alu instid0(VALU_DEP_2) | instskip(SKIP_1) | instid1(VALU_DEP_2)
	v_fma_f32 v20, v73, v69, -v21
	v_mul_f32_e32 v21, v76, v80
	v_add_f32_e32 v13, v13, v20
	s_delay_alu instid0(VALU_DEP_2) | instskip(NEXT) | instid1(VALU_DEP_1)
	v_fma_f32 v19, v75, v79, -v21
	v_dual_mul_f32 v20, v78, v82 :: v_dual_add_f32 v13, v13, v19
	s_delay_alu instid0(VALU_DEP_1) | instskip(SKIP_3) | instid1(VALU_DEP_3)
	v_fma_f32 v19, v77, v81, -v20
	v_add_co_u32 v20, vcc_lo, v10, s18
	s_wait_alu 0xfffd
	v_add_co_ci_u32_e64 v11, null, s19, v11, vcc_lo
	v_dual_add_f32 v13, v13, v19 :: v_dual_mul_f32 v10, v8, v12
	s_wait_alu 0xfffe
	v_add_co_u32 v19, vcc_lo, v20, s22
	s_wait_alu 0xfffd
	v_add_co_ci_u32_e64 v11, null, s23, v11, vcc_lo
	v_fmac_f32_e32 v10, v9, v13
	v_mul_f32_e32 v9, v9, v12
	v_add_co_u32 v12, vcc_lo, v19, v6
	s_wait_alu 0xfffd
	v_add_co_ci_u32_e64 v19, null, v11, v7, vcc_lo
	s_delay_alu instid0(VALU_DEP_3) | instskip(NEXT) | instid1(VALU_DEP_3)
	v_fma_f32 v9, v8, v13, -v9
	v_add_co_u32 v11, vcc_lo, v12, v18
	s_wait_alu 0xfffd
	s_delay_alu instid0(VALU_DEP_3)
	v_add_co_ci_u32_e64 v12, null, 0, v19, vcc_lo
	flat_store_b64 v[11:12], v[9:10]
	s_branch .LBB168_2
.LBB168_19:
	s_endpgm
	.section	.rodata,"a",@progbits
	.p2align	6, 0x0
	.amdhsa_kernel _ZL23rocblas_trmm_lNx_kernelILi16E19rocblas_complex_numIfEPKS1_KS3_KPS1_Ev13rocblas_fill_17rocblas_diagonal_iiT1_lPT2_llSB_llPT3_lli
		.amdhsa_group_segment_fixed_size 4096
		.amdhsa_private_segment_fixed_size 0
		.amdhsa_kernarg_size 108
		.amdhsa_user_sgpr_count 2
		.amdhsa_user_sgpr_dispatch_ptr 0
		.amdhsa_user_sgpr_queue_ptr 0
		.amdhsa_user_sgpr_kernarg_segment_ptr 1
		.amdhsa_user_sgpr_dispatch_id 0
		.amdhsa_user_sgpr_private_segment_size 0
		.amdhsa_wavefront_size32 1
		.amdhsa_uses_dynamic_stack 0
		.amdhsa_enable_private_segment 0
		.amdhsa_system_sgpr_workgroup_id_x 1
		.amdhsa_system_sgpr_workgroup_id_y 0
		.amdhsa_system_sgpr_workgroup_id_z 1
		.amdhsa_system_sgpr_workgroup_info 0
		.amdhsa_system_vgpr_workitem_id 1
		.amdhsa_next_free_vgpr 92
		.amdhsa_next_free_sgpr 38
		.amdhsa_reserve_vcc 1
		.amdhsa_float_round_mode_32 0
		.amdhsa_float_round_mode_16_64 0
		.amdhsa_float_denorm_mode_32 3
		.amdhsa_float_denorm_mode_16_64 3
		.amdhsa_fp16_overflow 0
		.amdhsa_workgroup_processor_mode 1
		.amdhsa_memory_ordered 1
		.amdhsa_forward_progress 1
		.amdhsa_inst_pref_size 15
		.amdhsa_round_robin_scheduling 0
		.amdhsa_exception_fp_ieee_invalid_op 0
		.amdhsa_exception_fp_denorm_src 0
		.amdhsa_exception_fp_ieee_div_zero 0
		.amdhsa_exception_fp_ieee_overflow 0
		.amdhsa_exception_fp_ieee_underflow 0
		.amdhsa_exception_fp_ieee_inexact 0
		.amdhsa_exception_int_div_zero 0
	.end_amdhsa_kernel
	.section	.text._ZL23rocblas_trmm_lNx_kernelILi16E19rocblas_complex_numIfEPKS1_KS3_KPS1_Ev13rocblas_fill_17rocblas_diagonal_iiT1_lPT2_llSB_llPT3_lli,"axG",@progbits,_ZL23rocblas_trmm_lNx_kernelILi16E19rocblas_complex_numIfEPKS1_KS3_KPS1_Ev13rocblas_fill_17rocblas_diagonal_iiT1_lPT2_llSB_llPT3_lli,comdat
.Lfunc_end168:
	.size	_ZL23rocblas_trmm_lNx_kernelILi16E19rocblas_complex_numIfEPKS1_KS3_KPS1_Ev13rocblas_fill_17rocblas_diagonal_iiT1_lPT2_llSB_llPT3_lli, .Lfunc_end168-_ZL23rocblas_trmm_lNx_kernelILi16E19rocblas_complex_numIfEPKS1_KS3_KPS1_Ev13rocblas_fill_17rocblas_diagonal_iiT1_lPT2_llSB_llPT3_lli
                                        ; -- End function
	.set _ZL23rocblas_trmm_lNx_kernelILi16E19rocblas_complex_numIfEPKS1_KS3_KPS1_Ev13rocblas_fill_17rocblas_diagonal_iiT1_lPT2_llSB_llPT3_lli.num_vgpr, 92
	.set _ZL23rocblas_trmm_lNx_kernelILi16E19rocblas_complex_numIfEPKS1_KS3_KPS1_Ev13rocblas_fill_17rocblas_diagonal_iiT1_lPT2_llSB_llPT3_lli.num_agpr, 0
	.set _ZL23rocblas_trmm_lNx_kernelILi16E19rocblas_complex_numIfEPKS1_KS3_KPS1_Ev13rocblas_fill_17rocblas_diagonal_iiT1_lPT2_llSB_llPT3_lli.numbered_sgpr, 38
	.set _ZL23rocblas_trmm_lNx_kernelILi16E19rocblas_complex_numIfEPKS1_KS3_KPS1_Ev13rocblas_fill_17rocblas_diagonal_iiT1_lPT2_llSB_llPT3_lli.num_named_barrier, 0
	.set _ZL23rocblas_trmm_lNx_kernelILi16E19rocblas_complex_numIfEPKS1_KS3_KPS1_Ev13rocblas_fill_17rocblas_diagonal_iiT1_lPT2_llSB_llPT3_lli.private_seg_size, 0
	.set _ZL23rocblas_trmm_lNx_kernelILi16E19rocblas_complex_numIfEPKS1_KS3_KPS1_Ev13rocblas_fill_17rocblas_diagonal_iiT1_lPT2_llSB_llPT3_lli.uses_vcc, 1
	.set _ZL23rocblas_trmm_lNx_kernelILi16E19rocblas_complex_numIfEPKS1_KS3_KPS1_Ev13rocblas_fill_17rocblas_diagonal_iiT1_lPT2_llSB_llPT3_lli.uses_flat_scratch, 0
	.set _ZL23rocblas_trmm_lNx_kernelILi16E19rocblas_complex_numIfEPKS1_KS3_KPS1_Ev13rocblas_fill_17rocblas_diagonal_iiT1_lPT2_llSB_llPT3_lli.has_dyn_sized_stack, 0
	.set _ZL23rocblas_trmm_lNx_kernelILi16E19rocblas_complex_numIfEPKS1_KS3_KPS1_Ev13rocblas_fill_17rocblas_diagonal_iiT1_lPT2_llSB_llPT3_lli.has_recursion, 0
	.set _ZL23rocblas_trmm_lNx_kernelILi16E19rocblas_complex_numIfEPKS1_KS3_KPS1_Ev13rocblas_fill_17rocblas_diagonal_iiT1_lPT2_llSB_llPT3_lli.has_indirect_call, 0
	.section	.AMDGPU.csdata,"",@progbits
; Kernel info:
; codeLenInByte = 1832
; TotalNumSgprs: 40
; NumVgprs: 92
; ScratchSize: 0
; MemoryBound: 0
; FloatMode: 240
; IeeeMode: 1
; LDSByteSize: 4096 bytes/workgroup (compile time only)
; SGPRBlocks: 0
; VGPRBlocks: 11
; NumSGPRsForWavesPerEU: 40
; NumVGPRsForWavesPerEU: 92
; Occupancy: 16
; WaveLimiterHint : 1
; COMPUTE_PGM_RSRC2:SCRATCH_EN: 0
; COMPUTE_PGM_RSRC2:USER_SGPR: 2
; COMPUTE_PGM_RSRC2:TRAP_HANDLER: 0
; COMPUTE_PGM_RSRC2:TGID_X_EN: 1
; COMPUTE_PGM_RSRC2:TGID_Y_EN: 0
; COMPUTE_PGM_RSRC2:TGID_Z_EN: 1
; COMPUTE_PGM_RSRC2:TIDIG_COMP_CNT: 1
	.section	.text._ZL23rocblas_trmm_lNx_kernelILi16E19rocblas_complex_numIfES1_KPKS1_KPS1_Ev13rocblas_fill_17rocblas_diagonal_iiT1_lPT2_llSB_llPT3_lli,"axG",@progbits,_ZL23rocblas_trmm_lNx_kernelILi16E19rocblas_complex_numIfES1_KPKS1_KPS1_Ev13rocblas_fill_17rocblas_diagonal_iiT1_lPT2_llSB_llPT3_lli,comdat
	.globl	_ZL23rocblas_trmm_lNx_kernelILi16E19rocblas_complex_numIfES1_KPKS1_KPS1_Ev13rocblas_fill_17rocblas_diagonal_iiT1_lPT2_llSB_llPT3_lli ; -- Begin function _ZL23rocblas_trmm_lNx_kernelILi16E19rocblas_complex_numIfES1_KPKS1_KPS1_Ev13rocblas_fill_17rocblas_diagonal_iiT1_lPT2_llSB_llPT3_lli
	.p2align	8
	.type	_ZL23rocblas_trmm_lNx_kernelILi16E19rocblas_complex_numIfES1_KPKS1_KPS1_Ev13rocblas_fill_17rocblas_diagonal_iiT1_lPT2_llSB_llPT3_lli,@function
_ZL23rocblas_trmm_lNx_kernelILi16E19rocblas_complex_numIfES1_KPKS1_KPS1_Ev13rocblas_fill_17rocblas_diagonal_iiT1_lPT2_llSB_llPT3_lli: ; @_ZL23rocblas_trmm_lNx_kernelILi16E19rocblas_complex_numIfES1_KPKS1_KPS1_Ev13rocblas_fill_17rocblas_diagonal_iiT1_lPT2_llSB_llPT3_lli
; %bb.0:
	s_load_b32 s28, s[0:1], 0x68
	s_lshr_b32 s24, ttmp7, 16
	s_wait_kmcnt 0x0
	s_cmp_ge_u32 s24, s28
	s_cbranch_scc1 .LBB169_19
; %bb.1:
	s_clause 0x3
	s_load_b64 s[26:27], s[0:1], 0x10
	s_load_b512 s[4:19], s[0:1], 0x20
	s_load_b128 s[20:23], s[0:1], 0x0
	s_load_b64 s[30:31], s[0:1], 0x60
	v_bfe_u32 v11, v0, 10, 10
	v_dual_mov_b32 v1, 0 :: v_dual_and_b32 v16, 0x3ff, v0
	s_mov_b32 s25, 0
	s_delay_alu instid0(VALU_DEP_2) | instskip(NEXT) | instid1(VALU_DEP_2)
	v_lshl_add_u32 v15, v11, 7, 0x800
	v_cmp_eq_u32_e32 vcc_lo, v11, v16
	v_lshlrev_b32_e32 v14, 3, v16
	s_wait_kmcnt 0x0
	s_cmp_neq_f32 s26, 0
	v_mad_co_u64_u32 v[4:5], null, s12, v11, 0
	v_lshlrev_b32_e32 v0, 4, v11
	s_cselect_b32 s2, -1, 0
	s_cmp_neq_f32 s27, 0
	v_mad_co_u64_u32 v[2:3], null, s6, v11, 0
	v_mad_co_u64_u32 v[6:7], null, s18, v11, 0
	v_add_lshl_u32 v12, v0, v16, 3
	s_cselect_b32 s3, -1, 0
	s_add_co_i32 s6, s23, -1
	v_cmp_gt_i32_e64 s0, s22, v11
	v_cmp_gt_i32_e64 s1, s22, v16
	s_wait_alu 0xfffe
	s_ashr_i32 s22, s6, 31
	v_dual_mov_b32 v0, v3 :: v_dual_add_nc_u32 v13, 0x800, v12
	s_wait_alu 0xfffe
	s_lshr_b32 s29, s22, 28
	v_mov_b32_e32 v3, v5
	s_add_co_i32 s6, s6, s29
	v_mov_b32_e32 v5, v7
	s_or_b32 s22, s2, s3
	s_wait_alu 0xfffe
	s_and_b32 s2, s6, -16
	s_ashr_i32 s3, s6, 4
	v_mad_co_u64_u32 v[7:8], null, s7, v11, v[0:1]
	s_sub_co_i32 s2, s23, s2
	s_cmp_ge_i32 ttmp9, s3
	v_mad_co_u64_u32 v[8:9], null, s13, v11, v[3:4]
	v_mad_co_u64_u32 v[9:10], null, s19, v11, v[5:6]
	s_cselect_b32 s2, s2, 16
	s_lshl_b32 s6, ttmp9, 4
	v_cmp_gt_i32_e64 s2, s2, v11
	s_and_b32 s23, s0, s1
	v_mov_b32_e32 v3, v7
	s_wait_alu 0xfffe
	s_ashr_i32 s7, s6, 31
	v_dual_mov_b32 v5, v8 :: v_dual_mov_b32 v0, 1.0
	s_and_b32 s29, s1, s2
	v_mov_b32_e32 v7, v9
	s_cmp_eq_u32 s21, 0x84
	v_cmp_gt_u32_e64 s1, v16, v11
	s_cselect_b32 s0, -1, 0
	v_lshlrev_b64_e32 v[4:5], 3, v[4:5]
	s_and_b32 s21, vcc_lo, s0
	v_cmp_lt_u32_e64 s0, v16, v11
	v_lshlrev_b64_e32 v[6:7], 3, v[6:7]
	v_lshlrev_b32_e32 v16, 3, v16
	v_lshlrev_b64_e32 v[2:3], 3, v[2:3]
	s_wait_alu 0xfffe
	s_mul_u64 s[12:13], s[12:13], s[6:7]
	s_cmp_lg_u32 s20, 0x79
	s_mul_u64 s[18:19], s[18:19], s[6:7]
	s_cselect_b32 s20, -1, 0
	s_lshl_b64 s[2:3], s[8:9], 3
	s_lshl_b64 s[6:7], s[14:15], 3
	s_wait_alu 0xfffe
	s_lshl_b64 s[8:9], s[12:13], 3
	s_lshl_b64 s[12:13], s[30:31], 3
	;; [unrolled: 1-line block ×3, first 2 shown]
	s_branch .LBB169_4
.LBB169_2:                              ;   in Loop: Header=BB169_4 Depth=1
	s_wait_alu 0xfffe
	s_or_b32 exec_lo, exec_lo, s18
.LBB169_3:                              ;   in Loop: Header=BB169_4 Depth=1
	s_add_co_i32 s24, s24, 0x10000
	s_delay_alu instid0(SALU_CYCLE_1)
	s_cmp_lt_u32 s24, s28
	s_cbranch_scc0 .LBB169_19
.LBB169_4:                              ; =>This Inner Loop Header: Depth=1
	s_and_not1_b32 vcc_lo, exec_lo, s22
	s_wait_alu 0xfffe
	s_cbranch_vccnz .LBB169_3
; %bb.5:                                ;   in Loop: Header=BB169_4 Depth=1
	s_lshl_b64 s[18:19], s[24:25], 3
	s_wait_alu 0xfffe
	s_add_nc_u64 s[30:31], s[10:11], s[18:19]
	s_add_nc_u64 s[34:35], s[16:17], s[18:19]
	s_clause 0x1
	global_load_b64 v[10:11], v1, s[30:31]
	global_load_b64 v[8:9], v1, s[34:35]
	s_mov_b32 s30, s25
	s_mov_b32 s31, s25
	s_wait_alu 0xfffe
	v_dual_mov_b32 v17, s30 :: v_dual_mov_b32 v18, s31
	ds_store_b64 v12, v[17:18]
	ds_store_b64 v13, v[17:18]
	s_and_saveexec_b32 s30, s23
	s_cbranch_execnz .LBB169_10
; %bb.6:                                ;   in Loop: Header=BB169_4 Depth=1
	s_wait_alu 0xfffe
	s_or_b32 exec_lo, exec_lo, s30
	s_and_saveexec_b32 s18, s29
	s_cbranch_execnz .LBB169_11
.LBB169_7:                              ;   in Loop: Header=BB169_4 Depth=1
	s_wait_alu 0xfffe
	s_or_b32 exec_lo, exec_lo, s18
	s_and_saveexec_b32 s18, s21
	s_cbranch_execnz .LBB169_12
.LBB169_8:                              ;   in Loop: Header=BB169_4 Depth=1
	s_wait_alu 0xfffe
	s_or_b32 exec_lo, exec_lo, s18
	s_delay_alu instid0(SALU_CYCLE_1)
	s_and_b32 vcc_lo, exec_lo, s20
	s_wait_alu 0xfffe
	s_cbranch_vccz .LBB169_13
.LBB169_9:                              ;   in Loop: Header=BB169_4 Depth=1
	s_and_b32 s18, s0, exec_lo
	s_cbranch_execz .LBB169_14
	s_branch .LBB169_15
.LBB169_10:                             ;   in Loop: Header=BB169_4 Depth=1
	s_add_nc_u64 s[18:19], s[4:5], s[18:19]
	global_load_b64 v[17:18], v1, s[18:19]
	s_wait_loadcnt 0x0
	v_add_co_u32 v17, vcc_lo, v17, s2
	s_wait_alu 0xfffd
	v_add_co_ci_u32_e64 v18, null, s3, v18, vcc_lo
	s_delay_alu instid0(VALU_DEP_2) | instskip(SKIP_1) | instid1(VALU_DEP_2)
	v_add_co_u32 v17, vcc_lo, v17, v2
	s_wait_alu 0xfffd
	v_add_co_ci_u32_e64 v18, null, v18, v3, vcc_lo
	s_delay_alu instid0(VALU_DEP_2) | instskip(SKIP_1) | instid1(VALU_DEP_2)
	v_add_co_u32 v17, vcc_lo, v17, v16
	s_wait_alu 0xfffd
	v_add_co_ci_u32_e64 v18, null, 0, v18, vcc_lo
	flat_load_b64 v[17:18], v[17:18]
	s_wait_loadcnt_dscnt 0x0
	ds_store_b64 v12, v[17:18]
	s_wait_alu 0xfffe
	s_or_b32 exec_lo, exec_lo, s30
	s_and_saveexec_b32 s18, s29
	s_cbranch_execz .LBB169_7
.LBB169_11:                             ;   in Loop: Header=BB169_4 Depth=1
	s_wait_loadcnt 0x1
	v_add_co_u32 v10, vcc_lo, v10, s6
	s_wait_alu 0xfffd
	v_add_co_ci_u32_e64 v11, null, s7, v11, vcc_lo
	s_delay_alu instid0(VALU_DEP_2) | instskip(SKIP_1) | instid1(VALU_DEP_2)
	v_add_co_u32 v10, vcc_lo, v10, s8
	s_wait_alu 0xfffd
	v_add_co_ci_u32_e64 v11, null, s9, v11, vcc_lo
	s_delay_alu instid0(VALU_DEP_2) | instskip(SKIP_1) | instid1(VALU_DEP_2)
	;; [unrolled: 4-line block ×3, first 2 shown]
	v_add_co_u32 v10, vcc_lo, v10, v16
	s_wait_alu 0xfffd
	v_add_co_ci_u32_e64 v11, null, 0, v11, vcc_lo
	flat_load_b64 v[10:11], v[10:11]
	s_wait_loadcnt_dscnt 0x0
	ds_store_b64 v13, v[10:11]
	s_wait_alu 0xfffe
	s_or_b32 exec_lo, exec_lo, s18
	s_and_saveexec_b32 s18, s21
	s_cbranch_execz .LBB169_8
.LBB169_12:                             ;   in Loop: Header=BB169_4 Depth=1
	ds_store_b64 v12, v[0:1]
	s_wait_alu 0xfffe
	s_or_b32 exec_lo, exec_lo, s18
	s_delay_alu instid0(SALU_CYCLE_1)
	s_and_b32 vcc_lo, exec_lo, s20
	s_wait_alu 0xfffe
	s_cbranch_vccnz .LBB169_9
.LBB169_13:                             ;   in Loop: Header=BB169_4 Depth=1
	s_mov_b32 s18, 0
.LBB169_14:                             ;   in Loop: Header=BB169_4 Depth=1
	s_wait_alu 0xfffe
	s_and_not1_b32 s18, s18, exec_lo
	s_and_b32 s19, s1, exec_lo
	s_wait_alu 0xfffe
	s_or_b32 s18, s18, s19
.LBB169_15:                             ;   in Loop: Header=BB169_4 Depth=1
	s_wait_alu 0xfffe
	s_and_saveexec_b32 s19, s18
	s_cbranch_execz .LBB169_17
; %bb.16:                               ;   in Loop: Header=BB169_4 Depth=1
	s_wait_loadcnt 0x1
	v_dual_mov_b32 v10, v1 :: v_dual_mov_b32 v11, v1
	ds_store_b64 v12, v[10:11]
.LBB169_17:                             ;   in Loop: Header=BB169_4 Depth=1
	s_wait_alu 0xfffe
	s_or_b32 exec_lo, exec_lo, s19
	s_wait_loadcnt_dscnt 0x0
	s_barrier_signal -1
	s_barrier_wait -1
	global_inv scope:SCOPE_SE
	s_and_saveexec_b32 s18, s29
	s_cbranch_execz .LBB169_2
; %bb.18:                               ;   in Loop: Header=BB169_4 Depth=1
	ds_load_2addr_b64 v[17:20], v14 offset1:16
	ds_load_b128 v[21:24], v15
	ds_load_b128 v[25:28], v15 offset:16
	ds_load_2addr_b64 v[29:32], v14 offset0:32 offset1:48
	ds_load_2addr_b64 v[33:36], v14 offset0:64 offset1:80
	ds_load_b128 v[37:40], v15 offset:32
	ds_load_b128 v[41:44], v15 offset:48
	ds_load_2addr_b64 v[45:48], v14 offset0:96 offset1:112
	ds_load_2addr_b64 v[49:52], v14 offset0:128 offset1:144
	ds_load_b128 v[53:56], v15 offset:64
	;; [unrolled: 4-line block ×3, first 2 shown]
	ds_load_b128 v[73:76], v15 offset:112
	ds_load_2addr_b64 v[77:80], v14 offset0:224 offset1:240
	v_add_co_u32 v8, vcc_lo, v8, s12
	s_wait_dscnt 0xe
	v_dual_mul_f32 v10, v21, v18 :: v_dual_mul_f32 v11, v23, v20
	v_mul_f32_e32 v18, v22, v18
	s_wait_dscnt 0xc
	v_dual_mul_f32 v81, v25, v30 :: v_dual_mul_f32 v82, v27, v32
	s_wait_dscnt 0xa
	v_dual_mul_f32 v83, v37, v34 :: v_dual_mul_f32 v84, v39, v36
	v_fmac_f32_e32 v11, v24, v19
	s_wait_dscnt 0x6
	v_dual_mul_f32 v87, v53, v50 :: v_dual_fmac_f32 v10, v22, v17
	v_fma_f32 v17, v21, v17, -v18
	v_mul_f32_e32 v20, v24, v20
	s_wait_dscnt 0x4
	v_dual_mul_f32 v22, v59, v64 :: v_dual_fmac_f32 v81, v26, v29
	s_delay_alu instid0(VALU_DEP_3) | instskip(NEXT) | instid1(VALU_DEP_3)
	v_dual_add_f32 v10, 0, v10 :: v_dual_add_f32 v17, 0, v17
	v_fma_f32 v18, v23, v19, -v20
	v_fmac_f32_e32 v82, v28, v31
	s_delay_alu instid0(VALU_DEP_3) | instskip(SKIP_1) | instid1(VALU_DEP_4)
	v_dual_mul_f32 v19, v28, v32 :: v_dual_add_f32 v10, v10, v11
	v_mul_f32_e32 v11, v26, v30
	v_add_f32_e32 v17, v17, v18
	v_dual_fmac_f32 v83, v38, v33 :: v_dual_fmac_f32 v84, v40, v35
	s_delay_alu instid0(VALU_DEP_4) | instskip(NEXT) | instid1(VALU_DEP_4)
	v_fma_f32 v19, v27, v31, -v19
	v_fma_f32 v11, v25, v29, -v11
	v_dual_add_f32 v10, v10, v81 :: v_dual_mul_f32 v85, v41, v46
	v_mul_f32_e32 v86, v43, v48
	v_dual_mul_f32 v88, v55, v52 :: v_dual_mul_f32 v89, v57, v62
	s_delay_alu instid0(VALU_DEP_3) | instskip(SKIP_1) | instid1(VALU_DEP_4)
	v_dual_add_f32 v11, v17, v11 :: v_dual_add_f32 v10, v10, v82
	v_dual_mul_f32 v17, v40, v36 :: v_dual_mul_f32 v18, v38, v34
	v_dual_fmac_f32 v85, v42, v45 :: v_dual_fmac_f32 v86, v44, v47
	s_delay_alu instid0(VALU_DEP_3) | instskip(SKIP_1) | instid1(VALU_DEP_4)
	v_add_f32_e32 v11, v11, v19
	v_mul_f32_e32 v19, v42, v46
	v_fma_f32 v18, v37, v33, -v18
	v_add_f32_e32 v10, v10, v83
	v_fma_f32 v17, v39, v35, -v17
	v_dual_fmac_f32 v87, v54, v49 :: v_dual_fmac_f32 v88, v56, v51
	s_delay_alu instid0(VALU_DEP_3)
	v_dual_add_f32 v11, v11, v18 :: v_dual_add_f32 v10, v10, v84
	v_mul_f32_e32 v18, v44, v48
	v_fma_f32 v19, v41, v45, -v19
	s_wait_dscnt 0x2
	v_dual_fmac_f32 v89, v58, v61 :: v_dual_mul_f32 v20, v71, v68
	v_add_f32_e32 v11, v11, v17
	v_add_f32_e32 v10, v10, v85
	v_dual_mul_f32 v17, v54, v50 :: v_dual_fmac_f32 v22, v60, v63
	v_fma_f32 v18, v43, v47, -v18
	s_delay_alu instid0(VALU_DEP_3) | instskip(SKIP_1) | instid1(VALU_DEP_4)
	v_dual_add_f32 v11, v11, v19 :: v_dual_add_f32 v10, v10, v86
	v_mul_f32_e32 v19, v56, v52
	v_fma_f32 v17, v53, v49, -v17
	s_delay_alu instid0(VALU_DEP_3) | instskip(NEXT) | instid1(VALU_DEP_4)
	v_dual_fmac_f32 v20, v72, v67 :: v_dual_add_f32 v11, v11, v18
	v_add_f32_e32 v10, v10, v87
	s_delay_alu instid0(VALU_DEP_4) | instskip(NEXT) | instid1(VALU_DEP_2)
	v_fma_f32 v19, v55, v51, -v19
	v_dual_add_f32 v11, v11, v17 :: v_dual_add_f32 v10, v10, v88
	v_mul_f32_e32 v18, v58, v62
	v_mul_f32_e32 v17, v69, v66
	s_delay_alu instid0(VALU_DEP_3) | instskip(NEXT) | instid1(VALU_DEP_3)
	v_dual_add_f32 v11, v11, v19 :: v_dual_add_f32 v10, v10, v89
	v_fma_f32 v18, v57, v61, -v18
	v_mul_f32_e32 v19, v60, v64
	s_delay_alu instid0(VALU_DEP_4) | instskip(NEXT) | instid1(VALU_DEP_4)
	v_fmac_f32_e32 v17, v70, v65
	v_add_f32_e32 v10, v10, v22
	s_delay_alu instid0(VALU_DEP_4) | instskip(NEXT) | instid1(VALU_DEP_4)
	v_add_f32_e32 v11, v11, v18
	v_fma_f32 v18, v59, v63, -v19
	v_mul_f32_e32 v19, v70, v66
	s_wait_dscnt 0x0
	v_dual_add_f32 v10, v10, v17 :: v_dual_mul_f32 v17, v73, v78
	s_delay_alu instid0(VALU_DEP_1) | instskip(NEXT) | instid1(VALU_DEP_2)
	v_add_f32_e32 v10, v10, v20
	v_dual_mul_f32 v20, v75, v80 :: v_dual_fmac_f32 v17, v74, v77
	s_delay_alu instid0(VALU_DEP_1) | instskip(NEXT) | instid1(VALU_DEP_2)
	v_dual_fmac_f32 v20, v76, v79 :: v_dual_add_f32 v11, v11, v18
	v_add_f32_e32 v10, v10, v17
	v_fma_f32 v18, v69, v65, -v19
	s_delay_alu instid0(VALU_DEP_2) | instskip(SKIP_1) | instid1(VALU_DEP_3)
	v_add_f32_e32 v10, v10, v20
	v_mul_f32_e32 v19, v72, v68
	v_add_f32_e32 v11, v11, v18
	s_delay_alu instid0(VALU_DEP_2) | instskip(SKIP_1) | instid1(VALU_DEP_2)
	v_fma_f32 v18, v71, v67, -v19
	v_mul_f32_e32 v19, v74, v78
	v_add_f32_e32 v11, v11, v18
	s_delay_alu instid0(VALU_DEP_2) | instskip(NEXT) | instid1(VALU_DEP_1)
	v_fma_f32 v17, v73, v77, -v19
	v_dual_mul_f32 v18, v76, v80 :: v_dual_add_f32 v11, v11, v17
	s_delay_alu instid0(VALU_DEP_1) | instskip(SKIP_3) | instid1(VALU_DEP_3)
	v_fma_f32 v17, v75, v79, -v18
	s_wait_alu 0xfffd
	v_add_co_ci_u32_e64 v18, null, s13, v9, vcc_lo
	v_add_co_u32 v8, vcc_lo, v8, s14
	v_add_f32_e32 v11, v11, v17
	s_wait_alu 0xfffd
	s_delay_alu instid0(VALU_DEP_3)
	v_add_co_ci_u32_e64 v17, null, s15, v18, vcc_lo
	v_mul_f32_e32 v9, s26, v10
	v_mul_f32_e32 v10, s27, v10
	v_add_co_u32 v18, vcc_lo, v8, v6
	s_wait_alu 0xfffd
	v_add_co_ci_u32_e64 v17, null, v17, v7, vcc_lo
	s_delay_alu instid0(VALU_DEP_3) | instskip(NEXT) | instid1(VALU_DEP_3)
	v_fma_f32 v8, s26, v11, -v10
	v_add_co_u32 v10, vcc_lo, v18, v16
	v_fmac_f32_e32 v9, s27, v11
	s_wait_alu 0xfffd
	v_add_co_ci_u32_e64 v11, null, 0, v17, vcc_lo
	flat_store_b64 v[10:11], v[8:9]
	s_branch .LBB169_2
.LBB169_19:
	s_endpgm
	.section	.rodata,"a",@progbits
	.p2align	6, 0x0
	.amdhsa_kernel _ZL23rocblas_trmm_lNx_kernelILi16E19rocblas_complex_numIfES1_KPKS1_KPS1_Ev13rocblas_fill_17rocblas_diagonal_iiT1_lPT2_llSB_llPT3_lli
		.amdhsa_group_segment_fixed_size 4096
		.amdhsa_private_segment_fixed_size 0
		.amdhsa_kernarg_size 108
		.amdhsa_user_sgpr_count 2
		.amdhsa_user_sgpr_dispatch_ptr 0
		.amdhsa_user_sgpr_queue_ptr 0
		.amdhsa_user_sgpr_kernarg_segment_ptr 1
		.amdhsa_user_sgpr_dispatch_id 0
		.amdhsa_user_sgpr_private_segment_size 0
		.amdhsa_wavefront_size32 1
		.amdhsa_uses_dynamic_stack 0
		.amdhsa_enable_private_segment 0
		.amdhsa_system_sgpr_workgroup_id_x 1
		.amdhsa_system_sgpr_workgroup_id_y 0
		.amdhsa_system_sgpr_workgroup_id_z 1
		.amdhsa_system_sgpr_workgroup_info 0
		.amdhsa_system_vgpr_workitem_id 1
		.amdhsa_next_free_vgpr 90
		.amdhsa_next_free_sgpr 36
		.amdhsa_reserve_vcc 1
		.amdhsa_float_round_mode_32 0
		.amdhsa_float_round_mode_16_64 0
		.amdhsa_float_denorm_mode_32 3
		.amdhsa_float_denorm_mode_16_64 3
		.amdhsa_fp16_overflow 0
		.amdhsa_workgroup_processor_mode 1
		.amdhsa_memory_ordered 1
		.amdhsa_forward_progress 1
		.amdhsa_inst_pref_size 15
		.amdhsa_round_robin_scheduling 0
		.amdhsa_exception_fp_ieee_invalid_op 0
		.amdhsa_exception_fp_denorm_src 0
		.amdhsa_exception_fp_ieee_div_zero 0
		.amdhsa_exception_fp_ieee_overflow 0
		.amdhsa_exception_fp_ieee_underflow 0
		.amdhsa_exception_fp_ieee_inexact 0
		.amdhsa_exception_int_div_zero 0
	.end_amdhsa_kernel
	.section	.text._ZL23rocblas_trmm_lNx_kernelILi16E19rocblas_complex_numIfES1_KPKS1_KPS1_Ev13rocblas_fill_17rocblas_diagonal_iiT1_lPT2_llSB_llPT3_lli,"axG",@progbits,_ZL23rocblas_trmm_lNx_kernelILi16E19rocblas_complex_numIfES1_KPKS1_KPS1_Ev13rocblas_fill_17rocblas_diagonal_iiT1_lPT2_llSB_llPT3_lli,comdat
.Lfunc_end169:
	.size	_ZL23rocblas_trmm_lNx_kernelILi16E19rocblas_complex_numIfES1_KPKS1_KPS1_Ev13rocblas_fill_17rocblas_diagonal_iiT1_lPT2_llSB_llPT3_lli, .Lfunc_end169-_ZL23rocblas_trmm_lNx_kernelILi16E19rocblas_complex_numIfES1_KPKS1_KPS1_Ev13rocblas_fill_17rocblas_diagonal_iiT1_lPT2_llSB_llPT3_lli
                                        ; -- End function
	.set _ZL23rocblas_trmm_lNx_kernelILi16E19rocblas_complex_numIfES1_KPKS1_KPS1_Ev13rocblas_fill_17rocblas_diagonal_iiT1_lPT2_llSB_llPT3_lli.num_vgpr, 90
	.set _ZL23rocblas_trmm_lNx_kernelILi16E19rocblas_complex_numIfES1_KPKS1_KPS1_Ev13rocblas_fill_17rocblas_diagonal_iiT1_lPT2_llSB_llPT3_lli.num_agpr, 0
	.set _ZL23rocblas_trmm_lNx_kernelILi16E19rocblas_complex_numIfES1_KPKS1_KPS1_Ev13rocblas_fill_17rocblas_diagonal_iiT1_lPT2_llSB_llPT3_lli.numbered_sgpr, 36
	.set _ZL23rocblas_trmm_lNx_kernelILi16E19rocblas_complex_numIfES1_KPKS1_KPS1_Ev13rocblas_fill_17rocblas_diagonal_iiT1_lPT2_llSB_llPT3_lli.num_named_barrier, 0
	.set _ZL23rocblas_trmm_lNx_kernelILi16E19rocblas_complex_numIfES1_KPKS1_KPS1_Ev13rocblas_fill_17rocblas_diagonal_iiT1_lPT2_llSB_llPT3_lli.private_seg_size, 0
	.set _ZL23rocblas_trmm_lNx_kernelILi16E19rocblas_complex_numIfES1_KPKS1_KPS1_Ev13rocblas_fill_17rocblas_diagonal_iiT1_lPT2_llSB_llPT3_lli.uses_vcc, 1
	.set _ZL23rocblas_trmm_lNx_kernelILi16E19rocblas_complex_numIfES1_KPKS1_KPS1_Ev13rocblas_fill_17rocblas_diagonal_iiT1_lPT2_llSB_llPT3_lli.uses_flat_scratch, 0
	.set _ZL23rocblas_trmm_lNx_kernelILi16E19rocblas_complex_numIfES1_KPKS1_KPS1_Ev13rocblas_fill_17rocblas_diagonal_iiT1_lPT2_llSB_llPT3_lli.has_dyn_sized_stack, 0
	.set _ZL23rocblas_trmm_lNx_kernelILi16E19rocblas_complex_numIfES1_KPKS1_KPS1_Ev13rocblas_fill_17rocblas_diagonal_iiT1_lPT2_llSB_llPT3_lli.has_recursion, 0
	.set _ZL23rocblas_trmm_lNx_kernelILi16E19rocblas_complex_numIfES1_KPKS1_KPS1_Ev13rocblas_fill_17rocblas_diagonal_iiT1_lPT2_llSB_llPT3_lli.has_indirect_call, 0
	.section	.AMDGPU.csdata,"",@progbits
; Kernel info:
; codeLenInByte = 1812
; TotalNumSgprs: 38
; NumVgprs: 90
; ScratchSize: 0
; MemoryBound: 0
; FloatMode: 240
; IeeeMode: 1
; LDSByteSize: 4096 bytes/workgroup (compile time only)
; SGPRBlocks: 0
; VGPRBlocks: 11
; NumSGPRsForWavesPerEU: 38
; NumVGPRsForWavesPerEU: 90
; Occupancy: 16
; WaveLimiterHint : 1
; COMPUTE_PGM_RSRC2:SCRATCH_EN: 0
; COMPUTE_PGM_RSRC2:USER_SGPR: 2
; COMPUTE_PGM_RSRC2:TRAP_HANDLER: 0
; COMPUTE_PGM_RSRC2:TGID_X_EN: 1
; COMPUTE_PGM_RSRC2:TGID_Y_EN: 0
; COMPUTE_PGM_RSRC2:TGID_Z_EN: 1
; COMPUTE_PGM_RSRC2:TIDIG_COMP_CNT: 1
	.section	.text._ZL23rocblas_trmm_lTx_kernelILi16ELb0E19rocblas_complex_numIfEPKS1_KS3_KPS1_Ev13rocblas_fill_17rocblas_diagonal_iiT2_lPT3_llSB_llPT4_lli,"axG",@progbits,_ZL23rocblas_trmm_lTx_kernelILi16ELb0E19rocblas_complex_numIfEPKS1_KS3_KPS1_Ev13rocblas_fill_17rocblas_diagonal_iiT2_lPT3_llSB_llPT4_lli,comdat
	.globl	_ZL23rocblas_trmm_lTx_kernelILi16ELb0E19rocblas_complex_numIfEPKS1_KS3_KPS1_Ev13rocblas_fill_17rocblas_diagonal_iiT2_lPT3_llSB_llPT4_lli ; -- Begin function _ZL23rocblas_trmm_lTx_kernelILi16ELb0E19rocblas_complex_numIfEPKS1_KS3_KPS1_Ev13rocblas_fill_17rocblas_diagonal_iiT2_lPT3_llSB_llPT4_lli
	.p2align	8
	.type	_ZL23rocblas_trmm_lTx_kernelILi16ELb0E19rocblas_complex_numIfEPKS1_KS3_KPS1_Ev13rocblas_fill_17rocblas_diagonal_iiT2_lPT3_llSB_llPT4_lli,@function
_ZL23rocblas_trmm_lTx_kernelILi16ELb0E19rocblas_complex_numIfEPKS1_KS3_KPS1_Ev13rocblas_fill_17rocblas_diagonal_iiT2_lPT3_llSB_llPT4_lli: ; @_ZL23rocblas_trmm_lTx_kernelILi16ELb0E19rocblas_complex_numIfEPKS1_KS3_KPS1_Ev13rocblas_fill_17rocblas_diagonal_iiT2_lPT3_llSB_llPT4_lli
; %bb.0:
	s_load_b32 s3, s[0:1], 0x68
	s_lshr_b32 s28, ttmp7, 16
	s_wait_kmcnt 0x0
	s_cmp_ge_u32 s28, s3
	s_cbranch_scc1 .LBB170_19
; %bb.1:
	s_clause 0x3
	s_load_b512 s[4:19], s[0:1], 0x10
	s_load_b128 s[24:27], s[0:1], 0x0
	s_load_b128 s[20:23], s[0:1], 0x50
	s_load_b64 s[30:31], s[0:1], 0x60
	v_bfe_u32 v11, v0, 10, 10
	v_dual_mov_b32 v1, 0 :: v_dual_and_b32 v12, 0x3ff, v0
	s_mov_b32 s29, 0
	s_delay_alu instid0(VALU_DEP_2) | instskip(NEXT) | instid1(VALU_DEP_2)
	v_lshl_add_u32 v19, v11, 7, 0x800
	v_lshlrev_b32_e32 v21, 3, v12
	v_lshlrev_b32_e32 v18, 3, v12
	s_wait_kmcnt 0x0
	v_mad_co_u64_u32 v[2:3], null, s10, v11, 0
	v_mad_co_u64_u32 v[4:5], null, s16, v11, 0
	v_lshlrev_b32_e32 v0, 4, v11
	s_add_co_i32 s1, s27, -1
	v_lshlrev_b32_e32 v13, 3, v11
	s_ashr_i32 s2, s1, 31
	v_mad_co_u64_u32 v[6:7], null, s22, v11, 0
	v_add_lshl_u32 v16, v0, v12, 3
	v_mov_b32_e32 v0, v3
	s_lshr_b32 s2, s2, 28
	v_mov_b32_e32 v3, v5
	s_add_co_i32 s1, s1, s2
	v_cmp_gt_i32_e32 vcc_lo, s26, v11
	s_ashr_i32 s2, s1, 4
	s_and_b32 s1, s1, -16
	v_mad_co_u64_u32 v[8:9], null, s11, v11, v[0:1]
	v_cmp_gt_i32_e64 s0, s26, v12
	s_sub_co_i32 s1, s27, s1
	v_dual_mov_b32 v0, v7 :: v_dual_add_nc_u32 v17, 0x800, v16
	s_cmp_ge_i32 ttmp9, s2
	v_mad_co_u64_u32 v[9:10], null, s17, v11, v[3:4]
	s_cselect_b32 s1, s1, 16
	s_and_b32 s26, vcc_lo, s0
	v_cmp_gt_i32_e32 vcc_lo, s1, v11
	v_dual_mov_b32 v3, v8 :: v_dual_lshlrev_b32 v10, 7, v12
	v_mad_co_u64_u32 v[7:8], null, s23, v11, v[0:1]
	s_lshl_b32 s10, ttmp9, 4
	v_mov_b32_e32 v5, v9
	s_wait_alu 0xfffe
	s_ashr_i32 s11, s10, 31
	s_and_b32 s27, s0, vcc_lo
	v_cmp_eq_u32_e32 vcc_lo, v11, v12
	s_cmp_eq_u32 s25, 0x84
	v_lshlrev_b64_e32 v[2:3], 3, v[2:3]
	s_cselect_b32 s0, -1, 0
	v_lshlrev_b64_e32 v[4:5], 3, v[4:5]
	v_lshlrev_b64_e32 v[6:7], 3, v[6:7]
	s_wait_alu 0xfffe
	s_and_b32 s25, vcc_lo, s0
	v_cmp_lt_u32_e64 s0, v12, v11
	v_cmp_gt_u32_e64 s1, v12, v11
	v_add_nc_u32_e32 v20, v13, v10
	v_mov_b32_e32 v0, 1.0
	s_mul_u64 s[16:17], s[16:17], s[10:11]
	s_mul_u64 s[34:35], s[22:23], s[10:11]
	s_cmp_lg_u32 s24, 0x7a
	s_cselect_b32 s24, -1, 0
	s_lshl_b64 s[10:11], s[12:13], 3
	s_lshl_b64 s[12:13], s[18:19], 3
	s_wait_alu 0xfffe
	s_lshl_b64 s[16:17], s[16:17], 3
	s_lshl_b64 s[18:19], s[30:31], 3
	;; [unrolled: 1-line block ×3, first 2 shown]
	s_branch .LBB170_4
.LBB170_2:                              ;   in Loop: Header=BB170_4 Depth=1
	s_or_b32 exec_lo, exec_lo, s2
.LBB170_3:                              ;   in Loop: Header=BB170_4 Depth=1
	s_add_co_i32 s28, s28, 0x10000
	s_delay_alu instid0(SALU_CYCLE_1)
	s_cmp_lt_u32 s28, s3
	s_cbranch_scc0 .LBB170_19
.LBB170_4:                              ; =>This Inner Loop Header: Depth=1
	s_mul_u64 s[30:31], s[6:7], s[28:29]
	s_wait_alu 0xfffe
	s_lshl_b64 s[30:31], s[30:31], 3
	s_wait_alu 0xfffe
	s_add_nc_u64 s[30:31], s[4:5], s[30:31]
	global_load_b64 v[8:9], v1, s[30:31]
	s_wait_loadcnt 0x0
	v_cmp_neq_f32_e32 vcc_lo, 0, v8
	v_cmp_neq_f32_e64 s2, 0, v9
	s_or_b32 s2, vcc_lo, s2
	s_delay_alu instid0(SALU_CYCLE_1)
	s_and_not1_b32 vcc_lo, exec_lo, s2
	s_wait_alu 0xfffe
	s_cbranch_vccnz .LBB170_3
; %bb.5:                                ;   in Loop: Header=BB170_4 Depth=1
	s_lshl_b64 s[30:31], s[28:29], 3
	s_wait_alu 0xfffe
	s_add_nc_u64 s[34:35], s[8:9], s[30:31]
	s_add_nc_u64 s[36:37], s[14:15], s[30:31]
	;; [unrolled: 1-line block ×3, first 2 shown]
	s_clause 0x2
	global_load_b64 v[14:15], v1, s[34:35]
	global_load_b64 v[12:13], v1, s[36:37]
	global_load_b64 v[10:11], v1, s[30:31]
	s_mov_b32 s30, s29
	s_mov_b32 s31, s29
	s_wait_alu 0xfffe
	v_dual_mov_b32 v22, s30 :: v_dual_mov_b32 v23, s31
	ds_store_b64 v16, v[22:23]
	ds_store_b64 v17, v[22:23]
	s_wait_loadcnt_dscnt 0x0
	s_barrier_signal -1
	s_barrier_wait -1
	global_inv scope:SCOPE_SE
	s_and_saveexec_b32 s2, s26
	s_cbranch_execnz .LBB170_11
; %bb.6:                                ;   in Loop: Header=BB170_4 Depth=1
	s_or_b32 exec_lo, exec_lo, s2
	s_and_saveexec_b32 s2, s27
	s_cbranch_execnz .LBB170_12
.LBB170_7:                              ;   in Loop: Header=BB170_4 Depth=1
	s_or_b32 exec_lo, exec_lo, s2
	s_and_saveexec_b32 s2, s25
.LBB170_8:                              ;   in Loop: Header=BB170_4 Depth=1
	ds_store_b64 v16, v[0:1]
.LBB170_9:                              ;   in Loop: Header=BB170_4 Depth=1
	s_or_b32 exec_lo, exec_lo, s2
	s_delay_alu instid0(SALU_CYCLE_1)
	s_and_b32 vcc_lo, exec_lo, s24
	s_wait_loadcnt_dscnt 0x0
	s_barrier_signal -1
	s_barrier_wait -1
	global_inv scope:SCOPE_SE
	s_wait_alu 0xfffe
	s_cbranch_vccz .LBB170_13
; %bb.10:                               ;   in Loop: Header=BB170_4 Depth=1
	s_and_b32 s2, s0, exec_lo
	s_cbranch_execz .LBB170_14
	s_branch .LBB170_15
.LBB170_11:                             ;   in Loop: Header=BB170_4 Depth=1
	v_add_co_u32 v14, vcc_lo, v14, s10
	s_wait_alu 0xfffd
	v_add_co_ci_u32_e64 v15, null, s11, v15, vcc_lo
	s_delay_alu instid0(VALU_DEP_2) | instskip(SKIP_1) | instid1(VALU_DEP_2)
	v_add_co_u32 v14, vcc_lo, v14, v2
	s_wait_alu 0xfffd
	v_add_co_ci_u32_e64 v15, null, v15, v3, vcc_lo
	s_delay_alu instid0(VALU_DEP_2) | instskip(SKIP_1) | instid1(VALU_DEP_2)
	v_add_co_u32 v14, vcc_lo, v14, v21
	s_wait_alu 0xfffd
	v_add_co_ci_u32_e64 v15, null, 0, v15, vcc_lo
	flat_load_b64 v[14:15], v[14:15]
	s_wait_loadcnt_dscnt 0x0
	ds_store_b64 v20, v[14:15]
	s_or_b32 exec_lo, exec_lo, s2
	s_and_saveexec_b32 s2, s27
	s_cbranch_execz .LBB170_7
.LBB170_12:                             ;   in Loop: Header=BB170_4 Depth=1
	v_add_co_u32 v12, vcc_lo, v12, s12
	s_wait_alu 0xfffd
	v_add_co_ci_u32_e64 v13, null, s13, v13, vcc_lo
	s_wait_alu 0xfffe
	s_delay_alu instid0(VALU_DEP_2) | instskip(SKIP_1) | instid1(VALU_DEP_2)
	v_add_co_u32 v12, vcc_lo, v12, s16
	s_wait_alu 0xfffd
	v_add_co_ci_u32_e64 v13, null, s17, v13, vcc_lo
	s_delay_alu instid0(VALU_DEP_2) | instskip(SKIP_1) | instid1(VALU_DEP_2)
	v_add_co_u32 v12, vcc_lo, v12, v4
	s_wait_alu 0xfffd
	v_add_co_ci_u32_e64 v13, null, v13, v5, vcc_lo
	;; [unrolled: 4-line block ×3, first 2 shown]
	flat_load_b64 v[12:13], v[12:13]
	s_wait_loadcnt_dscnt 0x0
	ds_store_b64 v17, v[12:13]
	s_or_b32 exec_lo, exec_lo, s2
	s_and_saveexec_b32 s2, s25
	s_cbranch_execnz .LBB170_8
	s_branch .LBB170_9
.LBB170_13:                             ;   in Loop: Header=BB170_4 Depth=1
	s_mov_b32 s2, 0
.LBB170_14:                             ;   in Loop: Header=BB170_4 Depth=1
	s_delay_alu instid0(SALU_CYCLE_1)
	s_and_not1_b32 s2, s2, exec_lo
	s_and_b32 s30, s1, exec_lo
	s_wait_alu 0xfffe
	s_or_b32 s2, s2, s30
.LBB170_15:                             ;   in Loop: Header=BB170_4 Depth=1
	s_delay_alu instid0(SALU_CYCLE_1)
	s_and_saveexec_b32 s30, s2
; %bb.16:                               ;   in Loop: Header=BB170_4 Depth=1
	v_dual_mov_b32 v12, v1 :: v_dual_mov_b32 v13, v1
	ds_store_b64 v16, v[12:13]
; %bb.17:                               ;   in Loop: Header=BB170_4 Depth=1
	s_wait_alu 0xfffe
	s_or_b32 exec_lo, exec_lo, s30
	s_wait_loadcnt_dscnt 0x0
	s_barrier_signal -1
	s_barrier_wait -1
	global_inv scope:SCOPE_SE
	s_and_saveexec_b32 s2, s27
	s_cbranch_execz .LBB170_2
; %bb.18:                               ;   in Loop: Header=BB170_4 Depth=1
	ds_load_2addr_b64 v[12:15], v18 offset1:16
	ds_load_b128 v[22:25], v19
	ds_load_b128 v[26:29], v19 offset:16
	ds_load_2addr_b64 v[30:33], v18 offset0:32 offset1:48
	ds_load_2addr_b64 v[34:37], v18 offset0:64 offset1:80
	ds_load_b128 v[38:41], v19 offset:32
	ds_load_b128 v[42:45], v19 offset:48
	ds_load_2addr_b64 v[46:49], v18 offset0:96 offset1:112
	ds_load_2addr_b64 v[50:53], v18 offset0:128 offset1:144
	ds_load_b128 v[54:57], v19 offset:64
	;; [unrolled: 4-line block ×3, first 2 shown]
	ds_load_b128 v[74:77], v19 offset:112
	ds_load_2addr_b64 v[78:81], v18 offset0:224 offset1:240
	s_wait_dscnt 0xe
	v_dual_mul_f32 v82, v22, v13 :: v_dual_mul_f32 v83, v24, v15
	s_wait_dscnt 0xc
	v_dual_mul_f32 v84, v26, v31 :: v_dual_mul_f32 v85, v28, v33
	s_delay_alu instid0(VALU_DEP_2) | instskip(NEXT) | instid1(VALU_DEP_3)
	v_dual_mul_f32 v15, v25, v15 :: v_dual_fmac_f32 v82, v23, v12
	v_fmac_f32_e32 v83, v25, v14
	s_delay_alu instid0(VALU_DEP_3)
	v_fmac_f32_e32 v84, v27, v30
	s_wait_dscnt 0xa
	v_dual_mul_f32 v86, v38, v35 :: v_dual_mul_f32 v87, v40, v37
	s_wait_dscnt 0x4
	v_dual_mul_f32 v92, v58, v63 :: v_dual_mul_f32 v13, v23, v13
	v_dual_add_f32 v23, 0, v82 :: v_dual_mul_f32 v82, v60, v65
	v_fma_f32 v14, v24, v14, -v15
	v_fmac_f32_e32 v85, v29, v32
	s_delay_alu instid0(VALU_DEP_4) | instskip(NEXT) | instid1(VALU_DEP_4)
	v_fma_f32 v12, v22, v12, -v13
	v_add_f32_e32 v13, v23, v83
	v_dual_mul_f32 v22, v27, v31 :: v_dual_mul_f32 v15, v29, v33
	v_fmac_f32_e32 v86, v39, v34
	s_delay_alu instid0(VALU_DEP_4) | instskip(NEXT) | instid1(VALU_DEP_4)
	v_add_f32_e32 v12, 0, v12
	v_add_f32_e32 v13, v13, v84
	s_delay_alu instid0(VALU_DEP_4) | instskip(SKIP_1) | instid1(VALU_DEP_3)
	v_fma_f32 v22, v26, v30, -v22
	v_dual_mul_f32 v88, v42, v47 :: v_dual_mul_f32 v89, v44, v49
	v_dual_add_f32 v12, v12, v14 :: v_dual_add_f32 v13, v13, v85
	v_mul_f32_e32 v14, v39, v35
	v_fma_f32 v15, v28, v32, -v15
	s_delay_alu instid0(VALU_DEP_3) | instskip(NEXT) | instid1(VALU_DEP_4)
	v_dual_fmac_f32 v87, v41, v36 :: v_dual_add_f32 v12, v12, v22
	v_add_f32_e32 v13, v13, v86
	v_mul_f32_e32 v22, v41, v37
	v_fma_f32 v14, v38, v34, -v14
	v_dual_mul_f32 v90, v54, v51 :: v_dual_mul_f32 v91, v56, v53
	v_add_f32_e32 v12, v12, v15
	v_dual_fmac_f32 v88, v43, v46 :: v_dual_add_f32 v13, v13, v87
	v_mul_f32_e32 v15, v43, v47
	v_fma_f32 v22, v40, v36, -v22
	s_delay_alu instid0(VALU_DEP_4) | instskip(NEXT) | instid1(VALU_DEP_4)
	v_dual_add_f32 v12, v12, v14 :: v_dual_fmac_f32 v89, v45, v48
	v_add_f32_e32 v13, v13, v88
	v_mul_f32_e32 v14, v45, v49
	v_fma_f32 v15, v42, v46, -v15
	s_delay_alu instid0(VALU_DEP_4) | instskip(NEXT) | instid1(VALU_DEP_4)
	v_add_f32_e32 v12, v12, v22
	v_dual_fmac_f32 v90, v55, v50 :: v_dual_add_f32 v13, v13, v89
	v_dual_mul_f32 v22, v55, v51 :: v_dual_fmac_f32 v91, v57, v52
	v_fma_f32 v14, v44, v48, -v14
	s_delay_alu instid0(VALU_DEP_3) | instskip(SKIP_1) | instid1(VALU_DEP_4)
	v_dual_add_f32 v12, v12, v15 :: v_dual_add_f32 v13, v13, v90
	v_mul_f32_e32 v15, v57, v53
	v_fma_f32 v22, v54, v50, -v22
	v_fmac_f32_e32 v92, v59, v62
	s_delay_alu instid0(VALU_DEP_4)
	v_dual_add_f32 v12, v12, v14 :: v_dual_add_f32 v13, v13, v91
	v_mul_f32_e32 v14, v59, v63
	v_fma_f32 v15, v56, v52, -v15
	s_wait_dscnt 0x2
	v_dual_fmac_f32 v82, v61, v64 :: v_dual_mul_f32 v23, v72, v69
	v_dual_add_f32 v12, v12, v22 :: v_dual_add_f32 v13, v13, v92
	v_mul_f32_e32 v22, v70, v67
	v_fma_f32 v14, v58, v62, -v14
	s_delay_alu instid0(VALU_DEP_4) | instskip(NEXT) | instid1(VALU_DEP_4)
	v_fmac_f32_e32 v23, v73, v68
	v_add_f32_e32 v13, v13, v82
	s_delay_alu instid0(VALU_DEP_4) | instskip(SKIP_1) | instid1(VALU_DEP_2)
	v_fmac_f32_e32 v22, v71, v66
	v_dual_add_f32 v12, v12, v15 :: v_dual_mul_f32 v15, v61, v65
	v_add_f32_e32 v13, v13, v22
	s_delay_alu instid0(VALU_DEP_2) | instskip(NEXT) | instid1(VALU_DEP_3)
	v_add_f32_e32 v12, v12, v14
	v_fma_f32 v14, v60, v64, -v15
	v_mul_f32_e32 v15, v71, v67
	s_wait_dscnt 0x0
	v_mul_f32_e32 v22, v74, v79
	v_add_f32_e32 v13, v13, v23
	v_mul_f32_e32 v23, v76, v81
	v_add_f32_e32 v12, v12, v14
	v_fma_f32 v14, v70, v66, -v15
	v_dual_mul_f32 v15, v73, v69 :: v_dual_fmac_f32 v22, v75, v78
	s_delay_alu instid0(VALU_DEP_2) | instskip(NEXT) | instid1(VALU_DEP_2)
	v_dual_fmac_f32 v23, v77, v80 :: v_dual_add_f32 v12, v12, v14
	v_fma_f32 v14, v72, v68, -v15
	v_mul_f32_e32 v15, v75, v79
	s_delay_alu instid0(VALU_DEP_4) | instskip(NEXT) | instid1(VALU_DEP_3)
	v_add_f32_e32 v13, v13, v22
	v_add_f32_e32 v12, v12, v14
	s_delay_alu instid0(VALU_DEP_3) | instskip(SKIP_1) | instid1(VALU_DEP_2)
	v_fma_f32 v14, v74, v78, -v15
	v_mul_f32_e32 v15, v77, v81
	v_dual_add_f32 v13, v13, v23 :: v_dual_add_f32 v12, v12, v14
	s_delay_alu instid0(VALU_DEP_2) | instskip(SKIP_3) | instid1(VALU_DEP_3)
	v_fma_f32 v14, v76, v80, -v15
	v_add_co_u32 v15, vcc_lo, v10, s18
	s_wait_alu 0xfffd
	v_add_co_ci_u32_e64 v11, null, s19, v11, vcc_lo
	v_add_f32_e32 v12, v12, v14
	v_mul_f32_e32 v10, v8, v13
	v_add_co_u32 v14, vcc_lo, v15, s22
	s_wait_alu 0xfffd
	v_add_co_ci_u32_e64 v11, null, s23, v11, vcc_lo
	s_delay_alu instid0(VALU_DEP_3) | instskip(SKIP_4) | instid1(VALU_DEP_3)
	v_fmac_f32_e32 v10, v9, v12
	v_mul_f32_e32 v9, v9, v13
	v_add_co_u32 v13, vcc_lo, v14, v6
	s_wait_alu 0xfffd
	v_add_co_ci_u32_e64 v14, null, v11, v7, vcc_lo
	v_fma_f32 v9, v8, v12, -v9
	s_delay_alu instid0(VALU_DEP_3) | instskip(SKIP_1) | instid1(VALU_DEP_3)
	v_add_co_u32 v11, vcc_lo, v13, v21
	s_wait_alu 0xfffd
	v_add_co_ci_u32_e64 v12, null, 0, v14, vcc_lo
	flat_store_b64 v[11:12], v[9:10]
	s_branch .LBB170_2
.LBB170_19:
	s_endpgm
	.section	.rodata,"a",@progbits
	.p2align	6, 0x0
	.amdhsa_kernel _ZL23rocblas_trmm_lTx_kernelILi16ELb0E19rocblas_complex_numIfEPKS1_KS3_KPS1_Ev13rocblas_fill_17rocblas_diagonal_iiT2_lPT3_llSB_llPT4_lli
		.amdhsa_group_segment_fixed_size 4096
		.amdhsa_private_segment_fixed_size 0
		.amdhsa_kernarg_size 108
		.amdhsa_user_sgpr_count 2
		.amdhsa_user_sgpr_dispatch_ptr 0
		.amdhsa_user_sgpr_queue_ptr 0
		.amdhsa_user_sgpr_kernarg_segment_ptr 1
		.amdhsa_user_sgpr_dispatch_id 0
		.amdhsa_user_sgpr_private_segment_size 0
		.amdhsa_wavefront_size32 1
		.amdhsa_uses_dynamic_stack 0
		.amdhsa_enable_private_segment 0
		.amdhsa_system_sgpr_workgroup_id_x 1
		.amdhsa_system_sgpr_workgroup_id_y 0
		.amdhsa_system_sgpr_workgroup_id_z 1
		.amdhsa_system_sgpr_workgroup_info 0
		.amdhsa_system_vgpr_workitem_id 1
		.amdhsa_next_free_vgpr 93
		.amdhsa_next_free_sgpr 38
		.amdhsa_reserve_vcc 1
		.amdhsa_float_round_mode_32 0
		.amdhsa_float_round_mode_16_64 0
		.amdhsa_float_denorm_mode_32 3
		.amdhsa_float_denorm_mode_16_64 3
		.amdhsa_fp16_overflow 0
		.amdhsa_workgroup_processor_mode 1
		.amdhsa_memory_ordered 1
		.amdhsa_forward_progress 1
		.amdhsa_inst_pref_size 15
		.amdhsa_round_robin_scheduling 0
		.amdhsa_exception_fp_ieee_invalid_op 0
		.amdhsa_exception_fp_denorm_src 0
		.amdhsa_exception_fp_ieee_div_zero 0
		.amdhsa_exception_fp_ieee_overflow 0
		.amdhsa_exception_fp_ieee_underflow 0
		.amdhsa_exception_fp_ieee_inexact 0
		.amdhsa_exception_int_div_zero 0
	.end_amdhsa_kernel
	.section	.text._ZL23rocblas_trmm_lTx_kernelILi16ELb0E19rocblas_complex_numIfEPKS1_KS3_KPS1_Ev13rocblas_fill_17rocblas_diagonal_iiT2_lPT3_llSB_llPT4_lli,"axG",@progbits,_ZL23rocblas_trmm_lTx_kernelILi16ELb0E19rocblas_complex_numIfEPKS1_KS3_KPS1_Ev13rocblas_fill_17rocblas_diagonal_iiT2_lPT3_llSB_llPT4_lli,comdat
.Lfunc_end170:
	.size	_ZL23rocblas_trmm_lTx_kernelILi16ELb0E19rocblas_complex_numIfEPKS1_KS3_KPS1_Ev13rocblas_fill_17rocblas_diagonal_iiT2_lPT3_llSB_llPT4_lli, .Lfunc_end170-_ZL23rocblas_trmm_lTx_kernelILi16ELb0E19rocblas_complex_numIfEPKS1_KS3_KPS1_Ev13rocblas_fill_17rocblas_diagonal_iiT2_lPT3_llSB_llPT4_lli
                                        ; -- End function
	.set _ZL23rocblas_trmm_lTx_kernelILi16ELb0E19rocblas_complex_numIfEPKS1_KS3_KPS1_Ev13rocblas_fill_17rocblas_diagonal_iiT2_lPT3_llSB_llPT4_lli.num_vgpr, 93
	.set _ZL23rocblas_trmm_lTx_kernelILi16ELb0E19rocblas_complex_numIfEPKS1_KS3_KPS1_Ev13rocblas_fill_17rocblas_diagonal_iiT2_lPT3_llSB_llPT4_lli.num_agpr, 0
	.set _ZL23rocblas_trmm_lTx_kernelILi16ELb0E19rocblas_complex_numIfEPKS1_KS3_KPS1_Ev13rocblas_fill_17rocblas_diagonal_iiT2_lPT3_llSB_llPT4_lli.numbered_sgpr, 38
	.set _ZL23rocblas_trmm_lTx_kernelILi16ELb0E19rocblas_complex_numIfEPKS1_KS3_KPS1_Ev13rocblas_fill_17rocblas_diagonal_iiT2_lPT3_llSB_llPT4_lli.num_named_barrier, 0
	.set _ZL23rocblas_trmm_lTx_kernelILi16ELb0E19rocblas_complex_numIfEPKS1_KS3_KPS1_Ev13rocblas_fill_17rocblas_diagonal_iiT2_lPT3_llSB_llPT4_lli.private_seg_size, 0
	.set _ZL23rocblas_trmm_lTx_kernelILi16ELb0E19rocblas_complex_numIfEPKS1_KS3_KPS1_Ev13rocblas_fill_17rocblas_diagonal_iiT2_lPT3_llSB_llPT4_lli.uses_vcc, 1
	.set _ZL23rocblas_trmm_lTx_kernelILi16ELb0E19rocblas_complex_numIfEPKS1_KS3_KPS1_Ev13rocblas_fill_17rocblas_diagonal_iiT2_lPT3_llSB_llPT4_lli.uses_flat_scratch, 0
	.set _ZL23rocblas_trmm_lTx_kernelILi16ELb0E19rocblas_complex_numIfEPKS1_KS3_KPS1_Ev13rocblas_fill_17rocblas_diagonal_iiT2_lPT3_llSB_llPT4_lli.has_dyn_sized_stack, 0
	.set _ZL23rocblas_trmm_lTx_kernelILi16ELb0E19rocblas_complex_numIfEPKS1_KS3_KPS1_Ev13rocblas_fill_17rocblas_diagonal_iiT2_lPT3_llSB_llPT4_lli.has_recursion, 0
	.set _ZL23rocblas_trmm_lTx_kernelILi16ELb0E19rocblas_complex_numIfEPKS1_KS3_KPS1_Ev13rocblas_fill_17rocblas_diagonal_iiT2_lPT3_llSB_llPT4_lli.has_indirect_call, 0
	.section	.AMDGPU.csdata,"",@progbits
; Kernel info:
; codeLenInByte = 1816
; TotalNumSgprs: 40
; NumVgprs: 93
; ScratchSize: 0
; MemoryBound: 0
; FloatMode: 240
; IeeeMode: 1
; LDSByteSize: 4096 bytes/workgroup (compile time only)
; SGPRBlocks: 0
; VGPRBlocks: 11
; NumSGPRsForWavesPerEU: 40
; NumVGPRsForWavesPerEU: 93
; Occupancy: 16
; WaveLimiterHint : 1
; COMPUTE_PGM_RSRC2:SCRATCH_EN: 0
; COMPUTE_PGM_RSRC2:USER_SGPR: 2
; COMPUTE_PGM_RSRC2:TRAP_HANDLER: 0
; COMPUTE_PGM_RSRC2:TGID_X_EN: 1
; COMPUTE_PGM_RSRC2:TGID_Y_EN: 0
; COMPUTE_PGM_RSRC2:TGID_Z_EN: 1
; COMPUTE_PGM_RSRC2:TIDIG_COMP_CNT: 1
	.section	.text._ZL23rocblas_trmm_lTx_kernelILi16ELb0E19rocblas_complex_numIfES1_KPKS1_KPS1_Ev13rocblas_fill_17rocblas_diagonal_iiT2_lPT3_llSB_llPT4_lli,"axG",@progbits,_ZL23rocblas_trmm_lTx_kernelILi16ELb0E19rocblas_complex_numIfES1_KPKS1_KPS1_Ev13rocblas_fill_17rocblas_diagonal_iiT2_lPT3_llSB_llPT4_lli,comdat
	.globl	_ZL23rocblas_trmm_lTx_kernelILi16ELb0E19rocblas_complex_numIfES1_KPKS1_KPS1_Ev13rocblas_fill_17rocblas_diagonal_iiT2_lPT3_llSB_llPT4_lli ; -- Begin function _ZL23rocblas_trmm_lTx_kernelILi16ELb0E19rocblas_complex_numIfES1_KPKS1_KPS1_Ev13rocblas_fill_17rocblas_diagonal_iiT2_lPT3_llSB_llPT4_lli
	.p2align	8
	.type	_ZL23rocblas_trmm_lTx_kernelILi16ELb0E19rocblas_complex_numIfES1_KPKS1_KPS1_Ev13rocblas_fill_17rocblas_diagonal_iiT2_lPT3_llSB_llPT4_lli,@function
_ZL23rocblas_trmm_lTx_kernelILi16ELb0E19rocblas_complex_numIfES1_KPKS1_KPS1_Ev13rocblas_fill_17rocblas_diagonal_iiT2_lPT3_llSB_llPT4_lli: ; @_ZL23rocblas_trmm_lTx_kernelILi16ELb0E19rocblas_complex_numIfES1_KPKS1_KPS1_Ev13rocblas_fill_17rocblas_diagonal_iiT2_lPT3_llSB_llPT4_lli
; %bb.0:
	s_load_b32 s28, s[0:1], 0x68
	s_lshr_b32 s24, ttmp7, 16
	s_wait_kmcnt 0x0
	s_cmp_ge_u32 s24, s28
	s_cbranch_scc1 .LBB171_19
; %bb.1:
	s_clause 0x2
	s_load_b64 s[26:27], s[0:1], 0x10
	s_load_b128 s[20:23], s[0:1], 0x0
	s_load_b512 s[4:19], s[0:1], 0x20
	v_bfe_u32 v11, v0, 10, 10
	v_dual_mov_b32 v1, 0 :: v_dual_and_b32 v12, 0x3ff, v0
	s_load_b64 s[30:31], s[0:1], 0x60
	s_mov_b32 s25, 0
	s_delay_alu instid0(VALU_DEP_2) | instskip(NEXT) | instid1(VALU_DEP_2)
	v_lshl_add_u32 v17, v11, 7, 0x800
	v_cmp_eq_u32_e32 vcc_lo, v11, v12
	v_lshlrev_b32_e32 v19, 3, v12
	v_lshlrev_b32_e32 v16, 3, v12
	s_wait_kmcnt 0x0
	s_cmp_neq_f32 s26, 0
	v_cmp_gt_i32_e64 s0, s22, v11
	v_mad_co_u64_u32 v[2:3], null, s6, v11, 0
	s_cselect_b32 s2, -1, 0
	s_cmp_neq_f32 s27, 0
	v_mad_co_u64_u32 v[4:5], null, s12, v11, 0
	v_lshlrev_b32_e32 v0, 4, v11
	s_cselect_b32 s3, -1, 0
	s_add_co_i32 s6, s23, -1
	v_cmp_gt_i32_e64 s1, s22, v12
	s_wait_alu 0xfffe
	s_ashr_i32 s22, s6, 31
	v_add_lshl_u32 v14, v0, v12, 3
	v_dual_mov_b32 v0, v3 :: v_dual_lshlrev_b32 v13, 3, v11
	v_mad_co_u64_u32 v[6:7], null, s18, v11, 0
	s_wait_alu 0xfffe
	s_lshr_b32 s29, s22, 28
	v_mov_b32_e32 v3, v5
	s_add_co_i32 s6, s6, s29
	s_or_b32 s22, s2, s3
	v_mad_co_u64_u32 v[8:9], null, s7, v11, v[0:1]
	s_wait_alu 0xfffe
	s_and_b32 s2, s6, -16
	s_ashr_i32 s3, s6, 4
	s_sub_co_i32 s2, s23, s2
	v_dual_mov_b32 v0, v7 :: v_dual_add_nc_u32 v15, 0x800, v14
	s_cmp_ge_i32 ttmp9, s3
	v_mad_co_u64_u32 v[9:10], null, s13, v11, v[3:4]
	s_cselect_b32 s2, s2, 16
	v_dual_mov_b32 v3, v8 :: v_dual_lshlrev_b32 v18, 7, v12
	v_cmp_gt_i32_e64 s2, s2, v11
	v_mad_co_u64_u32 v[7:8], null, s19, v11, v[0:1]
	s_lshl_b32 s6, ttmp9, 4
	v_mov_b32_e32 v5, v9
	s_and_b32 s23, s0, s1
	s_wait_alu 0xfffe
	s_ashr_i32 s7, s6, 31
	s_and_b32 s29, s1, s2
	s_cmp_eq_u32 s21, 0x84
	v_lshlrev_b64_e32 v[2:3], 3, v[2:3]
	s_cselect_b32 s0, -1, 0
	v_lshlrev_b64_e32 v[4:5], 3, v[4:5]
	v_lshlrev_b64_e32 v[6:7], 3, v[6:7]
	s_wait_alu 0xfffe
	s_mul_u64 s[34:35], s[18:19], s[6:7]
	s_and_b32 s18, vcc_lo, s0
	v_cmp_lt_u32_e64 s0, v12, v11
	v_cmp_gt_u32_e64 s1, v12, v11
	v_add_nc_u32_e32 v18, v13, v18
	v_mov_b32_e32 v0, 1.0
	s_mul_u64 s[12:13], s[12:13], s[6:7]
	s_cmp_lg_u32 s20, 0x7a
	s_cselect_b32 s19, -1, 0
	s_lshl_b64 s[2:3], s[8:9], 3
	s_lshl_b64 s[6:7], s[14:15], 3
	s_wait_alu 0xfffe
	s_lshl_b64 s[8:9], s[12:13], 3
	s_lshl_b64 s[12:13], s[30:31], 3
	;; [unrolled: 1-line block ×3, first 2 shown]
	s_branch .LBB171_4
.LBB171_2:                              ;   in Loop: Header=BB171_4 Depth=1
	s_wait_alu 0xfffe
	s_or_b32 exec_lo, exec_lo, s20
.LBB171_3:                              ;   in Loop: Header=BB171_4 Depth=1
	s_add_co_i32 s24, s24, 0x10000
	s_delay_alu instid0(SALU_CYCLE_1)
	s_cmp_lt_u32 s24, s28
	s_cbranch_scc0 .LBB171_19
.LBB171_4:                              ; =>This Inner Loop Header: Depth=1
	s_and_not1_b32 vcc_lo, exec_lo, s22
	s_wait_alu 0xfffe
	s_cbranch_vccnz .LBB171_3
; %bb.5:                                ;   in Loop: Header=BB171_4 Depth=1
	s_lshl_b64 s[20:21], s[24:25], 3
	s_wait_alu 0xfffe
	s_add_nc_u64 s[30:31], s[4:5], s[20:21]
	s_add_nc_u64 s[34:35], s[10:11], s[20:21]
	s_add_nc_u64 s[20:21], s[16:17], s[20:21]
	s_clause 0x2
	global_load_b64 v[12:13], v1, s[30:31]
	global_load_b64 v[10:11], v1, s[34:35]
	;; [unrolled: 1-line block ×3, first 2 shown]
	s_mov_b32 s20, s25
	s_mov_b32 s21, s25
	s_wait_alu 0xfffe
	v_dual_mov_b32 v20, s20 :: v_dual_mov_b32 v21, s21
	ds_store_b64 v14, v[20:21]
	ds_store_b64 v15, v[20:21]
	s_wait_loadcnt_dscnt 0x0
	s_barrier_signal -1
	s_barrier_wait -1
	global_inv scope:SCOPE_SE
	s_and_saveexec_b32 s20, s23
	s_cbranch_execnz .LBB171_11
; %bb.6:                                ;   in Loop: Header=BB171_4 Depth=1
	s_wait_alu 0xfffe
	s_or_b32 exec_lo, exec_lo, s20
	s_and_saveexec_b32 s20, s29
	s_cbranch_execnz .LBB171_12
.LBB171_7:                              ;   in Loop: Header=BB171_4 Depth=1
	s_wait_alu 0xfffe
	s_or_b32 exec_lo, exec_lo, s20
	s_and_saveexec_b32 s20, s18
.LBB171_8:                              ;   in Loop: Header=BB171_4 Depth=1
	ds_store_b64 v14, v[0:1]
.LBB171_9:                              ;   in Loop: Header=BB171_4 Depth=1
	s_wait_alu 0xfffe
	s_or_b32 exec_lo, exec_lo, s20
	s_delay_alu instid0(SALU_CYCLE_1)
	s_and_b32 vcc_lo, exec_lo, s19
	s_wait_loadcnt_dscnt 0x0
	s_barrier_signal -1
	s_barrier_wait -1
	global_inv scope:SCOPE_SE
	s_wait_alu 0xfffe
	s_cbranch_vccz .LBB171_13
; %bb.10:                               ;   in Loop: Header=BB171_4 Depth=1
	s_and_b32 s20, s0, exec_lo
	s_cbranch_execz .LBB171_14
	s_branch .LBB171_15
.LBB171_11:                             ;   in Loop: Header=BB171_4 Depth=1
	v_add_co_u32 v12, vcc_lo, v12, s2
	s_wait_alu 0xfffd
	v_add_co_ci_u32_e64 v13, null, s3, v13, vcc_lo
	s_delay_alu instid0(VALU_DEP_2) | instskip(SKIP_1) | instid1(VALU_DEP_2)
	v_add_co_u32 v12, vcc_lo, v12, v2
	s_wait_alu 0xfffd
	v_add_co_ci_u32_e64 v13, null, v13, v3, vcc_lo
	s_delay_alu instid0(VALU_DEP_2) | instskip(SKIP_1) | instid1(VALU_DEP_2)
	v_add_co_u32 v12, vcc_lo, v12, v19
	s_wait_alu 0xfffd
	v_add_co_ci_u32_e64 v13, null, 0, v13, vcc_lo
	flat_load_b64 v[12:13], v[12:13]
	s_wait_loadcnt_dscnt 0x0
	ds_store_b64 v18, v[12:13]
	s_wait_alu 0xfffe
	s_or_b32 exec_lo, exec_lo, s20
	s_and_saveexec_b32 s20, s29
	s_cbranch_execz .LBB171_7
.LBB171_12:                             ;   in Loop: Header=BB171_4 Depth=1
	v_add_co_u32 v10, vcc_lo, v10, s6
	s_wait_alu 0xfffd
	v_add_co_ci_u32_e64 v11, null, s7, v11, vcc_lo
	s_delay_alu instid0(VALU_DEP_2) | instskip(SKIP_1) | instid1(VALU_DEP_2)
	v_add_co_u32 v10, vcc_lo, v10, s8
	s_wait_alu 0xfffd
	v_add_co_ci_u32_e64 v11, null, s9, v11, vcc_lo
	s_delay_alu instid0(VALU_DEP_2) | instskip(SKIP_1) | instid1(VALU_DEP_2)
	;; [unrolled: 4-line block ×3, first 2 shown]
	v_add_co_u32 v10, vcc_lo, v10, v19
	s_wait_alu 0xfffd
	v_add_co_ci_u32_e64 v11, null, 0, v11, vcc_lo
	flat_load_b64 v[10:11], v[10:11]
	s_wait_loadcnt_dscnt 0x0
	ds_store_b64 v15, v[10:11]
	s_wait_alu 0xfffe
	s_or_b32 exec_lo, exec_lo, s20
	s_and_saveexec_b32 s20, s18
	s_cbranch_execnz .LBB171_8
	s_branch .LBB171_9
.LBB171_13:                             ;   in Loop: Header=BB171_4 Depth=1
	s_mov_b32 s20, 0
.LBB171_14:                             ;   in Loop: Header=BB171_4 Depth=1
	s_wait_alu 0xfffe
	s_and_not1_b32 s20, s20, exec_lo
	s_and_b32 s21, s1, exec_lo
	s_wait_alu 0xfffe
	s_or_b32 s20, s20, s21
.LBB171_15:                             ;   in Loop: Header=BB171_4 Depth=1
	s_wait_alu 0xfffe
	s_and_saveexec_b32 s21, s20
; %bb.16:                               ;   in Loop: Header=BB171_4 Depth=1
	v_dual_mov_b32 v10, v1 :: v_dual_mov_b32 v11, v1
	ds_store_b64 v14, v[10:11]
; %bb.17:                               ;   in Loop: Header=BB171_4 Depth=1
	s_wait_alu 0xfffe
	s_or_b32 exec_lo, exec_lo, s21
	s_wait_loadcnt_dscnt 0x0
	s_barrier_signal -1
	s_barrier_wait -1
	global_inv scope:SCOPE_SE
	s_and_saveexec_b32 s20, s29
	s_cbranch_execz .LBB171_2
; %bb.18:                               ;   in Loop: Header=BB171_4 Depth=1
	ds_load_2addr_b64 v[10:13], v16 offset1:16
	ds_load_b128 v[20:23], v17
	ds_load_b128 v[24:27], v17 offset:16
	ds_load_2addr_b64 v[28:31], v16 offset0:32 offset1:48
	ds_load_2addr_b64 v[32:35], v16 offset0:64 offset1:80
	ds_load_b128 v[36:39], v17 offset:32
	ds_load_b128 v[40:43], v17 offset:48
	ds_load_2addr_b64 v[44:47], v16 offset0:96 offset1:112
	ds_load_2addr_b64 v[48:51], v16 offset0:128 offset1:144
	ds_load_b128 v[52:55], v17 offset:64
	;; [unrolled: 4-line block ×3, first 2 shown]
	ds_load_b128 v[72:75], v17 offset:112
	ds_load_2addr_b64 v[76:79], v16 offset0:224 offset1:240
	v_add_co_u32 v8, vcc_lo, v8, s12
	s_wait_dscnt 0xe
	v_dual_mul_f32 v80, v20, v11 :: v_dual_mul_f32 v81, v22, v13
	s_wait_dscnt 0xc
	v_dual_mul_f32 v82, v24, v29 :: v_dual_mul_f32 v83, v26, v31
	s_delay_alu instid0(VALU_DEP_2) | instskip(NEXT) | instid1(VALU_DEP_3)
	v_dual_mul_f32 v13, v23, v13 :: v_dual_fmac_f32 v80, v21, v10
	v_fmac_f32_e32 v81, v23, v12
	s_delay_alu instid0(VALU_DEP_3)
	v_fmac_f32_e32 v82, v25, v28
	s_wait_dscnt 0xa
	v_dual_mul_f32 v84, v36, v33 :: v_dual_mul_f32 v85, v38, v35
	s_wait_dscnt 0x4
	v_dual_mul_f32 v90, v56, v61 :: v_dual_mul_f32 v11, v21, v11
	v_dual_add_f32 v21, 0, v80 :: v_dual_mul_f32 v80, v58, v63
	v_fma_f32 v12, v22, v12, -v13
	v_fmac_f32_e32 v83, v27, v30
	s_delay_alu instid0(VALU_DEP_4) | instskip(NEXT) | instid1(VALU_DEP_4)
	v_fma_f32 v10, v20, v10, -v11
	v_add_f32_e32 v11, v21, v81
	v_dual_mul_f32 v20, v25, v29 :: v_dual_mul_f32 v13, v27, v31
	v_fmac_f32_e32 v84, v37, v32
	s_delay_alu instid0(VALU_DEP_4) | instskip(NEXT) | instid1(VALU_DEP_4)
	v_add_f32_e32 v10, 0, v10
	v_add_f32_e32 v11, v11, v82
	s_delay_alu instid0(VALU_DEP_4) | instskip(SKIP_1) | instid1(VALU_DEP_3)
	v_fma_f32 v20, v24, v28, -v20
	v_dual_mul_f32 v86, v40, v45 :: v_dual_mul_f32 v87, v42, v47
	v_dual_add_f32 v10, v10, v12 :: v_dual_add_f32 v11, v11, v83
	v_mul_f32_e32 v12, v37, v33
	v_fma_f32 v13, v26, v30, -v13
	s_delay_alu instid0(VALU_DEP_3) | instskip(NEXT) | instid1(VALU_DEP_4)
	v_dual_fmac_f32 v85, v39, v34 :: v_dual_add_f32 v10, v10, v20
	v_add_f32_e32 v11, v11, v84
	v_mul_f32_e32 v20, v39, v35
	v_fma_f32 v12, v36, v32, -v12
	v_dual_mul_f32 v88, v52, v49 :: v_dual_mul_f32 v89, v54, v51
	v_add_f32_e32 v10, v10, v13
	v_dual_fmac_f32 v86, v41, v44 :: v_dual_add_f32 v11, v11, v85
	v_mul_f32_e32 v13, v41, v45
	v_fma_f32 v20, v38, v34, -v20
	s_delay_alu instid0(VALU_DEP_4) | instskip(NEXT) | instid1(VALU_DEP_4)
	v_dual_add_f32 v10, v10, v12 :: v_dual_fmac_f32 v87, v43, v46
	v_add_f32_e32 v11, v11, v86
	v_mul_f32_e32 v12, v43, v47
	v_fma_f32 v13, v40, v44, -v13
	s_delay_alu instid0(VALU_DEP_4) | instskip(NEXT) | instid1(VALU_DEP_4)
	v_add_f32_e32 v10, v10, v20
	v_dual_fmac_f32 v88, v53, v48 :: v_dual_add_f32 v11, v11, v87
	v_dual_mul_f32 v20, v53, v49 :: v_dual_fmac_f32 v89, v55, v50
	v_fma_f32 v12, v42, v46, -v12
	s_delay_alu instid0(VALU_DEP_3) | instskip(SKIP_1) | instid1(VALU_DEP_4)
	v_dual_add_f32 v10, v10, v13 :: v_dual_add_f32 v11, v11, v88
	v_mul_f32_e32 v13, v55, v51
	v_fma_f32 v20, v52, v48, -v20
	v_fmac_f32_e32 v90, v57, v60
	s_delay_alu instid0(VALU_DEP_4)
	v_dual_add_f32 v10, v10, v12 :: v_dual_add_f32 v11, v11, v89
	v_mul_f32_e32 v12, v57, v61
	v_fma_f32 v13, v54, v50, -v13
	s_wait_dscnt 0x2
	v_dual_fmac_f32 v80, v59, v62 :: v_dual_mul_f32 v21, v70, v67
	v_dual_add_f32 v10, v10, v20 :: v_dual_add_f32 v11, v11, v90
	v_mul_f32_e32 v20, v68, v65
	v_fma_f32 v12, v56, v60, -v12
	s_delay_alu instid0(VALU_DEP_4) | instskip(NEXT) | instid1(VALU_DEP_4)
	v_fmac_f32_e32 v21, v71, v66
	v_add_f32_e32 v11, v11, v80
	s_delay_alu instid0(VALU_DEP_4) | instskip(SKIP_1) | instid1(VALU_DEP_2)
	v_fmac_f32_e32 v20, v69, v64
	v_dual_add_f32 v10, v10, v13 :: v_dual_mul_f32 v13, v59, v63
	v_add_f32_e32 v11, v11, v20
	s_delay_alu instid0(VALU_DEP_2) | instskip(NEXT) | instid1(VALU_DEP_3)
	v_add_f32_e32 v10, v10, v12
	v_fma_f32 v12, v58, v62, -v13
	v_mul_f32_e32 v13, v69, v65
	s_wait_dscnt 0x0
	v_mul_f32_e32 v20, v72, v77
	v_add_f32_e32 v11, v11, v21
	v_mul_f32_e32 v21, v74, v79
	v_add_f32_e32 v10, v10, v12
	v_fma_f32 v12, v68, v64, -v13
	v_dual_mul_f32 v13, v71, v67 :: v_dual_fmac_f32 v20, v73, v76
	s_delay_alu instid0(VALU_DEP_2) | instskip(NEXT) | instid1(VALU_DEP_2)
	v_dual_fmac_f32 v21, v75, v78 :: v_dual_add_f32 v10, v10, v12
	v_fma_f32 v12, v70, v66, -v13
	v_mul_f32_e32 v13, v73, v77
	s_delay_alu instid0(VALU_DEP_4) | instskip(NEXT) | instid1(VALU_DEP_3)
	v_add_f32_e32 v11, v11, v20
	v_add_f32_e32 v10, v10, v12
	s_delay_alu instid0(VALU_DEP_3) | instskip(SKIP_1) | instid1(VALU_DEP_2)
	v_fma_f32 v12, v72, v76, -v13
	v_mul_f32_e32 v13, v75, v79
	v_dual_add_f32 v11, v11, v21 :: v_dual_add_f32 v10, v10, v12
	s_delay_alu instid0(VALU_DEP_2) | instskip(SKIP_3) | instid1(VALU_DEP_3)
	v_fma_f32 v12, v74, v78, -v13
	s_wait_alu 0xfffd
	v_add_co_ci_u32_e64 v13, null, s13, v9, vcc_lo
	v_add_co_u32 v8, vcc_lo, v8, s14
	v_dual_add_f32 v10, v10, v12 :: v_dual_mul_f32 v9, s26, v11
	s_wait_alu 0xfffd
	s_delay_alu instid0(VALU_DEP_3) | instskip(SKIP_3) | instid1(VALU_DEP_3)
	v_add_co_ci_u32_e64 v12, null, s15, v13, vcc_lo
	v_mul_f32_e32 v11, s27, v11
	v_add_co_u32 v13, vcc_lo, v8, v6
	s_wait_alu 0xfffd
	v_add_co_ci_u32_e64 v12, null, v12, v7, vcc_lo
	v_fmac_f32_e32 v9, s27, v10
	v_fma_f32 v8, s26, v10, -v11
	v_add_co_u32 v10, vcc_lo, v13, v19
	s_wait_alu 0xfffd
	v_add_co_ci_u32_e64 v11, null, 0, v12, vcc_lo
	flat_store_b64 v[10:11], v[8:9]
	s_branch .LBB171_2
.LBB171_19:
	s_endpgm
	.section	.rodata,"a",@progbits
	.p2align	6, 0x0
	.amdhsa_kernel _ZL23rocblas_trmm_lTx_kernelILi16ELb0E19rocblas_complex_numIfES1_KPKS1_KPS1_Ev13rocblas_fill_17rocblas_diagonal_iiT2_lPT3_llSB_llPT4_lli
		.amdhsa_group_segment_fixed_size 4096
		.amdhsa_private_segment_fixed_size 0
		.amdhsa_kernarg_size 108
		.amdhsa_user_sgpr_count 2
		.amdhsa_user_sgpr_dispatch_ptr 0
		.amdhsa_user_sgpr_queue_ptr 0
		.amdhsa_user_sgpr_kernarg_segment_ptr 1
		.amdhsa_user_sgpr_dispatch_id 0
		.amdhsa_user_sgpr_private_segment_size 0
		.amdhsa_wavefront_size32 1
		.amdhsa_uses_dynamic_stack 0
		.amdhsa_enable_private_segment 0
		.amdhsa_system_sgpr_workgroup_id_x 1
		.amdhsa_system_sgpr_workgroup_id_y 0
		.amdhsa_system_sgpr_workgroup_id_z 1
		.amdhsa_system_sgpr_workgroup_info 0
		.amdhsa_system_vgpr_workitem_id 1
		.amdhsa_next_free_vgpr 91
		.amdhsa_next_free_sgpr 36
		.amdhsa_reserve_vcc 1
		.amdhsa_float_round_mode_32 0
		.amdhsa_float_round_mode_16_64 0
		.amdhsa_float_denorm_mode_32 3
		.amdhsa_float_denorm_mode_16_64 3
		.amdhsa_fp16_overflow 0
		.amdhsa_workgroup_processor_mode 1
		.amdhsa_memory_ordered 1
		.amdhsa_forward_progress 1
		.amdhsa_inst_pref_size 15
		.amdhsa_round_robin_scheduling 0
		.amdhsa_exception_fp_ieee_invalid_op 0
		.amdhsa_exception_fp_denorm_src 0
		.amdhsa_exception_fp_ieee_div_zero 0
		.amdhsa_exception_fp_ieee_overflow 0
		.amdhsa_exception_fp_ieee_underflow 0
		.amdhsa_exception_fp_ieee_inexact 0
		.amdhsa_exception_int_div_zero 0
	.end_amdhsa_kernel
	.section	.text._ZL23rocblas_trmm_lTx_kernelILi16ELb0E19rocblas_complex_numIfES1_KPKS1_KPS1_Ev13rocblas_fill_17rocblas_diagonal_iiT2_lPT3_llSB_llPT4_lli,"axG",@progbits,_ZL23rocblas_trmm_lTx_kernelILi16ELb0E19rocblas_complex_numIfES1_KPKS1_KPS1_Ev13rocblas_fill_17rocblas_diagonal_iiT2_lPT3_llSB_llPT4_lli,comdat
.Lfunc_end171:
	.size	_ZL23rocblas_trmm_lTx_kernelILi16ELb0E19rocblas_complex_numIfES1_KPKS1_KPS1_Ev13rocblas_fill_17rocblas_diagonal_iiT2_lPT3_llSB_llPT4_lli, .Lfunc_end171-_ZL23rocblas_trmm_lTx_kernelILi16ELb0E19rocblas_complex_numIfES1_KPKS1_KPS1_Ev13rocblas_fill_17rocblas_diagonal_iiT2_lPT3_llSB_llPT4_lli
                                        ; -- End function
	.set _ZL23rocblas_trmm_lTx_kernelILi16ELb0E19rocblas_complex_numIfES1_KPKS1_KPS1_Ev13rocblas_fill_17rocblas_diagonal_iiT2_lPT3_llSB_llPT4_lli.num_vgpr, 91
	.set _ZL23rocblas_trmm_lTx_kernelILi16ELb0E19rocblas_complex_numIfES1_KPKS1_KPS1_Ev13rocblas_fill_17rocblas_diagonal_iiT2_lPT3_llSB_llPT4_lli.num_agpr, 0
	.set _ZL23rocblas_trmm_lTx_kernelILi16ELb0E19rocblas_complex_numIfES1_KPKS1_KPS1_Ev13rocblas_fill_17rocblas_diagonal_iiT2_lPT3_llSB_llPT4_lli.numbered_sgpr, 36
	.set _ZL23rocblas_trmm_lTx_kernelILi16ELb0E19rocblas_complex_numIfES1_KPKS1_KPS1_Ev13rocblas_fill_17rocblas_diagonal_iiT2_lPT3_llSB_llPT4_lli.num_named_barrier, 0
	.set _ZL23rocblas_trmm_lTx_kernelILi16ELb0E19rocblas_complex_numIfES1_KPKS1_KPS1_Ev13rocblas_fill_17rocblas_diagonal_iiT2_lPT3_llSB_llPT4_lli.private_seg_size, 0
	.set _ZL23rocblas_trmm_lTx_kernelILi16ELb0E19rocblas_complex_numIfES1_KPKS1_KPS1_Ev13rocblas_fill_17rocblas_diagonal_iiT2_lPT3_llSB_llPT4_lli.uses_vcc, 1
	.set _ZL23rocblas_trmm_lTx_kernelILi16ELb0E19rocblas_complex_numIfES1_KPKS1_KPS1_Ev13rocblas_fill_17rocblas_diagonal_iiT2_lPT3_llSB_llPT4_lli.uses_flat_scratch, 0
	.set _ZL23rocblas_trmm_lTx_kernelILi16ELb0E19rocblas_complex_numIfES1_KPKS1_KPS1_Ev13rocblas_fill_17rocblas_diagonal_iiT2_lPT3_llSB_llPT4_lli.has_dyn_sized_stack, 0
	.set _ZL23rocblas_trmm_lTx_kernelILi16ELb0E19rocblas_complex_numIfES1_KPKS1_KPS1_Ev13rocblas_fill_17rocblas_diagonal_iiT2_lPT3_llSB_llPT4_lli.has_recursion, 0
	.set _ZL23rocblas_trmm_lTx_kernelILi16ELb0E19rocblas_complex_numIfES1_KPKS1_KPS1_Ev13rocblas_fill_17rocblas_diagonal_iiT2_lPT3_llSB_llPT4_lli.has_indirect_call, 0
	.section	.AMDGPU.csdata,"",@progbits
; Kernel info:
; codeLenInByte = 1816
; TotalNumSgprs: 38
; NumVgprs: 91
; ScratchSize: 0
; MemoryBound: 0
; FloatMode: 240
; IeeeMode: 1
; LDSByteSize: 4096 bytes/workgroup (compile time only)
; SGPRBlocks: 0
; VGPRBlocks: 11
; NumSGPRsForWavesPerEU: 38
; NumVGPRsForWavesPerEU: 91
; Occupancy: 16
; WaveLimiterHint : 1
; COMPUTE_PGM_RSRC2:SCRATCH_EN: 0
; COMPUTE_PGM_RSRC2:USER_SGPR: 2
; COMPUTE_PGM_RSRC2:TRAP_HANDLER: 0
; COMPUTE_PGM_RSRC2:TGID_X_EN: 1
; COMPUTE_PGM_RSRC2:TGID_Y_EN: 0
; COMPUTE_PGM_RSRC2:TGID_Z_EN: 1
; COMPUTE_PGM_RSRC2:TIDIG_COMP_CNT: 1
	.section	.text._ZL23rocblas_trmm_lTx_kernelILi16ELb1E19rocblas_complex_numIfEPKS1_KS3_KPS1_Ev13rocblas_fill_17rocblas_diagonal_iiT2_lPT3_llSB_llPT4_lli,"axG",@progbits,_ZL23rocblas_trmm_lTx_kernelILi16ELb1E19rocblas_complex_numIfEPKS1_KS3_KPS1_Ev13rocblas_fill_17rocblas_diagonal_iiT2_lPT3_llSB_llPT4_lli,comdat
	.globl	_ZL23rocblas_trmm_lTx_kernelILi16ELb1E19rocblas_complex_numIfEPKS1_KS3_KPS1_Ev13rocblas_fill_17rocblas_diagonal_iiT2_lPT3_llSB_llPT4_lli ; -- Begin function _ZL23rocblas_trmm_lTx_kernelILi16ELb1E19rocblas_complex_numIfEPKS1_KS3_KPS1_Ev13rocblas_fill_17rocblas_diagonal_iiT2_lPT3_llSB_llPT4_lli
	.p2align	8
	.type	_ZL23rocblas_trmm_lTx_kernelILi16ELb1E19rocblas_complex_numIfEPKS1_KS3_KPS1_Ev13rocblas_fill_17rocblas_diagonal_iiT2_lPT3_llSB_llPT4_lli,@function
_ZL23rocblas_trmm_lTx_kernelILi16ELb1E19rocblas_complex_numIfEPKS1_KS3_KPS1_Ev13rocblas_fill_17rocblas_diagonal_iiT2_lPT3_llSB_llPT4_lli: ; @_ZL23rocblas_trmm_lTx_kernelILi16ELb1E19rocblas_complex_numIfEPKS1_KS3_KPS1_Ev13rocblas_fill_17rocblas_diagonal_iiT2_lPT3_llSB_llPT4_lli
; %bb.0:
	s_load_b32 s3, s[0:1], 0x68
	s_lshr_b32 s28, ttmp7, 16
	s_wait_kmcnt 0x0
	s_cmp_ge_u32 s28, s3
	s_cbranch_scc1 .LBB172_19
; %bb.1:
	s_clause 0x3
	s_load_b512 s[4:19], s[0:1], 0x10
	s_load_b128 s[24:27], s[0:1], 0x0
	s_load_b128 s[20:23], s[0:1], 0x50
	s_load_b64 s[30:31], s[0:1], 0x60
	v_bfe_u32 v11, v0, 10, 10
	v_dual_mov_b32 v1, 0 :: v_dual_and_b32 v12, 0x3ff, v0
	s_mov_b32 s29, 0
	s_delay_alu instid0(VALU_DEP_2) | instskip(NEXT) | instid1(VALU_DEP_2)
	v_lshl_add_u32 v19, v11, 7, 0x800
	v_lshlrev_b32_e32 v21, 3, v12
	v_lshlrev_b32_e32 v18, 3, v12
	s_wait_kmcnt 0x0
	v_mad_co_u64_u32 v[2:3], null, s10, v11, 0
	v_mad_co_u64_u32 v[4:5], null, s16, v11, 0
	v_lshlrev_b32_e32 v0, 4, v11
	s_add_co_i32 s1, s27, -1
	v_lshlrev_b32_e32 v13, 3, v11
	s_ashr_i32 s2, s1, 31
	v_mad_co_u64_u32 v[6:7], null, s22, v11, 0
	v_add_lshl_u32 v16, v0, v12, 3
	v_mov_b32_e32 v0, v3
	s_lshr_b32 s2, s2, 28
	v_mov_b32_e32 v3, v5
	s_add_co_i32 s1, s1, s2
	v_cmp_gt_i32_e32 vcc_lo, s26, v11
	s_ashr_i32 s2, s1, 4
	s_and_b32 s1, s1, -16
	v_mad_co_u64_u32 v[8:9], null, s11, v11, v[0:1]
	v_cmp_gt_i32_e64 s0, s26, v12
	s_sub_co_i32 s1, s27, s1
	v_dual_mov_b32 v0, v7 :: v_dual_add_nc_u32 v17, 0x800, v16
	s_cmp_ge_i32 ttmp9, s2
	v_mad_co_u64_u32 v[9:10], null, s17, v11, v[3:4]
	s_cselect_b32 s1, s1, 16
	s_and_b32 s26, vcc_lo, s0
	v_cmp_gt_i32_e32 vcc_lo, s1, v11
	v_dual_mov_b32 v3, v8 :: v_dual_lshlrev_b32 v10, 7, v12
	v_mad_co_u64_u32 v[7:8], null, s23, v11, v[0:1]
	s_lshl_b32 s10, ttmp9, 4
	v_mov_b32_e32 v5, v9
	s_wait_alu 0xfffe
	s_ashr_i32 s11, s10, 31
	s_and_b32 s27, s0, vcc_lo
	v_cmp_eq_u32_e32 vcc_lo, v11, v12
	s_cmp_eq_u32 s25, 0x84
	v_lshlrev_b64_e32 v[2:3], 3, v[2:3]
	s_cselect_b32 s0, -1, 0
	v_lshlrev_b64_e32 v[4:5], 3, v[4:5]
	v_lshlrev_b64_e32 v[6:7], 3, v[6:7]
	s_wait_alu 0xfffe
	s_and_b32 s25, vcc_lo, s0
	v_cmp_lt_u32_e64 s0, v12, v11
	v_cmp_gt_u32_e64 s1, v12, v11
	v_add_nc_u32_e32 v20, v13, v10
	v_mov_b32_e32 v0, 1.0
	s_mul_u64 s[16:17], s[16:17], s[10:11]
	s_mul_u64 s[34:35], s[22:23], s[10:11]
	s_cmp_lg_u32 s24, 0x7a
	s_cselect_b32 s24, -1, 0
	s_lshl_b64 s[10:11], s[12:13], 3
	s_lshl_b64 s[12:13], s[18:19], 3
	s_wait_alu 0xfffe
	s_lshl_b64 s[16:17], s[16:17], 3
	s_lshl_b64 s[18:19], s[30:31], 3
	;; [unrolled: 1-line block ×3, first 2 shown]
	s_branch .LBB172_4
.LBB172_2:                              ;   in Loop: Header=BB172_4 Depth=1
	s_or_b32 exec_lo, exec_lo, s2
.LBB172_3:                              ;   in Loop: Header=BB172_4 Depth=1
	s_add_co_i32 s28, s28, 0x10000
	s_delay_alu instid0(SALU_CYCLE_1)
	s_cmp_lt_u32 s28, s3
	s_cbranch_scc0 .LBB172_19
.LBB172_4:                              ; =>This Inner Loop Header: Depth=1
	s_mul_u64 s[30:31], s[6:7], s[28:29]
	s_wait_alu 0xfffe
	s_lshl_b64 s[30:31], s[30:31], 3
	s_wait_alu 0xfffe
	s_add_nc_u64 s[30:31], s[4:5], s[30:31]
	global_load_b64 v[8:9], v1, s[30:31]
	s_wait_loadcnt 0x0
	v_cmp_neq_f32_e32 vcc_lo, 0, v8
	v_cmp_neq_f32_e64 s2, 0, v9
	s_or_b32 s2, vcc_lo, s2
	s_delay_alu instid0(SALU_CYCLE_1)
	s_and_not1_b32 vcc_lo, exec_lo, s2
	s_wait_alu 0xfffe
	s_cbranch_vccnz .LBB172_3
; %bb.5:                                ;   in Loop: Header=BB172_4 Depth=1
	s_lshl_b64 s[30:31], s[28:29], 3
	s_wait_alu 0xfffe
	s_add_nc_u64 s[34:35], s[8:9], s[30:31]
	s_add_nc_u64 s[36:37], s[14:15], s[30:31]
	;; [unrolled: 1-line block ×3, first 2 shown]
	s_clause 0x2
	global_load_b64 v[14:15], v1, s[34:35]
	global_load_b64 v[12:13], v1, s[36:37]
	;; [unrolled: 1-line block ×3, first 2 shown]
	s_mov_b32 s30, s29
	s_mov_b32 s31, s29
	s_wait_alu 0xfffe
	v_dual_mov_b32 v22, s30 :: v_dual_mov_b32 v23, s31
	ds_store_b64 v16, v[22:23]
	ds_store_b64 v17, v[22:23]
	s_wait_loadcnt_dscnt 0x0
	s_barrier_signal -1
	s_barrier_wait -1
	global_inv scope:SCOPE_SE
	s_and_saveexec_b32 s2, s26
	s_cbranch_execnz .LBB172_11
; %bb.6:                                ;   in Loop: Header=BB172_4 Depth=1
	s_or_b32 exec_lo, exec_lo, s2
	s_and_saveexec_b32 s2, s27
	s_cbranch_execnz .LBB172_12
.LBB172_7:                              ;   in Loop: Header=BB172_4 Depth=1
	s_or_b32 exec_lo, exec_lo, s2
	s_and_saveexec_b32 s2, s25
.LBB172_8:                              ;   in Loop: Header=BB172_4 Depth=1
	ds_store_b64 v16, v[0:1]
.LBB172_9:                              ;   in Loop: Header=BB172_4 Depth=1
	s_or_b32 exec_lo, exec_lo, s2
	s_delay_alu instid0(SALU_CYCLE_1)
	s_and_b32 vcc_lo, exec_lo, s24
	s_wait_loadcnt_dscnt 0x0
	s_barrier_signal -1
	s_barrier_wait -1
	global_inv scope:SCOPE_SE
	s_wait_alu 0xfffe
	s_cbranch_vccz .LBB172_13
; %bb.10:                               ;   in Loop: Header=BB172_4 Depth=1
	s_and_b32 s2, s0, exec_lo
	s_cbranch_execz .LBB172_14
	s_branch .LBB172_15
.LBB172_11:                             ;   in Loop: Header=BB172_4 Depth=1
	v_add_co_u32 v14, vcc_lo, v14, s10
	s_wait_alu 0xfffd
	v_add_co_ci_u32_e64 v15, null, s11, v15, vcc_lo
	s_delay_alu instid0(VALU_DEP_2) | instskip(SKIP_1) | instid1(VALU_DEP_2)
	v_add_co_u32 v14, vcc_lo, v14, v2
	s_wait_alu 0xfffd
	v_add_co_ci_u32_e64 v15, null, v15, v3, vcc_lo
	s_delay_alu instid0(VALU_DEP_2) | instskip(SKIP_1) | instid1(VALU_DEP_2)
	v_add_co_u32 v14, vcc_lo, v14, v21
	s_wait_alu 0xfffd
	v_add_co_ci_u32_e64 v15, null, 0, v15, vcc_lo
	flat_load_b64 v[14:15], v[14:15]
	s_wait_loadcnt_dscnt 0x0
	v_xor_b32_e32 v15, 0x80000000, v15
	ds_store_b64 v20, v[14:15]
	s_or_b32 exec_lo, exec_lo, s2
	s_and_saveexec_b32 s2, s27
	s_cbranch_execz .LBB172_7
.LBB172_12:                             ;   in Loop: Header=BB172_4 Depth=1
	v_add_co_u32 v12, vcc_lo, v12, s12
	s_wait_alu 0xfffd
	v_add_co_ci_u32_e64 v13, null, s13, v13, vcc_lo
	s_wait_alu 0xfffe
	s_delay_alu instid0(VALU_DEP_2) | instskip(SKIP_1) | instid1(VALU_DEP_2)
	v_add_co_u32 v12, vcc_lo, v12, s16
	s_wait_alu 0xfffd
	v_add_co_ci_u32_e64 v13, null, s17, v13, vcc_lo
	s_delay_alu instid0(VALU_DEP_2) | instskip(SKIP_1) | instid1(VALU_DEP_2)
	v_add_co_u32 v12, vcc_lo, v12, v4
	s_wait_alu 0xfffd
	v_add_co_ci_u32_e64 v13, null, v13, v5, vcc_lo
	;; [unrolled: 4-line block ×3, first 2 shown]
	flat_load_b64 v[12:13], v[12:13]
	s_wait_loadcnt_dscnt 0x0
	ds_store_b64 v17, v[12:13]
	s_or_b32 exec_lo, exec_lo, s2
	s_and_saveexec_b32 s2, s25
	s_cbranch_execnz .LBB172_8
	s_branch .LBB172_9
.LBB172_13:                             ;   in Loop: Header=BB172_4 Depth=1
	s_mov_b32 s2, 0
.LBB172_14:                             ;   in Loop: Header=BB172_4 Depth=1
	s_delay_alu instid0(SALU_CYCLE_1)
	s_and_not1_b32 s2, s2, exec_lo
	s_and_b32 s30, s1, exec_lo
	s_wait_alu 0xfffe
	s_or_b32 s2, s2, s30
.LBB172_15:                             ;   in Loop: Header=BB172_4 Depth=1
	s_delay_alu instid0(SALU_CYCLE_1)
	s_and_saveexec_b32 s30, s2
; %bb.16:                               ;   in Loop: Header=BB172_4 Depth=1
	v_dual_mov_b32 v12, v1 :: v_dual_mov_b32 v13, v1
	ds_store_b64 v16, v[12:13]
; %bb.17:                               ;   in Loop: Header=BB172_4 Depth=1
	s_wait_alu 0xfffe
	s_or_b32 exec_lo, exec_lo, s30
	s_wait_loadcnt_dscnt 0x0
	s_barrier_signal -1
	s_barrier_wait -1
	global_inv scope:SCOPE_SE
	s_and_saveexec_b32 s2, s27
	s_cbranch_execz .LBB172_2
; %bb.18:                               ;   in Loop: Header=BB172_4 Depth=1
	ds_load_2addr_b64 v[12:15], v18 offset1:16
	ds_load_b128 v[22:25], v19
	ds_load_b128 v[26:29], v19 offset:16
	ds_load_2addr_b64 v[30:33], v18 offset0:32 offset1:48
	ds_load_2addr_b64 v[34:37], v18 offset0:64 offset1:80
	ds_load_b128 v[38:41], v19 offset:32
	ds_load_b128 v[42:45], v19 offset:48
	ds_load_2addr_b64 v[46:49], v18 offset0:96 offset1:112
	ds_load_2addr_b64 v[50:53], v18 offset0:128 offset1:144
	ds_load_b128 v[54:57], v19 offset:64
	;; [unrolled: 4-line block ×3, first 2 shown]
	ds_load_b128 v[74:77], v19 offset:112
	ds_load_2addr_b64 v[78:81], v18 offset0:224 offset1:240
	s_wait_dscnt 0xe
	v_dual_mul_f32 v82, v22, v13 :: v_dual_mul_f32 v83, v24, v15
	s_wait_dscnt 0xc
	v_dual_mul_f32 v84, v26, v31 :: v_dual_mul_f32 v85, v28, v33
	s_delay_alu instid0(VALU_DEP_2) | instskip(NEXT) | instid1(VALU_DEP_3)
	v_dual_mul_f32 v15, v25, v15 :: v_dual_fmac_f32 v82, v23, v12
	v_fmac_f32_e32 v83, v25, v14
	s_delay_alu instid0(VALU_DEP_3)
	v_fmac_f32_e32 v84, v27, v30
	s_wait_dscnt 0xa
	v_dual_mul_f32 v86, v38, v35 :: v_dual_mul_f32 v87, v40, v37
	s_wait_dscnt 0x4
	v_dual_mul_f32 v92, v58, v63 :: v_dual_mul_f32 v13, v23, v13
	v_dual_add_f32 v23, 0, v82 :: v_dual_mul_f32 v82, v60, v65
	v_fma_f32 v14, v24, v14, -v15
	v_fmac_f32_e32 v85, v29, v32
	s_delay_alu instid0(VALU_DEP_4) | instskip(NEXT) | instid1(VALU_DEP_4)
	v_fma_f32 v12, v22, v12, -v13
	v_add_f32_e32 v13, v23, v83
	v_dual_mul_f32 v22, v27, v31 :: v_dual_mul_f32 v15, v29, v33
	v_fmac_f32_e32 v86, v39, v34
	s_delay_alu instid0(VALU_DEP_4) | instskip(NEXT) | instid1(VALU_DEP_4)
	v_add_f32_e32 v12, 0, v12
	v_add_f32_e32 v13, v13, v84
	s_delay_alu instid0(VALU_DEP_4) | instskip(SKIP_1) | instid1(VALU_DEP_3)
	v_fma_f32 v22, v26, v30, -v22
	v_dual_mul_f32 v88, v42, v47 :: v_dual_mul_f32 v89, v44, v49
	v_dual_add_f32 v12, v12, v14 :: v_dual_add_f32 v13, v13, v85
	v_mul_f32_e32 v14, v39, v35
	v_fma_f32 v15, v28, v32, -v15
	s_delay_alu instid0(VALU_DEP_3) | instskip(NEXT) | instid1(VALU_DEP_4)
	v_dual_fmac_f32 v87, v41, v36 :: v_dual_add_f32 v12, v12, v22
	v_add_f32_e32 v13, v13, v86
	v_mul_f32_e32 v22, v41, v37
	v_fma_f32 v14, v38, v34, -v14
	v_dual_mul_f32 v90, v54, v51 :: v_dual_mul_f32 v91, v56, v53
	v_add_f32_e32 v12, v12, v15
	v_dual_fmac_f32 v88, v43, v46 :: v_dual_add_f32 v13, v13, v87
	v_mul_f32_e32 v15, v43, v47
	v_fma_f32 v22, v40, v36, -v22
	s_delay_alu instid0(VALU_DEP_4) | instskip(NEXT) | instid1(VALU_DEP_4)
	v_dual_add_f32 v12, v12, v14 :: v_dual_fmac_f32 v89, v45, v48
	v_add_f32_e32 v13, v13, v88
	v_mul_f32_e32 v14, v45, v49
	v_fma_f32 v15, v42, v46, -v15
	s_delay_alu instid0(VALU_DEP_4) | instskip(NEXT) | instid1(VALU_DEP_4)
	v_add_f32_e32 v12, v12, v22
	v_dual_fmac_f32 v90, v55, v50 :: v_dual_add_f32 v13, v13, v89
	v_dual_mul_f32 v22, v55, v51 :: v_dual_fmac_f32 v91, v57, v52
	v_fma_f32 v14, v44, v48, -v14
	s_delay_alu instid0(VALU_DEP_3) | instskip(SKIP_1) | instid1(VALU_DEP_4)
	v_dual_add_f32 v12, v12, v15 :: v_dual_add_f32 v13, v13, v90
	v_mul_f32_e32 v15, v57, v53
	v_fma_f32 v22, v54, v50, -v22
	v_fmac_f32_e32 v92, v59, v62
	s_delay_alu instid0(VALU_DEP_4)
	v_dual_add_f32 v12, v12, v14 :: v_dual_add_f32 v13, v13, v91
	v_mul_f32_e32 v14, v59, v63
	v_fma_f32 v15, v56, v52, -v15
	s_wait_dscnt 0x2
	v_dual_fmac_f32 v82, v61, v64 :: v_dual_mul_f32 v23, v72, v69
	v_dual_add_f32 v12, v12, v22 :: v_dual_add_f32 v13, v13, v92
	v_mul_f32_e32 v22, v70, v67
	v_fma_f32 v14, v58, v62, -v14
	s_delay_alu instid0(VALU_DEP_4) | instskip(NEXT) | instid1(VALU_DEP_4)
	v_fmac_f32_e32 v23, v73, v68
	v_add_f32_e32 v13, v13, v82
	s_delay_alu instid0(VALU_DEP_4) | instskip(SKIP_1) | instid1(VALU_DEP_2)
	v_fmac_f32_e32 v22, v71, v66
	v_dual_add_f32 v12, v12, v15 :: v_dual_mul_f32 v15, v61, v65
	v_add_f32_e32 v13, v13, v22
	s_delay_alu instid0(VALU_DEP_2) | instskip(NEXT) | instid1(VALU_DEP_3)
	v_add_f32_e32 v12, v12, v14
	v_fma_f32 v14, v60, v64, -v15
	v_mul_f32_e32 v15, v71, v67
	s_wait_dscnt 0x0
	v_mul_f32_e32 v22, v74, v79
	v_add_f32_e32 v13, v13, v23
	v_mul_f32_e32 v23, v76, v81
	v_add_f32_e32 v12, v12, v14
	v_fma_f32 v14, v70, v66, -v15
	v_dual_mul_f32 v15, v73, v69 :: v_dual_fmac_f32 v22, v75, v78
	s_delay_alu instid0(VALU_DEP_2) | instskip(NEXT) | instid1(VALU_DEP_2)
	v_dual_fmac_f32 v23, v77, v80 :: v_dual_add_f32 v12, v12, v14
	v_fma_f32 v14, v72, v68, -v15
	v_mul_f32_e32 v15, v75, v79
	s_delay_alu instid0(VALU_DEP_4) | instskip(NEXT) | instid1(VALU_DEP_3)
	v_add_f32_e32 v13, v13, v22
	v_add_f32_e32 v12, v12, v14
	s_delay_alu instid0(VALU_DEP_3) | instskip(SKIP_1) | instid1(VALU_DEP_2)
	v_fma_f32 v14, v74, v78, -v15
	v_mul_f32_e32 v15, v77, v81
	v_dual_add_f32 v13, v13, v23 :: v_dual_add_f32 v12, v12, v14
	s_delay_alu instid0(VALU_DEP_2) | instskip(SKIP_3) | instid1(VALU_DEP_3)
	v_fma_f32 v14, v76, v80, -v15
	v_add_co_u32 v15, vcc_lo, v10, s18
	s_wait_alu 0xfffd
	v_add_co_ci_u32_e64 v11, null, s19, v11, vcc_lo
	v_add_f32_e32 v12, v12, v14
	v_mul_f32_e32 v10, v8, v13
	v_add_co_u32 v14, vcc_lo, v15, s22
	s_wait_alu 0xfffd
	v_add_co_ci_u32_e64 v11, null, s23, v11, vcc_lo
	s_delay_alu instid0(VALU_DEP_3) | instskip(SKIP_4) | instid1(VALU_DEP_3)
	v_fmac_f32_e32 v10, v9, v12
	v_mul_f32_e32 v9, v9, v13
	v_add_co_u32 v13, vcc_lo, v14, v6
	s_wait_alu 0xfffd
	v_add_co_ci_u32_e64 v14, null, v11, v7, vcc_lo
	v_fma_f32 v9, v8, v12, -v9
	s_delay_alu instid0(VALU_DEP_3) | instskip(SKIP_1) | instid1(VALU_DEP_3)
	v_add_co_u32 v11, vcc_lo, v13, v21
	s_wait_alu 0xfffd
	v_add_co_ci_u32_e64 v12, null, 0, v14, vcc_lo
	flat_store_b64 v[11:12], v[9:10]
	s_branch .LBB172_2
.LBB172_19:
	s_endpgm
	.section	.rodata,"a",@progbits
	.p2align	6, 0x0
	.amdhsa_kernel _ZL23rocblas_trmm_lTx_kernelILi16ELb1E19rocblas_complex_numIfEPKS1_KS3_KPS1_Ev13rocblas_fill_17rocblas_diagonal_iiT2_lPT3_llSB_llPT4_lli
		.amdhsa_group_segment_fixed_size 4096
		.amdhsa_private_segment_fixed_size 0
		.amdhsa_kernarg_size 108
		.amdhsa_user_sgpr_count 2
		.amdhsa_user_sgpr_dispatch_ptr 0
		.amdhsa_user_sgpr_queue_ptr 0
		.amdhsa_user_sgpr_kernarg_segment_ptr 1
		.amdhsa_user_sgpr_dispatch_id 0
		.amdhsa_user_sgpr_private_segment_size 0
		.amdhsa_wavefront_size32 1
		.amdhsa_uses_dynamic_stack 0
		.amdhsa_enable_private_segment 0
		.amdhsa_system_sgpr_workgroup_id_x 1
		.amdhsa_system_sgpr_workgroup_id_y 0
		.amdhsa_system_sgpr_workgroup_id_z 1
		.amdhsa_system_sgpr_workgroup_info 0
		.amdhsa_system_vgpr_workitem_id 1
		.amdhsa_next_free_vgpr 93
		.amdhsa_next_free_sgpr 38
		.amdhsa_reserve_vcc 1
		.amdhsa_float_round_mode_32 0
		.amdhsa_float_round_mode_16_64 0
		.amdhsa_float_denorm_mode_32 3
		.amdhsa_float_denorm_mode_16_64 3
		.amdhsa_fp16_overflow 0
		.amdhsa_workgroup_processor_mode 1
		.amdhsa_memory_ordered 1
		.amdhsa_forward_progress 1
		.amdhsa_inst_pref_size 15
		.amdhsa_round_robin_scheduling 0
		.amdhsa_exception_fp_ieee_invalid_op 0
		.amdhsa_exception_fp_denorm_src 0
		.amdhsa_exception_fp_ieee_div_zero 0
		.amdhsa_exception_fp_ieee_overflow 0
		.amdhsa_exception_fp_ieee_underflow 0
		.amdhsa_exception_fp_ieee_inexact 0
		.amdhsa_exception_int_div_zero 0
	.end_amdhsa_kernel
	.section	.text._ZL23rocblas_trmm_lTx_kernelILi16ELb1E19rocblas_complex_numIfEPKS1_KS3_KPS1_Ev13rocblas_fill_17rocblas_diagonal_iiT2_lPT3_llSB_llPT4_lli,"axG",@progbits,_ZL23rocblas_trmm_lTx_kernelILi16ELb1E19rocblas_complex_numIfEPKS1_KS3_KPS1_Ev13rocblas_fill_17rocblas_diagonal_iiT2_lPT3_llSB_llPT4_lli,comdat
.Lfunc_end172:
	.size	_ZL23rocblas_trmm_lTx_kernelILi16ELb1E19rocblas_complex_numIfEPKS1_KS3_KPS1_Ev13rocblas_fill_17rocblas_diagonal_iiT2_lPT3_llSB_llPT4_lli, .Lfunc_end172-_ZL23rocblas_trmm_lTx_kernelILi16ELb1E19rocblas_complex_numIfEPKS1_KS3_KPS1_Ev13rocblas_fill_17rocblas_diagonal_iiT2_lPT3_llSB_llPT4_lli
                                        ; -- End function
	.set _ZL23rocblas_trmm_lTx_kernelILi16ELb1E19rocblas_complex_numIfEPKS1_KS3_KPS1_Ev13rocblas_fill_17rocblas_diagonal_iiT2_lPT3_llSB_llPT4_lli.num_vgpr, 93
	.set _ZL23rocblas_trmm_lTx_kernelILi16ELb1E19rocblas_complex_numIfEPKS1_KS3_KPS1_Ev13rocblas_fill_17rocblas_diagonal_iiT2_lPT3_llSB_llPT4_lli.num_agpr, 0
	.set _ZL23rocblas_trmm_lTx_kernelILi16ELb1E19rocblas_complex_numIfEPKS1_KS3_KPS1_Ev13rocblas_fill_17rocblas_diagonal_iiT2_lPT3_llSB_llPT4_lli.numbered_sgpr, 38
	.set _ZL23rocblas_trmm_lTx_kernelILi16ELb1E19rocblas_complex_numIfEPKS1_KS3_KPS1_Ev13rocblas_fill_17rocblas_diagonal_iiT2_lPT3_llSB_llPT4_lli.num_named_barrier, 0
	.set _ZL23rocblas_trmm_lTx_kernelILi16ELb1E19rocblas_complex_numIfEPKS1_KS3_KPS1_Ev13rocblas_fill_17rocblas_diagonal_iiT2_lPT3_llSB_llPT4_lli.private_seg_size, 0
	.set _ZL23rocblas_trmm_lTx_kernelILi16ELb1E19rocblas_complex_numIfEPKS1_KS3_KPS1_Ev13rocblas_fill_17rocblas_diagonal_iiT2_lPT3_llSB_llPT4_lli.uses_vcc, 1
	.set _ZL23rocblas_trmm_lTx_kernelILi16ELb1E19rocblas_complex_numIfEPKS1_KS3_KPS1_Ev13rocblas_fill_17rocblas_diagonal_iiT2_lPT3_llSB_llPT4_lli.uses_flat_scratch, 0
	.set _ZL23rocblas_trmm_lTx_kernelILi16ELb1E19rocblas_complex_numIfEPKS1_KS3_KPS1_Ev13rocblas_fill_17rocblas_diagonal_iiT2_lPT3_llSB_llPT4_lli.has_dyn_sized_stack, 0
	.set _ZL23rocblas_trmm_lTx_kernelILi16ELb1E19rocblas_complex_numIfEPKS1_KS3_KPS1_Ev13rocblas_fill_17rocblas_diagonal_iiT2_lPT3_llSB_llPT4_lli.has_recursion, 0
	.set _ZL23rocblas_trmm_lTx_kernelILi16ELb1E19rocblas_complex_numIfEPKS1_KS3_KPS1_Ev13rocblas_fill_17rocblas_diagonal_iiT2_lPT3_llSB_llPT4_lli.has_indirect_call, 0
	.section	.AMDGPU.csdata,"",@progbits
; Kernel info:
; codeLenInByte = 1824
; TotalNumSgprs: 40
; NumVgprs: 93
; ScratchSize: 0
; MemoryBound: 0
; FloatMode: 240
; IeeeMode: 1
; LDSByteSize: 4096 bytes/workgroup (compile time only)
; SGPRBlocks: 0
; VGPRBlocks: 11
; NumSGPRsForWavesPerEU: 40
; NumVGPRsForWavesPerEU: 93
; Occupancy: 16
; WaveLimiterHint : 1
; COMPUTE_PGM_RSRC2:SCRATCH_EN: 0
; COMPUTE_PGM_RSRC2:USER_SGPR: 2
; COMPUTE_PGM_RSRC2:TRAP_HANDLER: 0
; COMPUTE_PGM_RSRC2:TGID_X_EN: 1
; COMPUTE_PGM_RSRC2:TGID_Y_EN: 0
; COMPUTE_PGM_RSRC2:TGID_Z_EN: 1
; COMPUTE_PGM_RSRC2:TIDIG_COMP_CNT: 1
	.section	.text._ZL23rocblas_trmm_lTx_kernelILi16ELb1E19rocblas_complex_numIfES1_KPKS1_KPS1_Ev13rocblas_fill_17rocblas_diagonal_iiT2_lPT3_llSB_llPT4_lli,"axG",@progbits,_ZL23rocblas_trmm_lTx_kernelILi16ELb1E19rocblas_complex_numIfES1_KPKS1_KPS1_Ev13rocblas_fill_17rocblas_diagonal_iiT2_lPT3_llSB_llPT4_lli,comdat
	.globl	_ZL23rocblas_trmm_lTx_kernelILi16ELb1E19rocblas_complex_numIfES1_KPKS1_KPS1_Ev13rocblas_fill_17rocblas_diagonal_iiT2_lPT3_llSB_llPT4_lli ; -- Begin function _ZL23rocblas_trmm_lTx_kernelILi16ELb1E19rocblas_complex_numIfES1_KPKS1_KPS1_Ev13rocblas_fill_17rocblas_diagonal_iiT2_lPT3_llSB_llPT4_lli
	.p2align	8
	.type	_ZL23rocblas_trmm_lTx_kernelILi16ELb1E19rocblas_complex_numIfES1_KPKS1_KPS1_Ev13rocblas_fill_17rocblas_diagonal_iiT2_lPT3_llSB_llPT4_lli,@function
_ZL23rocblas_trmm_lTx_kernelILi16ELb1E19rocblas_complex_numIfES1_KPKS1_KPS1_Ev13rocblas_fill_17rocblas_diagonal_iiT2_lPT3_llSB_llPT4_lli: ; @_ZL23rocblas_trmm_lTx_kernelILi16ELb1E19rocblas_complex_numIfES1_KPKS1_KPS1_Ev13rocblas_fill_17rocblas_diagonal_iiT2_lPT3_llSB_llPT4_lli
; %bb.0:
	s_load_b32 s28, s[0:1], 0x68
	s_lshr_b32 s24, ttmp7, 16
	s_wait_kmcnt 0x0
	s_cmp_ge_u32 s24, s28
	s_cbranch_scc1 .LBB173_19
; %bb.1:
	s_clause 0x2
	s_load_b64 s[26:27], s[0:1], 0x10
	s_load_b128 s[20:23], s[0:1], 0x0
	s_load_b512 s[4:19], s[0:1], 0x20
	v_bfe_u32 v11, v0, 10, 10
	v_dual_mov_b32 v1, 0 :: v_dual_and_b32 v12, 0x3ff, v0
	s_load_b64 s[30:31], s[0:1], 0x60
	s_mov_b32 s25, 0
	s_delay_alu instid0(VALU_DEP_2) | instskip(NEXT) | instid1(VALU_DEP_2)
	v_lshl_add_u32 v17, v11, 7, 0x800
	v_cmp_eq_u32_e32 vcc_lo, v11, v12
	v_lshlrev_b32_e32 v19, 3, v12
	v_lshlrev_b32_e32 v16, 3, v12
	s_wait_kmcnt 0x0
	s_cmp_neq_f32 s26, 0
	v_cmp_gt_i32_e64 s0, s22, v11
	v_mad_co_u64_u32 v[2:3], null, s6, v11, 0
	s_cselect_b32 s2, -1, 0
	s_cmp_neq_f32 s27, 0
	v_mad_co_u64_u32 v[4:5], null, s12, v11, 0
	v_lshlrev_b32_e32 v0, 4, v11
	s_cselect_b32 s3, -1, 0
	s_add_co_i32 s6, s23, -1
	v_cmp_gt_i32_e64 s1, s22, v12
	s_wait_alu 0xfffe
	s_ashr_i32 s22, s6, 31
	v_add_lshl_u32 v14, v0, v12, 3
	v_dual_mov_b32 v0, v3 :: v_dual_lshlrev_b32 v13, 3, v11
	v_mad_co_u64_u32 v[6:7], null, s18, v11, 0
	s_wait_alu 0xfffe
	s_lshr_b32 s29, s22, 28
	v_mov_b32_e32 v3, v5
	s_add_co_i32 s6, s6, s29
	s_or_b32 s22, s2, s3
	v_mad_co_u64_u32 v[8:9], null, s7, v11, v[0:1]
	s_wait_alu 0xfffe
	s_and_b32 s2, s6, -16
	s_ashr_i32 s3, s6, 4
	s_sub_co_i32 s2, s23, s2
	v_dual_mov_b32 v0, v7 :: v_dual_add_nc_u32 v15, 0x800, v14
	s_cmp_ge_i32 ttmp9, s3
	v_mad_co_u64_u32 v[9:10], null, s13, v11, v[3:4]
	s_cselect_b32 s2, s2, 16
	v_dual_mov_b32 v3, v8 :: v_dual_lshlrev_b32 v18, 7, v12
	v_cmp_gt_i32_e64 s2, s2, v11
	v_mad_co_u64_u32 v[7:8], null, s19, v11, v[0:1]
	s_lshl_b32 s6, ttmp9, 4
	v_mov_b32_e32 v5, v9
	s_and_b32 s23, s0, s1
	s_wait_alu 0xfffe
	s_ashr_i32 s7, s6, 31
	s_and_b32 s29, s1, s2
	s_cmp_eq_u32 s21, 0x84
	v_lshlrev_b64_e32 v[2:3], 3, v[2:3]
	s_cselect_b32 s0, -1, 0
	v_lshlrev_b64_e32 v[4:5], 3, v[4:5]
	v_lshlrev_b64_e32 v[6:7], 3, v[6:7]
	s_wait_alu 0xfffe
	s_mul_u64 s[34:35], s[18:19], s[6:7]
	s_and_b32 s18, vcc_lo, s0
	v_cmp_lt_u32_e64 s0, v12, v11
	v_cmp_gt_u32_e64 s1, v12, v11
	v_add_nc_u32_e32 v18, v13, v18
	v_mov_b32_e32 v0, 1.0
	s_mul_u64 s[12:13], s[12:13], s[6:7]
	s_cmp_lg_u32 s20, 0x7a
	s_cselect_b32 s19, -1, 0
	s_lshl_b64 s[2:3], s[8:9], 3
	s_lshl_b64 s[6:7], s[14:15], 3
	s_wait_alu 0xfffe
	s_lshl_b64 s[8:9], s[12:13], 3
	s_lshl_b64 s[12:13], s[30:31], 3
	;; [unrolled: 1-line block ×3, first 2 shown]
	s_branch .LBB173_4
.LBB173_2:                              ;   in Loop: Header=BB173_4 Depth=1
	s_wait_alu 0xfffe
	s_or_b32 exec_lo, exec_lo, s20
.LBB173_3:                              ;   in Loop: Header=BB173_4 Depth=1
	s_add_co_i32 s24, s24, 0x10000
	s_delay_alu instid0(SALU_CYCLE_1)
	s_cmp_lt_u32 s24, s28
	s_cbranch_scc0 .LBB173_19
.LBB173_4:                              ; =>This Inner Loop Header: Depth=1
	s_and_not1_b32 vcc_lo, exec_lo, s22
	s_wait_alu 0xfffe
	s_cbranch_vccnz .LBB173_3
; %bb.5:                                ;   in Loop: Header=BB173_4 Depth=1
	s_lshl_b64 s[20:21], s[24:25], 3
	s_wait_alu 0xfffe
	s_add_nc_u64 s[30:31], s[4:5], s[20:21]
	s_add_nc_u64 s[34:35], s[10:11], s[20:21]
	;; [unrolled: 1-line block ×3, first 2 shown]
	s_clause 0x2
	global_load_b64 v[12:13], v1, s[30:31]
	global_load_b64 v[10:11], v1, s[34:35]
	;; [unrolled: 1-line block ×3, first 2 shown]
	s_mov_b32 s20, s25
	s_mov_b32 s21, s25
	s_wait_alu 0xfffe
	v_dual_mov_b32 v20, s20 :: v_dual_mov_b32 v21, s21
	ds_store_b64 v14, v[20:21]
	ds_store_b64 v15, v[20:21]
	s_wait_loadcnt_dscnt 0x0
	s_barrier_signal -1
	s_barrier_wait -1
	global_inv scope:SCOPE_SE
	s_and_saveexec_b32 s20, s23
	s_cbranch_execnz .LBB173_11
; %bb.6:                                ;   in Loop: Header=BB173_4 Depth=1
	s_wait_alu 0xfffe
	s_or_b32 exec_lo, exec_lo, s20
	s_and_saveexec_b32 s20, s29
	s_cbranch_execnz .LBB173_12
.LBB173_7:                              ;   in Loop: Header=BB173_4 Depth=1
	s_wait_alu 0xfffe
	s_or_b32 exec_lo, exec_lo, s20
	s_and_saveexec_b32 s20, s18
.LBB173_8:                              ;   in Loop: Header=BB173_4 Depth=1
	ds_store_b64 v14, v[0:1]
.LBB173_9:                              ;   in Loop: Header=BB173_4 Depth=1
	s_wait_alu 0xfffe
	s_or_b32 exec_lo, exec_lo, s20
	s_delay_alu instid0(SALU_CYCLE_1)
	s_and_b32 vcc_lo, exec_lo, s19
	s_wait_loadcnt_dscnt 0x0
	s_barrier_signal -1
	s_barrier_wait -1
	global_inv scope:SCOPE_SE
	s_wait_alu 0xfffe
	s_cbranch_vccz .LBB173_13
; %bb.10:                               ;   in Loop: Header=BB173_4 Depth=1
	s_and_b32 s20, s0, exec_lo
	s_cbranch_execz .LBB173_14
	s_branch .LBB173_15
.LBB173_11:                             ;   in Loop: Header=BB173_4 Depth=1
	v_add_co_u32 v12, vcc_lo, v12, s2
	s_wait_alu 0xfffd
	v_add_co_ci_u32_e64 v13, null, s3, v13, vcc_lo
	s_delay_alu instid0(VALU_DEP_2) | instskip(SKIP_1) | instid1(VALU_DEP_2)
	v_add_co_u32 v12, vcc_lo, v12, v2
	s_wait_alu 0xfffd
	v_add_co_ci_u32_e64 v13, null, v13, v3, vcc_lo
	s_delay_alu instid0(VALU_DEP_2) | instskip(SKIP_1) | instid1(VALU_DEP_2)
	v_add_co_u32 v12, vcc_lo, v12, v19
	s_wait_alu 0xfffd
	v_add_co_ci_u32_e64 v13, null, 0, v13, vcc_lo
	flat_load_b64 v[12:13], v[12:13]
	s_wait_loadcnt_dscnt 0x0
	v_xor_b32_e32 v13, 0x80000000, v13
	ds_store_b64 v18, v[12:13]
	s_wait_alu 0xfffe
	s_or_b32 exec_lo, exec_lo, s20
	s_and_saveexec_b32 s20, s29
	s_cbranch_execz .LBB173_7
.LBB173_12:                             ;   in Loop: Header=BB173_4 Depth=1
	v_add_co_u32 v10, vcc_lo, v10, s6
	s_wait_alu 0xfffd
	v_add_co_ci_u32_e64 v11, null, s7, v11, vcc_lo
	s_delay_alu instid0(VALU_DEP_2) | instskip(SKIP_1) | instid1(VALU_DEP_2)
	v_add_co_u32 v10, vcc_lo, v10, s8
	s_wait_alu 0xfffd
	v_add_co_ci_u32_e64 v11, null, s9, v11, vcc_lo
	s_delay_alu instid0(VALU_DEP_2) | instskip(SKIP_1) | instid1(VALU_DEP_2)
	;; [unrolled: 4-line block ×3, first 2 shown]
	v_add_co_u32 v10, vcc_lo, v10, v19
	s_wait_alu 0xfffd
	v_add_co_ci_u32_e64 v11, null, 0, v11, vcc_lo
	flat_load_b64 v[10:11], v[10:11]
	s_wait_loadcnt_dscnt 0x0
	ds_store_b64 v15, v[10:11]
	s_wait_alu 0xfffe
	s_or_b32 exec_lo, exec_lo, s20
	s_and_saveexec_b32 s20, s18
	s_cbranch_execnz .LBB173_8
	s_branch .LBB173_9
.LBB173_13:                             ;   in Loop: Header=BB173_4 Depth=1
	s_mov_b32 s20, 0
.LBB173_14:                             ;   in Loop: Header=BB173_4 Depth=1
	s_wait_alu 0xfffe
	s_and_not1_b32 s20, s20, exec_lo
	s_and_b32 s21, s1, exec_lo
	s_wait_alu 0xfffe
	s_or_b32 s20, s20, s21
.LBB173_15:                             ;   in Loop: Header=BB173_4 Depth=1
	s_wait_alu 0xfffe
	s_and_saveexec_b32 s21, s20
; %bb.16:                               ;   in Loop: Header=BB173_4 Depth=1
	v_dual_mov_b32 v10, v1 :: v_dual_mov_b32 v11, v1
	ds_store_b64 v14, v[10:11]
; %bb.17:                               ;   in Loop: Header=BB173_4 Depth=1
	s_wait_alu 0xfffe
	s_or_b32 exec_lo, exec_lo, s21
	s_wait_loadcnt_dscnt 0x0
	s_barrier_signal -1
	s_barrier_wait -1
	global_inv scope:SCOPE_SE
	s_and_saveexec_b32 s20, s29
	s_cbranch_execz .LBB173_2
; %bb.18:                               ;   in Loop: Header=BB173_4 Depth=1
	ds_load_2addr_b64 v[10:13], v16 offset1:16
	ds_load_b128 v[20:23], v17
	ds_load_b128 v[24:27], v17 offset:16
	ds_load_2addr_b64 v[28:31], v16 offset0:32 offset1:48
	ds_load_2addr_b64 v[32:35], v16 offset0:64 offset1:80
	ds_load_b128 v[36:39], v17 offset:32
	ds_load_b128 v[40:43], v17 offset:48
	ds_load_2addr_b64 v[44:47], v16 offset0:96 offset1:112
	ds_load_2addr_b64 v[48:51], v16 offset0:128 offset1:144
	ds_load_b128 v[52:55], v17 offset:64
	;; [unrolled: 4-line block ×3, first 2 shown]
	ds_load_b128 v[72:75], v17 offset:112
	ds_load_2addr_b64 v[76:79], v16 offset0:224 offset1:240
	v_add_co_u32 v8, vcc_lo, v8, s12
	s_wait_dscnt 0xe
	v_dual_mul_f32 v80, v20, v11 :: v_dual_mul_f32 v81, v22, v13
	s_wait_dscnt 0xc
	v_dual_mul_f32 v82, v24, v29 :: v_dual_mul_f32 v83, v26, v31
	s_delay_alu instid0(VALU_DEP_2) | instskip(NEXT) | instid1(VALU_DEP_3)
	v_dual_mul_f32 v13, v23, v13 :: v_dual_fmac_f32 v80, v21, v10
	v_fmac_f32_e32 v81, v23, v12
	s_delay_alu instid0(VALU_DEP_3)
	v_fmac_f32_e32 v82, v25, v28
	s_wait_dscnt 0xa
	v_dual_mul_f32 v84, v36, v33 :: v_dual_mul_f32 v85, v38, v35
	s_wait_dscnt 0x4
	v_dual_mul_f32 v90, v56, v61 :: v_dual_mul_f32 v11, v21, v11
	v_dual_add_f32 v21, 0, v80 :: v_dual_mul_f32 v80, v58, v63
	v_fma_f32 v12, v22, v12, -v13
	v_fmac_f32_e32 v83, v27, v30
	s_delay_alu instid0(VALU_DEP_4) | instskip(NEXT) | instid1(VALU_DEP_4)
	v_fma_f32 v10, v20, v10, -v11
	v_add_f32_e32 v11, v21, v81
	v_dual_mul_f32 v20, v25, v29 :: v_dual_mul_f32 v13, v27, v31
	v_fmac_f32_e32 v84, v37, v32
	s_delay_alu instid0(VALU_DEP_4) | instskip(NEXT) | instid1(VALU_DEP_4)
	v_add_f32_e32 v10, 0, v10
	v_add_f32_e32 v11, v11, v82
	s_delay_alu instid0(VALU_DEP_4) | instskip(SKIP_1) | instid1(VALU_DEP_3)
	v_fma_f32 v20, v24, v28, -v20
	v_dual_mul_f32 v86, v40, v45 :: v_dual_mul_f32 v87, v42, v47
	v_dual_add_f32 v10, v10, v12 :: v_dual_add_f32 v11, v11, v83
	v_mul_f32_e32 v12, v37, v33
	v_fma_f32 v13, v26, v30, -v13
	s_delay_alu instid0(VALU_DEP_3) | instskip(NEXT) | instid1(VALU_DEP_4)
	v_dual_fmac_f32 v85, v39, v34 :: v_dual_add_f32 v10, v10, v20
	v_add_f32_e32 v11, v11, v84
	v_mul_f32_e32 v20, v39, v35
	v_fma_f32 v12, v36, v32, -v12
	v_dual_mul_f32 v88, v52, v49 :: v_dual_mul_f32 v89, v54, v51
	v_add_f32_e32 v10, v10, v13
	v_dual_fmac_f32 v86, v41, v44 :: v_dual_add_f32 v11, v11, v85
	v_mul_f32_e32 v13, v41, v45
	v_fma_f32 v20, v38, v34, -v20
	s_delay_alu instid0(VALU_DEP_4) | instskip(NEXT) | instid1(VALU_DEP_4)
	v_dual_add_f32 v10, v10, v12 :: v_dual_fmac_f32 v87, v43, v46
	v_add_f32_e32 v11, v11, v86
	v_mul_f32_e32 v12, v43, v47
	v_fma_f32 v13, v40, v44, -v13
	s_delay_alu instid0(VALU_DEP_4) | instskip(NEXT) | instid1(VALU_DEP_4)
	v_add_f32_e32 v10, v10, v20
	v_dual_fmac_f32 v88, v53, v48 :: v_dual_add_f32 v11, v11, v87
	v_dual_mul_f32 v20, v53, v49 :: v_dual_fmac_f32 v89, v55, v50
	v_fma_f32 v12, v42, v46, -v12
	s_delay_alu instid0(VALU_DEP_3) | instskip(SKIP_1) | instid1(VALU_DEP_4)
	v_dual_add_f32 v10, v10, v13 :: v_dual_add_f32 v11, v11, v88
	v_mul_f32_e32 v13, v55, v51
	v_fma_f32 v20, v52, v48, -v20
	v_fmac_f32_e32 v90, v57, v60
	s_delay_alu instid0(VALU_DEP_4)
	v_dual_add_f32 v10, v10, v12 :: v_dual_add_f32 v11, v11, v89
	v_mul_f32_e32 v12, v57, v61
	v_fma_f32 v13, v54, v50, -v13
	s_wait_dscnt 0x2
	v_dual_fmac_f32 v80, v59, v62 :: v_dual_mul_f32 v21, v70, v67
	v_dual_add_f32 v10, v10, v20 :: v_dual_add_f32 v11, v11, v90
	v_mul_f32_e32 v20, v68, v65
	v_fma_f32 v12, v56, v60, -v12
	s_delay_alu instid0(VALU_DEP_4) | instskip(NEXT) | instid1(VALU_DEP_4)
	v_fmac_f32_e32 v21, v71, v66
	v_add_f32_e32 v11, v11, v80
	s_delay_alu instid0(VALU_DEP_4) | instskip(SKIP_1) | instid1(VALU_DEP_2)
	v_fmac_f32_e32 v20, v69, v64
	v_dual_add_f32 v10, v10, v13 :: v_dual_mul_f32 v13, v59, v63
	v_add_f32_e32 v11, v11, v20
	s_delay_alu instid0(VALU_DEP_2) | instskip(NEXT) | instid1(VALU_DEP_3)
	v_add_f32_e32 v10, v10, v12
	v_fma_f32 v12, v58, v62, -v13
	v_mul_f32_e32 v13, v69, v65
	s_wait_dscnt 0x0
	v_mul_f32_e32 v20, v72, v77
	v_add_f32_e32 v11, v11, v21
	v_mul_f32_e32 v21, v74, v79
	v_add_f32_e32 v10, v10, v12
	v_fma_f32 v12, v68, v64, -v13
	v_dual_mul_f32 v13, v71, v67 :: v_dual_fmac_f32 v20, v73, v76
	s_delay_alu instid0(VALU_DEP_2) | instskip(NEXT) | instid1(VALU_DEP_2)
	v_dual_fmac_f32 v21, v75, v78 :: v_dual_add_f32 v10, v10, v12
	v_fma_f32 v12, v70, v66, -v13
	v_mul_f32_e32 v13, v73, v77
	s_delay_alu instid0(VALU_DEP_4) | instskip(NEXT) | instid1(VALU_DEP_3)
	v_add_f32_e32 v11, v11, v20
	v_add_f32_e32 v10, v10, v12
	s_delay_alu instid0(VALU_DEP_3) | instskip(SKIP_1) | instid1(VALU_DEP_2)
	v_fma_f32 v12, v72, v76, -v13
	v_mul_f32_e32 v13, v75, v79
	v_dual_add_f32 v11, v11, v21 :: v_dual_add_f32 v10, v10, v12
	s_delay_alu instid0(VALU_DEP_2) | instskip(SKIP_3) | instid1(VALU_DEP_3)
	v_fma_f32 v12, v74, v78, -v13
	s_wait_alu 0xfffd
	v_add_co_ci_u32_e64 v13, null, s13, v9, vcc_lo
	v_add_co_u32 v8, vcc_lo, v8, s14
	v_dual_add_f32 v10, v10, v12 :: v_dual_mul_f32 v9, s26, v11
	s_wait_alu 0xfffd
	s_delay_alu instid0(VALU_DEP_3) | instskip(SKIP_3) | instid1(VALU_DEP_3)
	v_add_co_ci_u32_e64 v12, null, s15, v13, vcc_lo
	v_mul_f32_e32 v11, s27, v11
	v_add_co_u32 v13, vcc_lo, v8, v6
	s_wait_alu 0xfffd
	v_add_co_ci_u32_e64 v12, null, v12, v7, vcc_lo
	v_fmac_f32_e32 v9, s27, v10
	v_fma_f32 v8, s26, v10, -v11
	v_add_co_u32 v10, vcc_lo, v13, v19
	s_wait_alu 0xfffd
	v_add_co_ci_u32_e64 v11, null, 0, v12, vcc_lo
	flat_store_b64 v[10:11], v[8:9]
	s_branch .LBB173_2
.LBB173_19:
	s_endpgm
	.section	.rodata,"a",@progbits
	.p2align	6, 0x0
	.amdhsa_kernel _ZL23rocblas_trmm_lTx_kernelILi16ELb1E19rocblas_complex_numIfES1_KPKS1_KPS1_Ev13rocblas_fill_17rocblas_diagonal_iiT2_lPT3_llSB_llPT4_lli
		.amdhsa_group_segment_fixed_size 4096
		.amdhsa_private_segment_fixed_size 0
		.amdhsa_kernarg_size 108
		.amdhsa_user_sgpr_count 2
		.amdhsa_user_sgpr_dispatch_ptr 0
		.amdhsa_user_sgpr_queue_ptr 0
		.amdhsa_user_sgpr_kernarg_segment_ptr 1
		.amdhsa_user_sgpr_dispatch_id 0
		.amdhsa_user_sgpr_private_segment_size 0
		.amdhsa_wavefront_size32 1
		.amdhsa_uses_dynamic_stack 0
		.amdhsa_enable_private_segment 0
		.amdhsa_system_sgpr_workgroup_id_x 1
		.amdhsa_system_sgpr_workgroup_id_y 0
		.amdhsa_system_sgpr_workgroup_id_z 1
		.amdhsa_system_sgpr_workgroup_info 0
		.amdhsa_system_vgpr_workitem_id 1
		.amdhsa_next_free_vgpr 91
		.amdhsa_next_free_sgpr 36
		.amdhsa_reserve_vcc 1
		.amdhsa_float_round_mode_32 0
		.amdhsa_float_round_mode_16_64 0
		.amdhsa_float_denorm_mode_32 3
		.amdhsa_float_denorm_mode_16_64 3
		.amdhsa_fp16_overflow 0
		.amdhsa_workgroup_processor_mode 1
		.amdhsa_memory_ordered 1
		.amdhsa_forward_progress 1
		.amdhsa_inst_pref_size 15
		.amdhsa_round_robin_scheduling 0
		.amdhsa_exception_fp_ieee_invalid_op 0
		.amdhsa_exception_fp_denorm_src 0
		.amdhsa_exception_fp_ieee_div_zero 0
		.amdhsa_exception_fp_ieee_overflow 0
		.amdhsa_exception_fp_ieee_underflow 0
		.amdhsa_exception_fp_ieee_inexact 0
		.amdhsa_exception_int_div_zero 0
	.end_amdhsa_kernel
	.section	.text._ZL23rocblas_trmm_lTx_kernelILi16ELb1E19rocblas_complex_numIfES1_KPKS1_KPS1_Ev13rocblas_fill_17rocblas_diagonal_iiT2_lPT3_llSB_llPT4_lli,"axG",@progbits,_ZL23rocblas_trmm_lTx_kernelILi16ELb1E19rocblas_complex_numIfES1_KPKS1_KPS1_Ev13rocblas_fill_17rocblas_diagonal_iiT2_lPT3_llSB_llPT4_lli,comdat
.Lfunc_end173:
	.size	_ZL23rocblas_trmm_lTx_kernelILi16ELb1E19rocblas_complex_numIfES1_KPKS1_KPS1_Ev13rocblas_fill_17rocblas_diagonal_iiT2_lPT3_llSB_llPT4_lli, .Lfunc_end173-_ZL23rocblas_trmm_lTx_kernelILi16ELb1E19rocblas_complex_numIfES1_KPKS1_KPS1_Ev13rocblas_fill_17rocblas_diagonal_iiT2_lPT3_llSB_llPT4_lli
                                        ; -- End function
	.set _ZL23rocblas_trmm_lTx_kernelILi16ELb1E19rocblas_complex_numIfES1_KPKS1_KPS1_Ev13rocblas_fill_17rocblas_diagonal_iiT2_lPT3_llSB_llPT4_lli.num_vgpr, 91
	.set _ZL23rocblas_trmm_lTx_kernelILi16ELb1E19rocblas_complex_numIfES1_KPKS1_KPS1_Ev13rocblas_fill_17rocblas_diagonal_iiT2_lPT3_llSB_llPT4_lli.num_agpr, 0
	.set _ZL23rocblas_trmm_lTx_kernelILi16ELb1E19rocblas_complex_numIfES1_KPKS1_KPS1_Ev13rocblas_fill_17rocblas_diagonal_iiT2_lPT3_llSB_llPT4_lli.numbered_sgpr, 36
	.set _ZL23rocblas_trmm_lTx_kernelILi16ELb1E19rocblas_complex_numIfES1_KPKS1_KPS1_Ev13rocblas_fill_17rocblas_diagonal_iiT2_lPT3_llSB_llPT4_lli.num_named_barrier, 0
	.set _ZL23rocblas_trmm_lTx_kernelILi16ELb1E19rocblas_complex_numIfES1_KPKS1_KPS1_Ev13rocblas_fill_17rocblas_diagonal_iiT2_lPT3_llSB_llPT4_lli.private_seg_size, 0
	.set _ZL23rocblas_trmm_lTx_kernelILi16ELb1E19rocblas_complex_numIfES1_KPKS1_KPS1_Ev13rocblas_fill_17rocblas_diagonal_iiT2_lPT3_llSB_llPT4_lli.uses_vcc, 1
	.set _ZL23rocblas_trmm_lTx_kernelILi16ELb1E19rocblas_complex_numIfES1_KPKS1_KPS1_Ev13rocblas_fill_17rocblas_diagonal_iiT2_lPT3_llSB_llPT4_lli.uses_flat_scratch, 0
	.set _ZL23rocblas_trmm_lTx_kernelILi16ELb1E19rocblas_complex_numIfES1_KPKS1_KPS1_Ev13rocblas_fill_17rocblas_diagonal_iiT2_lPT3_llSB_llPT4_lli.has_dyn_sized_stack, 0
	.set _ZL23rocblas_trmm_lTx_kernelILi16ELb1E19rocblas_complex_numIfES1_KPKS1_KPS1_Ev13rocblas_fill_17rocblas_diagonal_iiT2_lPT3_llSB_llPT4_lli.has_recursion, 0
	.set _ZL23rocblas_trmm_lTx_kernelILi16ELb1E19rocblas_complex_numIfES1_KPKS1_KPS1_Ev13rocblas_fill_17rocblas_diagonal_iiT2_lPT3_llSB_llPT4_lli.has_indirect_call, 0
	.section	.AMDGPU.csdata,"",@progbits
; Kernel info:
; codeLenInByte = 1824
; TotalNumSgprs: 38
; NumVgprs: 91
; ScratchSize: 0
; MemoryBound: 0
; FloatMode: 240
; IeeeMode: 1
; LDSByteSize: 4096 bytes/workgroup (compile time only)
; SGPRBlocks: 0
; VGPRBlocks: 11
; NumSGPRsForWavesPerEU: 38
; NumVGPRsForWavesPerEU: 91
; Occupancy: 16
; WaveLimiterHint : 1
; COMPUTE_PGM_RSRC2:SCRATCH_EN: 0
; COMPUTE_PGM_RSRC2:USER_SGPR: 2
; COMPUTE_PGM_RSRC2:TRAP_HANDLER: 0
; COMPUTE_PGM_RSRC2:TGID_X_EN: 1
; COMPUTE_PGM_RSRC2:TGID_Y_EN: 0
; COMPUTE_PGM_RSRC2:TGID_Z_EN: 1
; COMPUTE_PGM_RSRC2:TIDIG_COMP_CNT: 1
	.section	.text._ZL23rocblas_trmm_rNx_kernelILi16E19rocblas_complex_numIfEPKS1_KS3_KPS1_Ev13rocblas_fill_17rocblas_diagonal_iiT1_lPT2_llSB_llPT3_lli,"axG",@progbits,_ZL23rocblas_trmm_rNx_kernelILi16E19rocblas_complex_numIfEPKS1_KS3_KPS1_Ev13rocblas_fill_17rocblas_diagonal_iiT1_lPT2_llSB_llPT3_lli,comdat
	.globl	_ZL23rocblas_trmm_rNx_kernelILi16E19rocblas_complex_numIfEPKS1_KS3_KPS1_Ev13rocblas_fill_17rocblas_diagonal_iiT1_lPT2_llSB_llPT3_lli ; -- Begin function _ZL23rocblas_trmm_rNx_kernelILi16E19rocblas_complex_numIfEPKS1_KS3_KPS1_Ev13rocblas_fill_17rocblas_diagonal_iiT1_lPT2_llSB_llPT3_lli
	.p2align	8
	.type	_ZL23rocblas_trmm_rNx_kernelILi16E19rocblas_complex_numIfEPKS1_KS3_KPS1_Ev13rocblas_fill_17rocblas_diagonal_iiT1_lPT2_llSB_llPT3_lli,@function
_ZL23rocblas_trmm_rNx_kernelILi16E19rocblas_complex_numIfEPKS1_KS3_KPS1_Ev13rocblas_fill_17rocblas_diagonal_iiT1_lPT2_llSB_llPT3_lli: ; @_ZL23rocblas_trmm_rNx_kernelILi16E19rocblas_complex_numIfEPKS1_KS3_KPS1_Ev13rocblas_fill_17rocblas_diagonal_iiT1_lPT2_llSB_llPT3_lli
; %bb.0:
	s_load_b32 s30, s[0:1], 0x68
	s_lshr_b32 s28, ttmp7, 16
	s_wait_kmcnt 0x0
	s_cmp_ge_u32 s28, s30
	s_cbranch_scc1 .LBB174_19
; %bb.1:
	s_clause 0x3
	s_load_b128 s[24:27], s[0:1], 0x0
	s_load_b512 s[4:19], s[0:1], 0x10
	s_load_b128 s[20:23], s[0:1], 0x50
	s_load_b64 s[2:3], s[0:1], 0x60
	v_bfe_u32 v11, v0, 10, 10
	v_dual_mov_b32 v1, 0 :: v_dual_and_b32 v12, 0x3ff, v0
	s_mov_b32 s29, 0
	s_delay_alu instid0(VALU_DEP_2) | instskip(NEXT) | instid1(VALU_DEP_2)
	v_lshlrev_b32_e32 v17, 7, v11
	v_cmp_eq_u32_e32 vcc_lo, v11, v12
	v_lshl_add_u32 v16, v12, 3, 0x800
	v_lshlrev_b32_e32 v18, 3, v12
	s_wait_kmcnt 0x0
	s_add_co_i32 s1, s26, -1
	v_mad_co_u64_u32 v[4:5], null, s16, v11, 0
	v_lshlrev_b32_e32 v0, 4, v11
	v_mad_co_u64_u32 v[2:3], null, s10, v11, 0
	v_mad_co_u64_u32 v[6:7], null, s22, v11, 0
	s_delay_alu instid0(VALU_DEP_3)
	v_add_lshl_u32 v14, v0, v12, 3
	s_ashr_i32 s10, s1, 31
	v_cmp_gt_i32_e64 s0, s27, v11
	s_wait_alu 0xfffe
	s_lshr_b32 s10, s10, 28
	v_dual_mov_b32 v0, v3 :: v_dual_add_nc_u32 v15, 0x800, v14
	v_mov_b32_e32 v3, v5
	s_wait_alu 0xfffe
	s_add_co_i32 s10, s1, s10
	v_mov_b32_e32 v5, v7
	s_wait_alu 0xfffe
	s_ashr_i32 s16, s10, 4
	s_and_b32 s10, s10, -16
	v_mad_co_u64_u32 v[7:8], null, s11, v11, v[0:1]
	v_cmp_gt_i32_e64 s1, s27, v12
	s_wait_alu 0xfffe
	s_sub_co_i32 s10, s26, s10
	v_mad_co_u64_u32 v[8:9], null, s17, v11, v[3:4]
	s_cmp_ge_i32 ttmp9, s16
	v_mad_co_u64_u32 v[9:10], null, s23, v11, v[5:6]
	s_wait_alu 0xfffe
	s_cselect_b32 s10, s10, 16
	s_and_b32 s22, s0, s1
	s_wait_alu 0xfffe
	v_cmp_gt_i32_e64 s1, s10, v12
	s_lshl_b32 s16, ttmp9, 4
	v_dual_mov_b32 v3, v7 :: v_dual_mov_b32 v0, 1.0
	v_mov_b32_e32 v5, v8
	v_mov_b32_e32 v7, v9
	s_wait_alu 0xfffe
	s_ashr_i32 s17, s16, 31
	s_and_b32 s26, s0, s1
	s_cmp_eq_u32 s25, 0x84
	v_lshlrev_b64_e32 v[2:3], 3, v[2:3]
	s_cselect_b32 s0, -1, 0
	v_lshlrev_b64_e32 v[4:5], 3, v[4:5]
	v_lshlrev_b64_e32 v[6:7], 3, v[6:7]
	s_and_b32 s23, vcc_lo, s0
	v_cmp_lt_u32_e64 s0, v12, v11
	v_cmp_gt_u32_e64 s1, v12, v11
	s_cmp_lg_u32 s24, 0x79
	s_cselect_b32 s24, -1, 0
	s_lshl_b64 s[10:11], s[12:13], 3
	s_lshl_b64 s[12:13], s[18:19], 3
	s_wait_alu 0xfffe
	s_lshl_b64 s[16:17], s[16:17], 3
	s_lshl_b64 s[18:19], s[2:3], 3
	s_branch .LBB174_4
.LBB174_2:                              ;   in Loop: Header=BB174_4 Depth=1
	s_or_b32 exec_lo, exec_lo, s2
.LBB174_3:                              ;   in Loop: Header=BB174_4 Depth=1
	s_add_co_i32 s28, s28, 0x10000
	s_delay_alu instid0(SALU_CYCLE_1)
	s_cmp_lt_u32 s28, s30
	s_cbranch_scc0 .LBB174_19
.LBB174_4:                              ; =>This Inner Loop Header: Depth=1
	s_mul_u64 s[2:3], s[6:7], s[28:29]
	s_delay_alu instid0(SALU_CYCLE_1) | instskip(NEXT) | instid1(SALU_CYCLE_1)
	s_lshl_b64 s[2:3], s[2:3], 3
	s_add_nc_u64 s[2:3], s[4:5], s[2:3]
	global_load_b64 v[8:9], v1, s[2:3]
	s_wait_loadcnt 0x0
	v_cmp_neq_f32_e32 vcc_lo, 0, v8
	v_cmp_neq_f32_e64 s2, 0, v9
	s_or_b32 s2, vcc_lo, s2
	s_delay_alu instid0(SALU_CYCLE_1)
	s_and_not1_b32 vcc_lo, exec_lo, s2
	s_wait_alu 0xfffe
	s_cbranch_vccnz .LBB174_3
; %bb.5:                                ;   in Loop: Header=BB174_4 Depth=1
	s_lshl_b64 s[2:3], s[28:29], 3
	s_delay_alu instid0(SALU_CYCLE_1)
	s_add_nc_u64 s[34:35], s[14:15], s[2:3]
	s_add_nc_u64 s[36:37], s[20:21], s[2:3]
	s_clause 0x1
	global_load_b64 v[12:13], v1, s[34:35]
	global_load_b64 v[10:11], v1, s[36:37]
	s_mov_b32 s34, s29
	s_mov_b32 s35, s29
	s_wait_alu 0xfffe
	v_dual_mov_b32 v19, s34 :: v_dual_mov_b32 v20, s35
	ds_store_b64 v14, v[19:20]
	ds_store_b64 v15, v[19:20]
	s_and_saveexec_b32 s25, s22
	s_cbranch_execnz .LBB174_10
; %bb.6:                                ;   in Loop: Header=BB174_4 Depth=1
	s_or_b32 exec_lo, exec_lo, s25
	s_and_saveexec_b32 s2, s26
	s_cbranch_execnz .LBB174_11
.LBB174_7:                              ;   in Loop: Header=BB174_4 Depth=1
	s_or_b32 exec_lo, exec_lo, s2
	s_and_saveexec_b32 s2, s23
	s_cbranch_execnz .LBB174_12
.LBB174_8:                              ;   in Loop: Header=BB174_4 Depth=1
	s_or_b32 exec_lo, exec_lo, s2
	s_delay_alu instid0(SALU_CYCLE_1)
	s_and_b32 vcc_lo, exec_lo, s24
	s_wait_alu 0xfffe
	s_cbranch_vccz .LBB174_13
.LBB174_9:                              ;   in Loop: Header=BB174_4 Depth=1
	s_and_b32 s2, s0, exec_lo
	s_cbranch_execz .LBB174_14
	s_branch .LBB174_15
.LBB174_10:                             ;   in Loop: Header=BB174_4 Depth=1
	s_add_nc_u64 s[2:3], s[8:9], s[2:3]
	global_load_b64 v[19:20], v1, s[2:3]
	s_wait_loadcnt 0x0
	v_add_co_u32 v19, vcc_lo, v19, s10
	s_wait_alu 0xfffd
	v_add_co_ci_u32_e64 v20, null, s11, v20, vcc_lo
	s_delay_alu instid0(VALU_DEP_2) | instskip(SKIP_1) | instid1(VALU_DEP_2)
	v_add_co_u32 v19, vcc_lo, v19, v2
	s_wait_alu 0xfffd
	v_add_co_ci_u32_e64 v20, null, v20, v3, vcc_lo
	s_delay_alu instid0(VALU_DEP_2) | instskip(SKIP_1) | instid1(VALU_DEP_2)
	v_add_co_u32 v19, vcc_lo, v19, v18
	s_wait_alu 0xfffd
	v_add_co_ci_u32_e64 v20, null, 0, v20, vcc_lo
	flat_load_b64 v[19:20], v[19:20]
	s_wait_loadcnt_dscnt 0x0
	ds_store_b64 v14, v[19:20]
	s_or_b32 exec_lo, exec_lo, s25
	s_and_saveexec_b32 s2, s26
	s_cbranch_execz .LBB174_7
.LBB174_11:                             ;   in Loop: Header=BB174_4 Depth=1
	s_wait_loadcnt 0x1
	v_add_co_u32 v12, vcc_lo, v12, s12
	s_wait_alu 0xfffd
	v_add_co_ci_u32_e64 v13, null, s13, v13, vcc_lo
	s_wait_alu 0xfffe
	s_delay_alu instid0(VALU_DEP_2) | instskip(SKIP_1) | instid1(VALU_DEP_2)
	v_add_co_u32 v12, vcc_lo, v12, s16
	s_wait_alu 0xfffd
	v_add_co_ci_u32_e64 v13, null, s17, v13, vcc_lo
	s_delay_alu instid0(VALU_DEP_2) | instskip(SKIP_1) | instid1(VALU_DEP_2)
	v_add_co_u32 v12, vcc_lo, v12, v4
	s_wait_alu 0xfffd
	v_add_co_ci_u32_e64 v13, null, v13, v5, vcc_lo
	;; [unrolled: 4-line block ×3, first 2 shown]
	flat_load_b64 v[12:13], v[12:13]
	s_wait_loadcnt_dscnt 0x0
	ds_store_b64 v15, v[12:13]
	s_or_b32 exec_lo, exec_lo, s2
	s_and_saveexec_b32 s2, s23
	s_cbranch_execz .LBB174_8
.LBB174_12:                             ;   in Loop: Header=BB174_4 Depth=1
	ds_store_b64 v14, v[0:1]
	s_or_b32 exec_lo, exec_lo, s2
	s_delay_alu instid0(SALU_CYCLE_1)
	s_and_b32 vcc_lo, exec_lo, s24
	s_wait_alu 0xfffe
	s_cbranch_vccnz .LBB174_9
.LBB174_13:                             ;   in Loop: Header=BB174_4 Depth=1
	s_mov_b32 s2, 0
.LBB174_14:                             ;   in Loop: Header=BB174_4 Depth=1
	s_delay_alu instid0(SALU_CYCLE_1) | instskip(SKIP_1) | instid1(SALU_CYCLE_1)
	s_and_not1_b32 s2, s2, exec_lo
	s_and_b32 s3, s1, exec_lo
	s_or_b32 s2, s2, s3
.LBB174_15:                             ;   in Loop: Header=BB174_4 Depth=1
	s_delay_alu instid0(SALU_CYCLE_1)
	s_and_saveexec_b32 s3, s2
	s_cbranch_execz .LBB174_17
; %bb.16:                               ;   in Loop: Header=BB174_4 Depth=1
	s_wait_loadcnt 0x1
	v_dual_mov_b32 v12, v1 :: v_dual_mov_b32 v13, v1
	ds_store_b64 v14, v[12:13]
.LBB174_17:                             ;   in Loop: Header=BB174_4 Depth=1
	s_or_b32 exec_lo, exec_lo, s3
	s_wait_loadcnt_dscnt 0x0
	s_barrier_signal -1
	s_barrier_wait -1
	global_inv scope:SCOPE_SE
	s_and_saveexec_b32 s2, s26
	s_cbranch_execz .LBB174_2
; %bb.18:                               ;   in Loop: Header=BB174_4 Depth=1
	ds_load_2addr_b64 v[19:22], v16 offset1:16
	ds_load_b128 v[23:26], v17
	ds_load_b128 v[27:30], v17 offset:16
	ds_load_2addr_b64 v[31:34], v16 offset0:32 offset1:48
	ds_load_2addr_b64 v[35:38], v16 offset0:64 offset1:80
	ds_load_b128 v[39:42], v17 offset:32
	ds_load_b128 v[43:46], v17 offset:48
	ds_load_2addr_b64 v[47:50], v16 offset0:96 offset1:112
	ds_load_2addr_b64 v[51:54], v16 offset0:128 offset1:144
	ds_load_b128 v[55:58], v17 offset:64
	;; [unrolled: 4-line block ×3, first 2 shown]
	ds_load_b128 v[75:78], v17 offset:112
	ds_load_2addr_b64 v[79:82], v16 offset0:224 offset1:240
	s_wait_dscnt 0xe
	v_dual_mul_f32 v12, v23, v20 :: v_dual_mul_f32 v13, v25, v22
	v_mul_f32_e32 v20, v24, v20
	s_wait_dscnt 0xc
	v_dual_mul_f32 v83, v27, v32 :: v_dual_mul_f32 v84, v29, v34
	s_wait_dscnt 0xa
	v_dual_mul_f32 v85, v39, v36 :: v_dual_mul_f32 v86, v41, v38
	v_fmac_f32_e32 v13, v26, v21
	s_wait_dscnt 0x6
	v_dual_mul_f32 v89, v55, v52 :: v_dual_fmac_f32 v12, v24, v19
	v_fma_f32 v19, v23, v19, -v20
	v_mul_f32_e32 v22, v26, v22
	s_wait_dscnt 0x4
	v_dual_mul_f32 v24, v61, v66 :: v_dual_fmac_f32 v83, v28, v31
	s_delay_alu instid0(VALU_DEP_3) | instskip(NEXT) | instid1(VALU_DEP_3)
	v_dual_add_f32 v12, 0, v12 :: v_dual_add_f32 v19, 0, v19
	v_fma_f32 v20, v25, v21, -v22
	v_fmac_f32_e32 v84, v30, v33
	s_delay_alu instid0(VALU_DEP_3) | instskip(SKIP_1) | instid1(VALU_DEP_4)
	v_dual_mul_f32 v21, v30, v34 :: v_dual_add_f32 v12, v12, v13
	v_mul_f32_e32 v13, v28, v32
	v_add_f32_e32 v19, v19, v20
	v_dual_fmac_f32 v85, v40, v35 :: v_dual_fmac_f32 v86, v42, v37
	s_delay_alu instid0(VALU_DEP_4) | instskip(NEXT) | instid1(VALU_DEP_4)
	v_fma_f32 v21, v29, v33, -v21
	v_fma_f32 v13, v27, v31, -v13
	v_dual_add_f32 v12, v12, v83 :: v_dual_mul_f32 v87, v43, v48
	v_mul_f32_e32 v88, v45, v50
	v_dual_mul_f32 v90, v57, v54 :: v_dual_mul_f32 v91, v59, v64
	s_delay_alu instid0(VALU_DEP_3) | instskip(SKIP_1) | instid1(VALU_DEP_4)
	v_dual_add_f32 v13, v19, v13 :: v_dual_add_f32 v12, v12, v84
	v_dual_mul_f32 v19, v42, v38 :: v_dual_mul_f32 v20, v40, v36
	v_dual_fmac_f32 v87, v44, v47 :: v_dual_fmac_f32 v88, v46, v49
	s_delay_alu instid0(VALU_DEP_3) | instskip(SKIP_1) | instid1(VALU_DEP_4)
	v_add_f32_e32 v13, v13, v21
	v_mul_f32_e32 v21, v44, v48
	v_fma_f32 v20, v39, v35, -v20
	v_add_f32_e32 v12, v12, v85
	v_fma_f32 v19, v41, v37, -v19
	v_dual_fmac_f32 v89, v56, v51 :: v_dual_fmac_f32 v90, v58, v53
	s_delay_alu instid0(VALU_DEP_3)
	v_dual_add_f32 v13, v13, v20 :: v_dual_add_f32 v12, v12, v86
	v_mul_f32_e32 v20, v46, v50
	v_fma_f32 v21, v43, v47, -v21
	s_wait_dscnt 0x2
	v_dual_fmac_f32 v91, v60, v63 :: v_dual_mul_f32 v22, v73, v70
	v_add_f32_e32 v13, v13, v19
	v_add_f32_e32 v12, v12, v87
	v_dual_mul_f32 v19, v56, v52 :: v_dual_fmac_f32 v24, v62, v65
	v_fma_f32 v20, v45, v49, -v20
	s_delay_alu instid0(VALU_DEP_3) | instskip(SKIP_1) | instid1(VALU_DEP_4)
	v_dual_add_f32 v13, v13, v21 :: v_dual_add_f32 v12, v12, v88
	v_mul_f32_e32 v21, v58, v54
	v_fma_f32 v19, v55, v51, -v19
	s_delay_alu instid0(VALU_DEP_3) | instskip(NEXT) | instid1(VALU_DEP_4)
	v_dual_fmac_f32 v22, v74, v69 :: v_dual_add_f32 v13, v13, v20
	v_add_f32_e32 v12, v12, v89
	s_delay_alu instid0(VALU_DEP_4) | instskip(NEXT) | instid1(VALU_DEP_2)
	v_fma_f32 v21, v57, v53, -v21
	v_dual_add_f32 v13, v13, v19 :: v_dual_add_f32 v12, v12, v90
	v_mul_f32_e32 v20, v60, v64
	v_mul_f32_e32 v19, v71, v68
	s_delay_alu instid0(VALU_DEP_3) | instskip(NEXT) | instid1(VALU_DEP_3)
	v_dual_add_f32 v13, v13, v21 :: v_dual_add_f32 v12, v12, v91
	v_fma_f32 v20, v59, v63, -v20
	v_mul_f32_e32 v21, v62, v66
	s_delay_alu instid0(VALU_DEP_4) | instskip(NEXT) | instid1(VALU_DEP_4)
	v_fmac_f32_e32 v19, v72, v67
	v_add_f32_e32 v12, v12, v24
	s_delay_alu instid0(VALU_DEP_4) | instskip(NEXT) | instid1(VALU_DEP_4)
	v_add_f32_e32 v13, v13, v20
	v_fma_f32 v20, v61, v65, -v21
	v_mul_f32_e32 v21, v72, v68
	s_wait_dscnt 0x0
	v_dual_add_f32 v12, v12, v19 :: v_dual_mul_f32 v19, v75, v80
	s_delay_alu instid0(VALU_DEP_1) | instskip(NEXT) | instid1(VALU_DEP_2)
	v_add_f32_e32 v12, v12, v22
	v_dual_mul_f32 v22, v77, v82 :: v_dual_fmac_f32 v19, v76, v79
	s_delay_alu instid0(VALU_DEP_1) | instskip(NEXT) | instid1(VALU_DEP_2)
	v_dual_fmac_f32 v22, v78, v81 :: v_dual_add_f32 v13, v13, v20
	v_add_f32_e32 v12, v12, v19
	v_fma_f32 v20, v71, v67, -v21
	s_delay_alu instid0(VALU_DEP_2) | instskip(SKIP_1) | instid1(VALU_DEP_3)
	v_add_f32_e32 v12, v12, v22
	v_mul_f32_e32 v21, v74, v70
	v_add_f32_e32 v13, v13, v20
	s_delay_alu instid0(VALU_DEP_2) | instskip(SKIP_1) | instid1(VALU_DEP_2)
	v_fma_f32 v20, v73, v69, -v21
	v_mul_f32_e32 v21, v76, v80
	v_add_f32_e32 v13, v13, v20
	s_delay_alu instid0(VALU_DEP_2) | instskip(NEXT) | instid1(VALU_DEP_1)
	v_fma_f32 v19, v75, v79, -v21
	v_dual_mul_f32 v20, v78, v82 :: v_dual_add_f32 v13, v13, v19
	s_delay_alu instid0(VALU_DEP_1) | instskip(SKIP_3) | instid1(VALU_DEP_3)
	v_fma_f32 v19, v77, v81, -v20
	v_add_co_u32 v20, vcc_lo, v10, s18
	s_wait_alu 0xfffd
	v_add_co_ci_u32_e64 v11, null, s19, v11, vcc_lo
	v_dual_add_f32 v13, v13, v19 :: v_dual_mul_f32 v10, v8, v12
	s_wait_alu 0xfffe
	v_add_co_u32 v19, vcc_lo, v20, s16
	s_wait_alu 0xfffd
	v_add_co_ci_u32_e64 v11, null, s17, v11, vcc_lo
	v_fmac_f32_e32 v10, v9, v13
	v_mul_f32_e32 v9, v9, v12
	v_add_co_u32 v12, vcc_lo, v19, v6
	s_wait_alu 0xfffd
	v_add_co_ci_u32_e64 v19, null, v11, v7, vcc_lo
	s_delay_alu instid0(VALU_DEP_3) | instskip(NEXT) | instid1(VALU_DEP_3)
	v_fma_f32 v9, v8, v13, -v9
	v_add_co_u32 v11, vcc_lo, v12, v18
	s_wait_alu 0xfffd
	s_delay_alu instid0(VALU_DEP_3)
	v_add_co_ci_u32_e64 v12, null, 0, v19, vcc_lo
	flat_store_b64 v[11:12], v[9:10]
	s_branch .LBB174_2
.LBB174_19:
	s_endpgm
	.section	.rodata,"a",@progbits
	.p2align	6, 0x0
	.amdhsa_kernel _ZL23rocblas_trmm_rNx_kernelILi16E19rocblas_complex_numIfEPKS1_KS3_KPS1_Ev13rocblas_fill_17rocblas_diagonal_iiT1_lPT2_llSB_llPT3_lli
		.amdhsa_group_segment_fixed_size 4096
		.amdhsa_private_segment_fixed_size 0
		.amdhsa_kernarg_size 108
		.amdhsa_user_sgpr_count 2
		.amdhsa_user_sgpr_dispatch_ptr 0
		.amdhsa_user_sgpr_queue_ptr 0
		.amdhsa_user_sgpr_kernarg_segment_ptr 1
		.amdhsa_user_sgpr_dispatch_id 0
		.amdhsa_user_sgpr_private_segment_size 0
		.amdhsa_wavefront_size32 1
		.amdhsa_uses_dynamic_stack 0
		.amdhsa_enable_private_segment 0
		.amdhsa_system_sgpr_workgroup_id_x 1
		.amdhsa_system_sgpr_workgroup_id_y 0
		.amdhsa_system_sgpr_workgroup_id_z 1
		.amdhsa_system_sgpr_workgroup_info 0
		.amdhsa_system_vgpr_workitem_id 1
		.amdhsa_next_free_vgpr 92
		.amdhsa_next_free_sgpr 38
		.amdhsa_reserve_vcc 1
		.amdhsa_float_round_mode_32 0
		.amdhsa_float_round_mode_16_64 0
		.amdhsa_float_denorm_mode_32 3
		.amdhsa_float_denorm_mode_16_64 3
		.amdhsa_fp16_overflow 0
		.amdhsa_workgroup_processor_mode 1
		.amdhsa_memory_ordered 1
		.amdhsa_forward_progress 1
		.amdhsa_inst_pref_size 15
		.amdhsa_round_robin_scheduling 0
		.amdhsa_exception_fp_ieee_invalid_op 0
		.amdhsa_exception_fp_denorm_src 0
		.amdhsa_exception_fp_ieee_div_zero 0
		.amdhsa_exception_fp_ieee_overflow 0
		.amdhsa_exception_fp_ieee_underflow 0
		.amdhsa_exception_fp_ieee_inexact 0
		.amdhsa_exception_int_div_zero 0
	.end_amdhsa_kernel
	.section	.text._ZL23rocblas_trmm_rNx_kernelILi16E19rocblas_complex_numIfEPKS1_KS3_KPS1_Ev13rocblas_fill_17rocblas_diagonal_iiT1_lPT2_llSB_llPT3_lli,"axG",@progbits,_ZL23rocblas_trmm_rNx_kernelILi16E19rocblas_complex_numIfEPKS1_KS3_KPS1_Ev13rocblas_fill_17rocblas_diagonal_iiT1_lPT2_llSB_llPT3_lli,comdat
.Lfunc_end174:
	.size	_ZL23rocblas_trmm_rNx_kernelILi16E19rocblas_complex_numIfEPKS1_KS3_KPS1_Ev13rocblas_fill_17rocblas_diagonal_iiT1_lPT2_llSB_llPT3_lli, .Lfunc_end174-_ZL23rocblas_trmm_rNx_kernelILi16E19rocblas_complex_numIfEPKS1_KS3_KPS1_Ev13rocblas_fill_17rocblas_diagonal_iiT1_lPT2_llSB_llPT3_lli
                                        ; -- End function
	.set _ZL23rocblas_trmm_rNx_kernelILi16E19rocblas_complex_numIfEPKS1_KS3_KPS1_Ev13rocblas_fill_17rocblas_diagonal_iiT1_lPT2_llSB_llPT3_lli.num_vgpr, 92
	.set _ZL23rocblas_trmm_rNx_kernelILi16E19rocblas_complex_numIfEPKS1_KS3_KPS1_Ev13rocblas_fill_17rocblas_diagonal_iiT1_lPT2_llSB_llPT3_lli.num_agpr, 0
	.set _ZL23rocblas_trmm_rNx_kernelILi16E19rocblas_complex_numIfEPKS1_KS3_KPS1_Ev13rocblas_fill_17rocblas_diagonal_iiT1_lPT2_llSB_llPT3_lli.numbered_sgpr, 38
	.set _ZL23rocblas_trmm_rNx_kernelILi16E19rocblas_complex_numIfEPKS1_KS3_KPS1_Ev13rocblas_fill_17rocblas_diagonal_iiT1_lPT2_llSB_llPT3_lli.num_named_barrier, 0
	.set _ZL23rocblas_trmm_rNx_kernelILi16E19rocblas_complex_numIfEPKS1_KS3_KPS1_Ev13rocblas_fill_17rocblas_diagonal_iiT1_lPT2_llSB_llPT3_lli.private_seg_size, 0
	.set _ZL23rocblas_trmm_rNx_kernelILi16E19rocblas_complex_numIfEPKS1_KS3_KPS1_Ev13rocblas_fill_17rocblas_diagonal_iiT1_lPT2_llSB_llPT3_lli.uses_vcc, 1
	.set _ZL23rocblas_trmm_rNx_kernelILi16E19rocblas_complex_numIfEPKS1_KS3_KPS1_Ev13rocblas_fill_17rocblas_diagonal_iiT1_lPT2_llSB_llPT3_lli.uses_flat_scratch, 0
	.set _ZL23rocblas_trmm_rNx_kernelILi16E19rocblas_complex_numIfEPKS1_KS3_KPS1_Ev13rocblas_fill_17rocblas_diagonal_iiT1_lPT2_llSB_llPT3_lli.has_dyn_sized_stack, 0
	.set _ZL23rocblas_trmm_rNx_kernelILi16E19rocblas_complex_numIfEPKS1_KS3_KPS1_Ev13rocblas_fill_17rocblas_diagonal_iiT1_lPT2_llSB_llPT3_lli.has_recursion, 0
	.set _ZL23rocblas_trmm_rNx_kernelILi16E19rocblas_complex_numIfEPKS1_KS3_KPS1_Ev13rocblas_fill_17rocblas_diagonal_iiT1_lPT2_llSB_llPT3_lli.has_indirect_call, 0
	.section	.AMDGPU.csdata,"",@progbits
; Kernel info:
; codeLenInByte = 1816
; TotalNumSgprs: 40
; NumVgprs: 92
; ScratchSize: 0
; MemoryBound: 0
; FloatMode: 240
; IeeeMode: 1
; LDSByteSize: 4096 bytes/workgroup (compile time only)
; SGPRBlocks: 0
; VGPRBlocks: 11
; NumSGPRsForWavesPerEU: 40
; NumVGPRsForWavesPerEU: 92
; Occupancy: 16
; WaveLimiterHint : 1
; COMPUTE_PGM_RSRC2:SCRATCH_EN: 0
; COMPUTE_PGM_RSRC2:USER_SGPR: 2
; COMPUTE_PGM_RSRC2:TRAP_HANDLER: 0
; COMPUTE_PGM_RSRC2:TGID_X_EN: 1
; COMPUTE_PGM_RSRC2:TGID_Y_EN: 0
; COMPUTE_PGM_RSRC2:TGID_Z_EN: 1
; COMPUTE_PGM_RSRC2:TIDIG_COMP_CNT: 1
	.section	.text._ZL23rocblas_trmm_rNx_kernelILi16E19rocblas_complex_numIfES1_KPKS1_KPS1_Ev13rocblas_fill_17rocblas_diagonal_iiT1_lPT2_llSB_llPT3_lli,"axG",@progbits,_ZL23rocblas_trmm_rNx_kernelILi16E19rocblas_complex_numIfES1_KPKS1_KPS1_Ev13rocblas_fill_17rocblas_diagonal_iiT1_lPT2_llSB_llPT3_lli,comdat
	.globl	_ZL23rocblas_trmm_rNx_kernelILi16E19rocblas_complex_numIfES1_KPKS1_KPS1_Ev13rocblas_fill_17rocblas_diagonal_iiT1_lPT2_llSB_llPT3_lli ; -- Begin function _ZL23rocblas_trmm_rNx_kernelILi16E19rocblas_complex_numIfES1_KPKS1_KPS1_Ev13rocblas_fill_17rocblas_diagonal_iiT1_lPT2_llSB_llPT3_lli
	.p2align	8
	.type	_ZL23rocblas_trmm_rNx_kernelILi16E19rocblas_complex_numIfES1_KPKS1_KPS1_Ev13rocblas_fill_17rocblas_diagonal_iiT1_lPT2_llSB_llPT3_lli,@function
_ZL23rocblas_trmm_rNx_kernelILi16E19rocblas_complex_numIfES1_KPKS1_KPS1_Ev13rocblas_fill_17rocblas_diagonal_iiT1_lPT2_llSB_llPT3_lli: ; @_ZL23rocblas_trmm_rNx_kernelILi16E19rocblas_complex_numIfES1_KPKS1_KPS1_Ev13rocblas_fill_17rocblas_diagonal_iiT1_lPT2_llSB_llPT3_lli
; %bb.0:
	s_load_b32 s30, s[0:1], 0x68
	s_lshr_b32 s6, ttmp7, 16
	s_wait_kmcnt 0x0
	s_cmp_ge_u32 s6, s30
	s_cbranch_scc1 .LBB175_19
; %bb.1:
	s_clause 0x2
	s_load_b64 s[28:29], s[0:1], 0x10
	s_load_b128 s[24:27], s[0:1], 0x0
	s_load_b512 s[8:23], s[0:1], 0x20
	v_bfe_u32 v11, v0, 10, 10
	v_dual_mov_b32 v1, 0 :: v_dual_and_b32 v16, 0x3ff, v0
	s_load_b64 s[34:35], s[0:1], 0x60
	s_mov_b32 s7, 0
	s_delay_alu instid0(VALU_DEP_2) | instskip(NEXT) | instid1(VALU_DEP_2)
	v_lshlrev_b32_e32 v15, 7, v11
	v_cmp_eq_u32_e32 vcc_lo, v11, v16
	v_cmp_lt_u32_e64 s0, v16, v11
	v_cmp_gt_u32_e64 s1, v16, v11
	v_lshl_add_u32 v14, v16, 3, 0x800
	s_wait_kmcnt 0x0
	s_cmp_neq_f32 s28, 0
	v_cmp_gt_i32_e64 s3, s27, v16
	v_mad_co_u64_u32 v[4:5], null, s16, v11, 0
	s_cselect_b32 s4, -1, 0
	s_cmp_neq_f32 s29, 0
	v_lshlrev_b32_e32 v0, 4, v11
	v_mad_co_u64_u32 v[2:3], null, s10, v11, 0
	s_cselect_b32 s5, -1, 0
	s_add_co_i32 s10, s26, -1
	v_mad_co_u64_u32 v[6:7], null, s22, v11, 0
	s_wait_alu 0xfffe
	s_ashr_i32 s16, s10, 31
	v_add_lshl_u32 v12, v0, v16, 3
	s_wait_alu 0xfffe
	s_lshr_b32 s16, s16, 28
	v_mov_b32_e32 v0, v3
	s_wait_alu 0xfffe
	s_add_co_i32 s10, s10, s16
	s_or_b32 s22, s4, s5
	v_add_nc_u32_e32 v13, 0x800, v12
	s_wait_alu 0xfffe
	s_and_b32 s4, s10, -16
	v_mov_b32_e32 v3, v5
	s_ashr_i32 s5, s10, 4
	s_sub_co_i32 s4, s26, s4
	v_mov_b32_e32 v5, v7
	s_cmp_ge_i32 ttmp9, s5
	v_mad_co_u64_u32 v[7:8], null, s11, v11, v[0:1]
	s_cselect_b32 s4, s4, 16
	v_mad_co_u64_u32 v[8:9], null, s17, v11, v[3:4]
	v_cmp_gt_i32_e64 s4, s4, v16
	v_lshlrev_b32_e32 v16, 3, v16
	v_mad_co_u64_u32 v[9:10], null, s23, v11, v[5:6]
	v_cmp_gt_i32_e64 s2, s27, v11
	s_lshl_b32 s10, ttmp9, 4
	v_dual_mov_b32 v3, v7 :: v_dual_mov_b32 v0, 1.0
	v_mov_b32_e32 v5, v8
	s_and_b32 s26, s2, s3
	v_mov_b32_e32 v7, v9
	s_wait_alu 0xfffe
	s_ashr_i32 s11, s10, 31
	s_and_b32 s27, s2, s4
	s_cmp_eq_u32 s25, 0x84
	v_lshlrev_b64_e32 v[2:3], 3, v[2:3]
	s_cselect_b32 s2, -1, 0
	v_lshlrev_b64_e32 v[4:5], 3, v[4:5]
	v_lshlrev_b64_e32 v[6:7], 3, v[6:7]
	s_and_b32 s23, vcc_lo, s2
	s_cmp_lg_u32 s24, 0x79
	s_cselect_b32 s24, -1, 0
	s_lshl_b64 s[2:3], s[12:13], 3
	s_lshl_b64 s[4:5], s[18:19], 3
	s_wait_alu 0xfffe
	s_lshl_b64 s[10:11], s[10:11], 3
	s_lshl_b64 s[12:13], s[34:35], 3
	s_branch .LBB175_4
.LBB175_2:                              ;   in Loop: Header=BB175_4 Depth=1
	s_wait_alu 0xfffe
	s_or_b32 exec_lo, exec_lo, s16
.LBB175_3:                              ;   in Loop: Header=BB175_4 Depth=1
	s_add_co_i32 s6, s6, 0x10000
	s_delay_alu instid0(SALU_CYCLE_1)
	s_cmp_lt_u32 s6, s30
	s_cbranch_scc0 .LBB175_19
.LBB175_4:                              ; =>This Inner Loop Header: Depth=1
	s_and_not1_b32 vcc_lo, exec_lo, s22
	s_wait_alu 0xfffe
	s_cbranch_vccnz .LBB175_3
; %bb.5:                                ;   in Loop: Header=BB175_4 Depth=1
	s_lshl_b64 s[16:17], s[6:7], 3
	s_wait_alu 0xfffe
	s_add_nc_u64 s[18:19], s[14:15], s[16:17]
	s_add_nc_u64 s[34:35], s[20:21], s[16:17]
	s_clause 0x1
	global_load_b64 v[10:11], v1, s[18:19]
	global_load_b64 v[8:9], v1, s[34:35]
	s_mov_b32 s18, s7
	s_mov_b32 s19, s7
	s_wait_alu 0xfffe
	v_dual_mov_b32 v17, s18 :: v_dual_mov_b32 v18, s19
	ds_store_b64 v12, v[17:18]
	ds_store_b64 v13, v[17:18]
	s_and_saveexec_b32 s18, s26
	s_cbranch_execnz .LBB175_10
; %bb.6:                                ;   in Loop: Header=BB175_4 Depth=1
	s_wait_alu 0xfffe
	s_or_b32 exec_lo, exec_lo, s18
	s_and_saveexec_b32 s16, s27
	s_cbranch_execnz .LBB175_11
.LBB175_7:                              ;   in Loop: Header=BB175_4 Depth=1
	s_wait_alu 0xfffe
	s_or_b32 exec_lo, exec_lo, s16
	s_and_saveexec_b32 s16, s23
	s_cbranch_execnz .LBB175_12
.LBB175_8:                              ;   in Loop: Header=BB175_4 Depth=1
	s_wait_alu 0xfffe
	s_or_b32 exec_lo, exec_lo, s16
	s_delay_alu instid0(SALU_CYCLE_1)
	s_and_b32 vcc_lo, exec_lo, s24
	s_wait_alu 0xfffe
	s_cbranch_vccz .LBB175_13
.LBB175_9:                              ;   in Loop: Header=BB175_4 Depth=1
	s_and_b32 s16, s0, exec_lo
	s_cbranch_execz .LBB175_14
	s_branch .LBB175_15
.LBB175_10:                             ;   in Loop: Header=BB175_4 Depth=1
	s_add_nc_u64 s[16:17], s[8:9], s[16:17]
	global_load_b64 v[17:18], v1, s[16:17]
	s_wait_loadcnt 0x0
	v_add_co_u32 v17, vcc_lo, v17, s2
	s_wait_alu 0xfffd
	v_add_co_ci_u32_e64 v18, null, s3, v18, vcc_lo
	s_delay_alu instid0(VALU_DEP_2) | instskip(SKIP_1) | instid1(VALU_DEP_2)
	v_add_co_u32 v17, vcc_lo, v17, v2
	s_wait_alu 0xfffd
	v_add_co_ci_u32_e64 v18, null, v18, v3, vcc_lo
	s_delay_alu instid0(VALU_DEP_2) | instskip(SKIP_1) | instid1(VALU_DEP_2)
	v_add_co_u32 v17, vcc_lo, v17, v16
	s_wait_alu 0xfffd
	v_add_co_ci_u32_e64 v18, null, 0, v18, vcc_lo
	flat_load_b64 v[17:18], v[17:18]
	s_wait_loadcnt_dscnt 0x0
	ds_store_b64 v12, v[17:18]
	s_wait_alu 0xfffe
	s_or_b32 exec_lo, exec_lo, s18
	s_and_saveexec_b32 s16, s27
	s_cbranch_execz .LBB175_7
.LBB175_11:                             ;   in Loop: Header=BB175_4 Depth=1
	s_wait_loadcnt 0x1
	v_add_co_u32 v10, vcc_lo, v10, s4
	s_wait_alu 0xfffd
	v_add_co_ci_u32_e64 v11, null, s5, v11, vcc_lo
	s_delay_alu instid0(VALU_DEP_2) | instskip(SKIP_1) | instid1(VALU_DEP_2)
	v_add_co_u32 v10, vcc_lo, v10, s10
	s_wait_alu 0xfffd
	v_add_co_ci_u32_e64 v11, null, s11, v11, vcc_lo
	s_delay_alu instid0(VALU_DEP_2) | instskip(SKIP_1) | instid1(VALU_DEP_2)
	;; [unrolled: 4-line block ×3, first 2 shown]
	v_add_co_u32 v10, vcc_lo, v10, v16
	s_wait_alu 0xfffd
	v_add_co_ci_u32_e64 v11, null, 0, v11, vcc_lo
	flat_load_b64 v[10:11], v[10:11]
	s_wait_loadcnt_dscnt 0x0
	ds_store_b64 v13, v[10:11]
	s_wait_alu 0xfffe
	s_or_b32 exec_lo, exec_lo, s16
	s_and_saveexec_b32 s16, s23
	s_cbranch_execz .LBB175_8
.LBB175_12:                             ;   in Loop: Header=BB175_4 Depth=1
	ds_store_b64 v12, v[0:1]
	s_wait_alu 0xfffe
	s_or_b32 exec_lo, exec_lo, s16
	s_delay_alu instid0(SALU_CYCLE_1)
	s_and_b32 vcc_lo, exec_lo, s24
	s_wait_alu 0xfffe
	s_cbranch_vccnz .LBB175_9
.LBB175_13:                             ;   in Loop: Header=BB175_4 Depth=1
	s_mov_b32 s16, 0
.LBB175_14:                             ;   in Loop: Header=BB175_4 Depth=1
	s_wait_alu 0xfffe
	s_and_not1_b32 s16, s16, exec_lo
	s_and_b32 s17, s1, exec_lo
	s_wait_alu 0xfffe
	s_or_b32 s16, s16, s17
.LBB175_15:                             ;   in Loop: Header=BB175_4 Depth=1
	s_wait_alu 0xfffe
	s_and_saveexec_b32 s17, s16
	s_cbranch_execz .LBB175_17
; %bb.16:                               ;   in Loop: Header=BB175_4 Depth=1
	s_wait_loadcnt 0x1
	v_dual_mov_b32 v10, v1 :: v_dual_mov_b32 v11, v1
	ds_store_b64 v12, v[10:11]
.LBB175_17:                             ;   in Loop: Header=BB175_4 Depth=1
	s_wait_alu 0xfffe
	s_or_b32 exec_lo, exec_lo, s17
	s_wait_loadcnt_dscnt 0x0
	s_barrier_signal -1
	s_barrier_wait -1
	global_inv scope:SCOPE_SE
	s_and_saveexec_b32 s16, s27
	s_cbranch_execz .LBB175_2
; %bb.18:                               ;   in Loop: Header=BB175_4 Depth=1
	ds_load_2addr_b64 v[17:20], v14 offset1:16
	ds_load_b128 v[21:24], v15
	ds_load_b128 v[25:28], v15 offset:16
	ds_load_2addr_b64 v[29:32], v14 offset0:32 offset1:48
	ds_load_2addr_b64 v[33:36], v14 offset0:64 offset1:80
	ds_load_b128 v[37:40], v15 offset:32
	ds_load_b128 v[41:44], v15 offset:48
	ds_load_2addr_b64 v[45:48], v14 offset0:96 offset1:112
	ds_load_2addr_b64 v[49:52], v14 offset0:128 offset1:144
	ds_load_b128 v[53:56], v15 offset:64
	;; [unrolled: 4-line block ×3, first 2 shown]
	ds_load_b128 v[73:76], v15 offset:112
	ds_load_2addr_b64 v[77:80], v14 offset0:224 offset1:240
	v_add_co_u32 v8, vcc_lo, v8, s12
	s_wait_dscnt 0xe
	v_dual_mul_f32 v10, v21, v18 :: v_dual_mul_f32 v11, v23, v20
	v_mul_f32_e32 v18, v22, v18
	s_wait_dscnt 0xc
	v_dual_mul_f32 v81, v25, v30 :: v_dual_mul_f32 v82, v27, v32
	s_wait_dscnt 0xa
	v_dual_mul_f32 v83, v37, v34 :: v_dual_mul_f32 v84, v39, v36
	v_fmac_f32_e32 v11, v24, v19
	s_wait_dscnt 0x6
	v_dual_mul_f32 v87, v53, v50 :: v_dual_fmac_f32 v10, v22, v17
	v_fma_f32 v17, v21, v17, -v18
	v_mul_f32_e32 v20, v24, v20
	s_wait_dscnt 0x4
	v_dual_mul_f32 v22, v59, v64 :: v_dual_fmac_f32 v81, v26, v29
	s_delay_alu instid0(VALU_DEP_3) | instskip(NEXT) | instid1(VALU_DEP_3)
	v_dual_add_f32 v10, 0, v10 :: v_dual_add_f32 v17, 0, v17
	v_fma_f32 v18, v23, v19, -v20
	v_fmac_f32_e32 v82, v28, v31
	s_delay_alu instid0(VALU_DEP_3) | instskip(SKIP_1) | instid1(VALU_DEP_4)
	v_dual_mul_f32 v19, v28, v32 :: v_dual_add_f32 v10, v10, v11
	v_mul_f32_e32 v11, v26, v30
	v_add_f32_e32 v17, v17, v18
	v_dual_fmac_f32 v83, v38, v33 :: v_dual_fmac_f32 v84, v40, v35
	s_delay_alu instid0(VALU_DEP_4) | instskip(NEXT) | instid1(VALU_DEP_4)
	v_fma_f32 v19, v27, v31, -v19
	v_fma_f32 v11, v25, v29, -v11
	v_dual_add_f32 v10, v10, v81 :: v_dual_mul_f32 v85, v41, v46
	v_mul_f32_e32 v86, v43, v48
	v_dual_mul_f32 v88, v55, v52 :: v_dual_mul_f32 v89, v57, v62
	s_delay_alu instid0(VALU_DEP_3) | instskip(SKIP_1) | instid1(VALU_DEP_4)
	v_dual_add_f32 v11, v17, v11 :: v_dual_add_f32 v10, v10, v82
	v_dual_mul_f32 v17, v40, v36 :: v_dual_mul_f32 v18, v38, v34
	v_dual_fmac_f32 v85, v42, v45 :: v_dual_fmac_f32 v86, v44, v47
	s_delay_alu instid0(VALU_DEP_3) | instskip(SKIP_1) | instid1(VALU_DEP_4)
	v_add_f32_e32 v11, v11, v19
	v_mul_f32_e32 v19, v42, v46
	v_fma_f32 v18, v37, v33, -v18
	v_add_f32_e32 v10, v10, v83
	v_fma_f32 v17, v39, v35, -v17
	v_dual_fmac_f32 v87, v54, v49 :: v_dual_fmac_f32 v88, v56, v51
	s_delay_alu instid0(VALU_DEP_3)
	v_dual_add_f32 v11, v11, v18 :: v_dual_add_f32 v10, v10, v84
	v_mul_f32_e32 v18, v44, v48
	v_fma_f32 v19, v41, v45, -v19
	s_wait_dscnt 0x2
	v_dual_fmac_f32 v89, v58, v61 :: v_dual_mul_f32 v20, v71, v68
	v_add_f32_e32 v11, v11, v17
	v_add_f32_e32 v10, v10, v85
	v_dual_mul_f32 v17, v54, v50 :: v_dual_fmac_f32 v22, v60, v63
	v_fma_f32 v18, v43, v47, -v18
	s_delay_alu instid0(VALU_DEP_3) | instskip(SKIP_1) | instid1(VALU_DEP_4)
	v_dual_add_f32 v11, v11, v19 :: v_dual_add_f32 v10, v10, v86
	v_mul_f32_e32 v19, v56, v52
	v_fma_f32 v17, v53, v49, -v17
	s_delay_alu instid0(VALU_DEP_3) | instskip(NEXT) | instid1(VALU_DEP_4)
	v_dual_fmac_f32 v20, v72, v67 :: v_dual_add_f32 v11, v11, v18
	v_add_f32_e32 v10, v10, v87
	s_delay_alu instid0(VALU_DEP_4) | instskip(NEXT) | instid1(VALU_DEP_2)
	v_fma_f32 v19, v55, v51, -v19
	v_dual_add_f32 v11, v11, v17 :: v_dual_add_f32 v10, v10, v88
	v_mul_f32_e32 v18, v58, v62
	v_mul_f32_e32 v17, v69, v66
	s_delay_alu instid0(VALU_DEP_3) | instskip(NEXT) | instid1(VALU_DEP_3)
	v_dual_add_f32 v11, v11, v19 :: v_dual_add_f32 v10, v10, v89
	v_fma_f32 v18, v57, v61, -v18
	v_mul_f32_e32 v19, v60, v64
	s_delay_alu instid0(VALU_DEP_4) | instskip(NEXT) | instid1(VALU_DEP_4)
	v_fmac_f32_e32 v17, v70, v65
	v_add_f32_e32 v10, v10, v22
	s_delay_alu instid0(VALU_DEP_4) | instskip(NEXT) | instid1(VALU_DEP_4)
	v_add_f32_e32 v11, v11, v18
	v_fma_f32 v18, v59, v63, -v19
	v_mul_f32_e32 v19, v70, v66
	s_wait_dscnt 0x0
	v_dual_add_f32 v10, v10, v17 :: v_dual_mul_f32 v17, v73, v78
	s_delay_alu instid0(VALU_DEP_1) | instskip(NEXT) | instid1(VALU_DEP_2)
	v_add_f32_e32 v10, v10, v20
	v_dual_mul_f32 v20, v75, v80 :: v_dual_fmac_f32 v17, v74, v77
	s_delay_alu instid0(VALU_DEP_1) | instskip(NEXT) | instid1(VALU_DEP_2)
	v_dual_fmac_f32 v20, v76, v79 :: v_dual_add_f32 v11, v11, v18
	v_add_f32_e32 v10, v10, v17
	v_fma_f32 v18, v69, v65, -v19
	s_delay_alu instid0(VALU_DEP_2) | instskip(SKIP_1) | instid1(VALU_DEP_3)
	v_add_f32_e32 v10, v10, v20
	v_mul_f32_e32 v19, v72, v68
	v_add_f32_e32 v11, v11, v18
	s_delay_alu instid0(VALU_DEP_2) | instskip(SKIP_1) | instid1(VALU_DEP_2)
	v_fma_f32 v18, v71, v67, -v19
	v_mul_f32_e32 v19, v74, v78
	v_add_f32_e32 v11, v11, v18
	s_delay_alu instid0(VALU_DEP_2) | instskip(NEXT) | instid1(VALU_DEP_1)
	v_fma_f32 v17, v73, v77, -v19
	v_dual_mul_f32 v18, v76, v80 :: v_dual_add_f32 v11, v11, v17
	s_delay_alu instid0(VALU_DEP_1) | instskip(SKIP_3) | instid1(VALU_DEP_3)
	v_fma_f32 v17, v75, v79, -v18
	s_wait_alu 0xfffd
	v_add_co_ci_u32_e64 v18, null, s13, v9, vcc_lo
	v_add_co_u32 v8, vcc_lo, v8, s10
	v_add_f32_e32 v11, v11, v17
	s_wait_alu 0xfffd
	s_delay_alu instid0(VALU_DEP_3)
	v_add_co_ci_u32_e64 v17, null, s11, v18, vcc_lo
	v_mul_f32_e32 v9, s28, v10
	v_mul_f32_e32 v10, s29, v10
	v_add_co_u32 v18, vcc_lo, v8, v6
	s_wait_alu 0xfffd
	v_add_co_ci_u32_e64 v17, null, v17, v7, vcc_lo
	s_delay_alu instid0(VALU_DEP_3) | instskip(NEXT) | instid1(VALU_DEP_3)
	v_fma_f32 v8, s28, v11, -v10
	v_add_co_u32 v10, vcc_lo, v18, v16
	v_fmac_f32_e32 v9, s29, v11
	s_wait_alu 0xfffd
	v_add_co_ci_u32_e64 v11, null, 0, v17, vcc_lo
	flat_store_b64 v[10:11], v[8:9]
	s_branch .LBB175_2
.LBB175_19:
	s_endpgm
	.section	.rodata,"a",@progbits
	.p2align	6, 0x0
	.amdhsa_kernel _ZL23rocblas_trmm_rNx_kernelILi16E19rocblas_complex_numIfES1_KPKS1_KPS1_Ev13rocblas_fill_17rocblas_diagonal_iiT1_lPT2_llSB_llPT3_lli
		.amdhsa_group_segment_fixed_size 4096
		.amdhsa_private_segment_fixed_size 0
		.amdhsa_kernarg_size 108
		.amdhsa_user_sgpr_count 2
		.amdhsa_user_sgpr_dispatch_ptr 0
		.amdhsa_user_sgpr_queue_ptr 0
		.amdhsa_user_sgpr_kernarg_segment_ptr 1
		.amdhsa_user_sgpr_dispatch_id 0
		.amdhsa_user_sgpr_private_segment_size 0
		.amdhsa_wavefront_size32 1
		.amdhsa_uses_dynamic_stack 0
		.amdhsa_enable_private_segment 0
		.amdhsa_system_sgpr_workgroup_id_x 1
		.amdhsa_system_sgpr_workgroup_id_y 0
		.amdhsa_system_sgpr_workgroup_id_z 1
		.amdhsa_system_sgpr_workgroup_info 0
		.amdhsa_system_vgpr_workitem_id 1
		.amdhsa_next_free_vgpr 90
		.amdhsa_next_free_sgpr 36
		.amdhsa_reserve_vcc 1
		.amdhsa_float_round_mode_32 0
		.amdhsa_float_round_mode_16_64 0
		.amdhsa_float_denorm_mode_32 3
		.amdhsa_float_denorm_mode_16_64 3
		.amdhsa_fp16_overflow 0
		.amdhsa_workgroup_processor_mode 1
		.amdhsa_memory_ordered 1
		.amdhsa_forward_progress 1
		.amdhsa_inst_pref_size 15
		.amdhsa_round_robin_scheduling 0
		.amdhsa_exception_fp_ieee_invalid_op 0
		.amdhsa_exception_fp_denorm_src 0
		.amdhsa_exception_fp_ieee_div_zero 0
		.amdhsa_exception_fp_ieee_overflow 0
		.amdhsa_exception_fp_ieee_underflow 0
		.amdhsa_exception_fp_ieee_inexact 0
		.amdhsa_exception_int_div_zero 0
	.end_amdhsa_kernel
	.section	.text._ZL23rocblas_trmm_rNx_kernelILi16E19rocblas_complex_numIfES1_KPKS1_KPS1_Ev13rocblas_fill_17rocblas_diagonal_iiT1_lPT2_llSB_llPT3_lli,"axG",@progbits,_ZL23rocblas_trmm_rNx_kernelILi16E19rocblas_complex_numIfES1_KPKS1_KPS1_Ev13rocblas_fill_17rocblas_diagonal_iiT1_lPT2_llSB_llPT3_lli,comdat
.Lfunc_end175:
	.size	_ZL23rocblas_trmm_rNx_kernelILi16E19rocblas_complex_numIfES1_KPKS1_KPS1_Ev13rocblas_fill_17rocblas_diagonal_iiT1_lPT2_llSB_llPT3_lli, .Lfunc_end175-_ZL23rocblas_trmm_rNx_kernelILi16E19rocblas_complex_numIfES1_KPKS1_KPS1_Ev13rocblas_fill_17rocblas_diagonal_iiT1_lPT2_llSB_llPT3_lli
                                        ; -- End function
	.set _ZL23rocblas_trmm_rNx_kernelILi16E19rocblas_complex_numIfES1_KPKS1_KPS1_Ev13rocblas_fill_17rocblas_diagonal_iiT1_lPT2_llSB_llPT3_lli.num_vgpr, 90
	.set _ZL23rocblas_trmm_rNx_kernelILi16E19rocblas_complex_numIfES1_KPKS1_KPS1_Ev13rocblas_fill_17rocblas_diagonal_iiT1_lPT2_llSB_llPT3_lli.num_agpr, 0
	.set _ZL23rocblas_trmm_rNx_kernelILi16E19rocblas_complex_numIfES1_KPKS1_KPS1_Ev13rocblas_fill_17rocblas_diagonal_iiT1_lPT2_llSB_llPT3_lli.numbered_sgpr, 36
	.set _ZL23rocblas_trmm_rNx_kernelILi16E19rocblas_complex_numIfES1_KPKS1_KPS1_Ev13rocblas_fill_17rocblas_diagonal_iiT1_lPT2_llSB_llPT3_lli.num_named_barrier, 0
	.set _ZL23rocblas_trmm_rNx_kernelILi16E19rocblas_complex_numIfES1_KPKS1_KPS1_Ev13rocblas_fill_17rocblas_diagonal_iiT1_lPT2_llSB_llPT3_lli.private_seg_size, 0
	.set _ZL23rocblas_trmm_rNx_kernelILi16E19rocblas_complex_numIfES1_KPKS1_KPS1_Ev13rocblas_fill_17rocblas_diagonal_iiT1_lPT2_llSB_llPT3_lli.uses_vcc, 1
	.set _ZL23rocblas_trmm_rNx_kernelILi16E19rocblas_complex_numIfES1_KPKS1_KPS1_Ev13rocblas_fill_17rocblas_diagonal_iiT1_lPT2_llSB_llPT3_lli.uses_flat_scratch, 0
	.set _ZL23rocblas_trmm_rNx_kernelILi16E19rocblas_complex_numIfES1_KPKS1_KPS1_Ev13rocblas_fill_17rocblas_diagonal_iiT1_lPT2_llSB_llPT3_lli.has_dyn_sized_stack, 0
	.set _ZL23rocblas_trmm_rNx_kernelILi16E19rocblas_complex_numIfES1_KPKS1_KPS1_Ev13rocblas_fill_17rocblas_diagonal_iiT1_lPT2_llSB_llPT3_lli.has_recursion, 0
	.set _ZL23rocblas_trmm_rNx_kernelILi16E19rocblas_complex_numIfES1_KPKS1_KPS1_Ev13rocblas_fill_17rocblas_diagonal_iiT1_lPT2_llSB_llPT3_lli.has_indirect_call, 0
	.section	.AMDGPU.csdata,"",@progbits
; Kernel info:
; codeLenInByte = 1800
; TotalNumSgprs: 38
; NumVgprs: 90
; ScratchSize: 0
; MemoryBound: 0
; FloatMode: 240
; IeeeMode: 1
; LDSByteSize: 4096 bytes/workgroup (compile time only)
; SGPRBlocks: 0
; VGPRBlocks: 11
; NumSGPRsForWavesPerEU: 38
; NumVGPRsForWavesPerEU: 90
; Occupancy: 16
; WaveLimiterHint : 1
; COMPUTE_PGM_RSRC2:SCRATCH_EN: 0
; COMPUTE_PGM_RSRC2:USER_SGPR: 2
; COMPUTE_PGM_RSRC2:TRAP_HANDLER: 0
; COMPUTE_PGM_RSRC2:TGID_X_EN: 1
; COMPUTE_PGM_RSRC2:TGID_Y_EN: 0
; COMPUTE_PGM_RSRC2:TGID_Z_EN: 1
; COMPUTE_PGM_RSRC2:TIDIG_COMP_CNT: 1
	.section	.text._ZL23rocblas_trmm_rTx_kernelILi16ELb0E19rocblas_complex_numIfEPKS1_KS3_KPS1_Ev13rocblas_fill_17rocblas_diagonal_iiT2_lPT3_llSB_llPT4_lli,"axG",@progbits,_ZL23rocblas_trmm_rTx_kernelILi16ELb0E19rocblas_complex_numIfEPKS1_KS3_KPS1_Ev13rocblas_fill_17rocblas_diagonal_iiT2_lPT3_llSB_llPT4_lli,comdat
	.globl	_ZL23rocblas_trmm_rTx_kernelILi16ELb0E19rocblas_complex_numIfEPKS1_KS3_KPS1_Ev13rocblas_fill_17rocblas_diagonal_iiT2_lPT3_llSB_llPT4_lli ; -- Begin function _ZL23rocblas_trmm_rTx_kernelILi16ELb0E19rocblas_complex_numIfEPKS1_KS3_KPS1_Ev13rocblas_fill_17rocblas_diagonal_iiT2_lPT3_llSB_llPT4_lli
	.p2align	8
	.type	_ZL23rocblas_trmm_rTx_kernelILi16ELb0E19rocblas_complex_numIfEPKS1_KS3_KPS1_Ev13rocblas_fill_17rocblas_diagonal_iiT2_lPT3_llSB_llPT4_lli,@function
_ZL23rocblas_trmm_rTx_kernelILi16ELb0E19rocblas_complex_numIfEPKS1_KS3_KPS1_Ev13rocblas_fill_17rocblas_diagonal_iiT2_lPT3_llSB_llPT4_lli: ; @_ZL23rocblas_trmm_rTx_kernelILi16ELb0E19rocblas_complex_numIfEPKS1_KS3_KPS1_Ev13rocblas_fill_17rocblas_diagonal_iiT2_lPT3_llSB_llPT4_lli
; %bb.0:
	s_load_b32 s30, s[0:1], 0x68
	s_lshr_b32 s28, ttmp7, 16
	s_wait_kmcnt 0x0
	s_cmp_ge_u32 s28, s30
	s_cbranch_scc1 .LBB176_19
; %bb.1:
	s_clause 0x3
	s_load_b128 s[24:27], s[0:1], 0x0
	s_load_b512 s[4:19], s[0:1], 0x10
	s_load_b128 s[20:23], s[0:1], 0x50
	s_load_b64 s[2:3], s[0:1], 0x60
	v_bfe_u32 v11, v0, 10, 10
	v_dual_mov_b32 v1, 0 :: v_dual_and_b32 v12, 0x3ff, v0
	s_mov_b32 s29, 0
	s_delay_alu instid0(VALU_DEP_2) | instskip(NEXT) | instid1(VALU_DEP_2)
	v_lshlrev_b32_e32 v17, 3, v11
	v_cmp_eq_u32_e32 vcc_lo, v11, v12
	v_lshl_add_u32 v16, v12, 3, 0x800
	v_lshlrev_b32_e32 v18, 3, v12
	s_wait_kmcnt 0x0
	s_add_co_i32 s1, s26, -1
	v_mad_co_u64_u32 v[4:5], null, s16, v11, 0
	v_lshlrev_b32_e32 v0, 4, v11
	v_mad_co_u64_u32 v[2:3], null, s10, v11, 0
	v_mad_co_u64_u32 v[6:7], null, s22, v11, 0
	s_delay_alu instid0(VALU_DEP_3)
	v_add_lshl_u32 v14, v0, v12, 3
	s_ashr_i32 s10, s1, 31
	v_cmp_gt_i32_e64 s0, s27, v11
	s_wait_alu 0xfffe
	s_lshr_b32 s10, s10, 28
	v_dual_mov_b32 v0, v3 :: v_dual_add_nc_u32 v15, 0x800, v14
	v_mov_b32_e32 v3, v5
	s_wait_alu 0xfffe
	s_add_co_i32 s10, s1, s10
	v_mov_b32_e32 v5, v7
	s_wait_alu 0xfffe
	s_ashr_i32 s16, s10, 4
	s_and_b32 s10, s10, -16
	v_mad_co_u64_u32 v[7:8], null, s11, v11, v[0:1]
	v_cmp_gt_i32_e64 s1, s27, v12
	s_wait_alu 0xfffe
	s_sub_co_i32 s10, s26, s10
	v_mad_co_u64_u32 v[8:9], null, s17, v11, v[3:4]
	s_cmp_ge_i32 ttmp9, s16
	v_mad_co_u64_u32 v[9:10], null, s23, v11, v[5:6]
	s_wait_alu 0xfffe
	s_cselect_b32 s10, s10, 16
	s_and_b32 s22, s0, s1
	s_wait_alu 0xfffe
	v_cmp_gt_i32_e64 s1, s10, v12
	s_lshl_b32 s16, ttmp9, 4
	v_dual_mov_b32 v3, v7 :: v_dual_mov_b32 v0, 1.0
	v_mov_b32_e32 v5, v8
	v_mov_b32_e32 v7, v9
	s_wait_alu 0xfffe
	s_ashr_i32 s17, s16, 31
	s_and_b32 s26, s0, s1
	s_cmp_eq_u32 s25, 0x84
	v_lshlrev_b64_e32 v[2:3], 3, v[2:3]
	s_cselect_b32 s0, -1, 0
	v_lshlrev_b64_e32 v[4:5], 3, v[4:5]
	v_lshlrev_b64_e32 v[6:7], 3, v[6:7]
	s_and_b32 s23, vcc_lo, s0
	v_cmp_lt_u32_e64 s0, v12, v11
	v_cmp_gt_u32_e64 s1, v12, v11
	s_cmp_lg_u32 s24, 0x79
	s_cselect_b32 s24, -1, 0
	s_lshl_b64 s[10:11], s[12:13], 3
	s_lshl_b64 s[12:13], s[18:19], 3
	s_wait_alu 0xfffe
	s_lshl_b64 s[16:17], s[16:17], 3
	s_lshl_b64 s[18:19], s[2:3], 3
	s_branch .LBB176_4
.LBB176_2:                              ;   in Loop: Header=BB176_4 Depth=1
	s_or_b32 exec_lo, exec_lo, s2
.LBB176_3:                              ;   in Loop: Header=BB176_4 Depth=1
	s_add_co_i32 s28, s28, 0x10000
	s_delay_alu instid0(SALU_CYCLE_1)
	s_cmp_lt_u32 s28, s30
	s_cbranch_scc0 .LBB176_19
.LBB176_4:                              ; =>This Inner Loop Header: Depth=1
	s_mul_u64 s[2:3], s[6:7], s[28:29]
	s_delay_alu instid0(SALU_CYCLE_1) | instskip(NEXT) | instid1(SALU_CYCLE_1)
	s_lshl_b64 s[2:3], s[2:3], 3
	s_add_nc_u64 s[2:3], s[4:5], s[2:3]
	global_load_b64 v[8:9], v1, s[2:3]
	s_wait_loadcnt 0x0
	v_cmp_neq_f32_e32 vcc_lo, 0, v8
	v_cmp_neq_f32_e64 s2, 0, v9
	s_or_b32 s2, vcc_lo, s2
	s_delay_alu instid0(SALU_CYCLE_1)
	s_and_not1_b32 vcc_lo, exec_lo, s2
	s_wait_alu 0xfffe
	s_cbranch_vccnz .LBB176_3
; %bb.5:                                ;   in Loop: Header=BB176_4 Depth=1
	s_lshl_b64 s[2:3], s[28:29], 3
	s_delay_alu instid0(SALU_CYCLE_1)
	s_add_nc_u64 s[34:35], s[14:15], s[2:3]
	s_add_nc_u64 s[36:37], s[20:21], s[2:3]
	s_clause 0x1
	global_load_b64 v[12:13], v1, s[34:35]
	global_load_b64 v[10:11], v1, s[36:37]
	s_mov_b32 s34, s29
	s_mov_b32 s35, s29
	s_wait_alu 0xfffe
	v_dual_mov_b32 v19, s34 :: v_dual_mov_b32 v20, s35
	ds_store_b64 v14, v[19:20]
	ds_store_b64 v15, v[19:20]
	s_and_saveexec_b32 s25, s22
	s_cbranch_execnz .LBB176_10
; %bb.6:                                ;   in Loop: Header=BB176_4 Depth=1
	s_or_b32 exec_lo, exec_lo, s25
	s_and_saveexec_b32 s2, s26
	s_cbranch_execnz .LBB176_11
.LBB176_7:                              ;   in Loop: Header=BB176_4 Depth=1
	s_or_b32 exec_lo, exec_lo, s2
	s_and_saveexec_b32 s2, s23
	s_cbranch_execnz .LBB176_12
.LBB176_8:                              ;   in Loop: Header=BB176_4 Depth=1
	s_or_b32 exec_lo, exec_lo, s2
	s_delay_alu instid0(SALU_CYCLE_1)
	s_and_b32 vcc_lo, exec_lo, s24
	s_wait_alu 0xfffe
	s_cbranch_vccz .LBB176_13
.LBB176_9:                              ;   in Loop: Header=BB176_4 Depth=1
	s_and_b32 s2, s0, exec_lo
	s_cbranch_execz .LBB176_14
	s_branch .LBB176_15
.LBB176_10:                             ;   in Loop: Header=BB176_4 Depth=1
	s_add_nc_u64 s[2:3], s[8:9], s[2:3]
	global_load_b64 v[19:20], v1, s[2:3]
	s_wait_loadcnt 0x0
	v_add_co_u32 v19, vcc_lo, v19, s10
	s_wait_alu 0xfffd
	v_add_co_ci_u32_e64 v20, null, s11, v20, vcc_lo
	s_delay_alu instid0(VALU_DEP_2) | instskip(SKIP_1) | instid1(VALU_DEP_2)
	v_add_co_u32 v19, vcc_lo, v19, v2
	s_wait_alu 0xfffd
	v_add_co_ci_u32_e64 v20, null, v20, v3, vcc_lo
	s_delay_alu instid0(VALU_DEP_2) | instskip(SKIP_1) | instid1(VALU_DEP_2)
	v_add_co_u32 v19, vcc_lo, v19, v18
	s_wait_alu 0xfffd
	v_add_co_ci_u32_e64 v20, null, 0, v20, vcc_lo
	flat_load_b64 v[19:20], v[19:20]
	s_wait_loadcnt_dscnt 0x0
	ds_store_b64 v14, v[19:20]
	s_or_b32 exec_lo, exec_lo, s25
	s_and_saveexec_b32 s2, s26
	s_cbranch_execz .LBB176_7
.LBB176_11:                             ;   in Loop: Header=BB176_4 Depth=1
	s_wait_loadcnt 0x1
	v_add_co_u32 v12, vcc_lo, v12, s12
	s_wait_alu 0xfffd
	v_add_co_ci_u32_e64 v13, null, s13, v13, vcc_lo
	s_wait_alu 0xfffe
	s_delay_alu instid0(VALU_DEP_2) | instskip(SKIP_1) | instid1(VALU_DEP_2)
	v_add_co_u32 v12, vcc_lo, v12, s16
	s_wait_alu 0xfffd
	v_add_co_ci_u32_e64 v13, null, s17, v13, vcc_lo
	s_delay_alu instid0(VALU_DEP_2) | instskip(SKIP_1) | instid1(VALU_DEP_2)
	v_add_co_u32 v12, vcc_lo, v12, v4
	s_wait_alu 0xfffd
	v_add_co_ci_u32_e64 v13, null, v13, v5, vcc_lo
	;; [unrolled: 4-line block ×3, first 2 shown]
	flat_load_b64 v[12:13], v[12:13]
	s_wait_loadcnt_dscnt 0x0
	ds_store_b64 v15, v[12:13]
	s_or_b32 exec_lo, exec_lo, s2
	s_and_saveexec_b32 s2, s23
	s_cbranch_execz .LBB176_8
.LBB176_12:                             ;   in Loop: Header=BB176_4 Depth=1
	ds_store_b64 v14, v[0:1]
	s_or_b32 exec_lo, exec_lo, s2
	s_delay_alu instid0(SALU_CYCLE_1)
	s_and_b32 vcc_lo, exec_lo, s24
	s_wait_alu 0xfffe
	s_cbranch_vccnz .LBB176_9
.LBB176_13:                             ;   in Loop: Header=BB176_4 Depth=1
	s_mov_b32 s2, 0
.LBB176_14:                             ;   in Loop: Header=BB176_4 Depth=1
	s_delay_alu instid0(SALU_CYCLE_1) | instskip(SKIP_1) | instid1(SALU_CYCLE_1)
	s_and_not1_b32 s2, s2, exec_lo
	s_and_b32 s3, s1, exec_lo
	s_or_b32 s2, s2, s3
.LBB176_15:                             ;   in Loop: Header=BB176_4 Depth=1
	s_delay_alu instid0(SALU_CYCLE_1)
	s_and_saveexec_b32 s3, s2
	s_cbranch_execz .LBB176_17
; %bb.16:                               ;   in Loop: Header=BB176_4 Depth=1
	s_wait_loadcnt 0x1
	v_dual_mov_b32 v12, v1 :: v_dual_mov_b32 v13, v1
	ds_store_b64 v14, v[12:13]
.LBB176_17:                             ;   in Loop: Header=BB176_4 Depth=1
	s_or_b32 exec_lo, exec_lo, s3
	s_wait_loadcnt_dscnt 0x0
	s_barrier_signal -1
	s_barrier_wait -1
	global_inv scope:SCOPE_SE
	s_and_saveexec_b32 s2, s26
	s_cbranch_execz .LBB176_2
; %bb.18:                               ;   in Loop: Header=BB176_4 Depth=1
	ds_load_2addr_b64 v[19:22], v17 offset1:16
	ds_load_2addr_b64 v[23:26], v16 offset1:16
	ds_load_2addr_b64 v[27:30], v17 offset0:32 offset1:48
	ds_load_2addr_b64 v[31:34], v16 offset0:32 offset1:48
	;; [unrolled: 1-line block ×14, first 2 shown]
	s_wait_dscnt 0xe
	v_dual_mul_f32 v12, v19, v24 :: v_dual_mul_f32 v13, v21, v26
	s_wait_dscnt 0xc
	v_dual_mul_f32 v83, v27, v32 :: v_dual_mul_f32 v84, v29, v34
	;; [unrolled: 2-line block ×4, first 2 shown]
	s_wait_dscnt 0x6
	v_dual_mul_f32 v89, v51, v56 :: v_dual_fmac_f32 v12, v20, v23
	v_dual_mul_f32 v20, v20, v24 :: v_dual_fmac_f32 v13, v22, v25
	s_wait_dscnt 0x4
	v_dual_mul_f32 v24, v61, v66 :: v_dual_fmac_f32 v83, v28, v31
	s_delay_alu instid0(VALU_DEP_3) | instskip(NEXT) | instid1(VALU_DEP_3)
	v_add_f32_e32 v12, 0, v12
	v_fma_f32 v19, v19, v23, -v20
	v_dual_mul_f32 v22, v22, v26 :: v_dual_fmac_f32 v85, v36, v39
	v_fmac_f32_e32 v86, v38, v41
	s_delay_alu instid0(VALU_DEP_4)
	v_add_f32_e32 v12, v12, v13
	v_mul_f32_e32 v13, v28, v32
	v_add_f32_e32 v19, 0, v19
	v_fma_f32 v20, v21, v25, -v22
	v_fmac_f32_e32 v84, v30, v33
	v_mul_f32_e32 v21, v30, v34
	v_fma_f32 v13, v27, v31, -v13
	v_dual_fmac_f32 v87, v44, v47 :: v_dual_fmac_f32 v88, v46, v49
	v_dual_add_f32 v19, v19, v20 :: v_dual_add_f32 v12, v12, v83
	s_delay_alu instid0(VALU_DEP_4) | instskip(SKIP_1) | instid1(VALU_DEP_3)
	v_fma_f32 v21, v29, v33, -v21
	v_dual_mul_f32 v90, v53, v58 :: v_dual_mul_f32 v91, v59, v64
	v_dual_add_f32 v13, v19, v13 :: v_dual_add_f32 v12, v12, v84
	v_dual_mul_f32 v19, v38, v42 :: v_dual_mul_f32 v20, v36, v40
	s_delay_alu instid0(VALU_DEP_3) | instskip(NEXT) | instid1(VALU_DEP_3)
	v_dual_fmac_f32 v89, v52, v55 :: v_dual_fmac_f32 v90, v54, v57
	v_add_f32_e32 v13, v13, v21
	v_mul_f32_e32 v21, v44, v48
	s_delay_alu instid0(VALU_DEP_4) | instskip(SKIP_4) | instid1(VALU_DEP_3)
	v_fma_f32 v20, v35, v39, -v20
	v_add_f32_e32 v12, v12, v85
	v_fma_f32 v19, v37, v41, -v19
	s_wait_dscnt 0x2
	v_dual_fmac_f32 v91, v60, v63 :: v_dual_mul_f32 v22, v69, v74
	v_dual_add_f32 v13, v13, v20 :: v_dual_add_f32 v12, v12, v86
	v_mul_f32_e32 v20, v46, v50
	v_fma_f32 v21, v43, v47, -v21
	s_delay_alu instid0(VALU_DEP_3) | instskip(NEXT) | instid1(VALU_DEP_4)
	v_dual_fmac_f32 v24, v62, v65 :: v_dual_add_f32 v13, v13, v19
	v_add_f32_e32 v12, v12, v87
	v_mul_f32_e32 v19, v52, v56
	v_fma_f32 v20, v45, v49, -v20
	v_fmac_f32_e32 v22, v70, v73
	s_delay_alu instid0(VALU_DEP_4) | instskip(SKIP_2) | instid1(VALU_DEP_3)
	v_dual_add_f32 v13, v13, v21 :: v_dual_add_f32 v12, v12, v88
	v_mul_f32_e32 v21, v54, v58
	v_fma_f32 v19, v51, v55, -v19
	v_dual_add_f32 v13, v13, v20 :: v_dual_add_f32 v12, v12, v89
	s_delay_alu instid0(VALU_DEP_3) | instskip(NEXT) | instid1(VALU_DEP_2)
	v_fma_f32 v21, v53, v57, -v21
	v_dual_add_f32 v13, v13, v19 :: v_dual_add_f32 v12, v12, v90
	v_mul_f32_e32 v20, v60, v64
	v_mul_f32_e32 v19, v67, v72
	s_delay_alu instid0(VALU_DEP_3) | instskip(NEXT) | instid1(VALU_DEP_3)
	v_dual_add_f32 v13, v13, v21 :: v_dual_add_f32 v12, v12, v91
	v_fma_f32 v20, v59, v63, -v20
	v_mul_f32_e32 v21, v62, v66
	s_delay_alu instid0(VALU_DEP_4) | instskip(NEXT) | instid1(VALU_DEP_4)
	v_fmac_f32_e32 v19, v68, v71
	v_add_f32_e32 v12, v12, v24
	s_delay_alu instid0(VALU_DEP_4) | instskip(NEXT) | instid1(VALU_DEP_4)
	v_add_f32_e32 v13, v13, v20
	v_fma_f32 v20, v61, v65, -v21
	v_mul_f32_e32 v21, v68, v72
	s_wait_dscnt 0x0
	v_dual_add_f32 v12, v12, v19 :: v_dual_mul_f32 v19, v75, v80
	s_delay_alu instid0(VALU_DEP_1) | instskip(NEXT) | instid1(VALU_DEP_2)
	v_add_f32_e32 v12, v12, v22
	v_dual_mul_f32 v22, v77, v82 :: v_dual_fmac_f32 v19, v76, v79
	s_delay_alu instid0(VALU_DEP_1) | instskip(NEXT) | instid1(VALU_DEP_2)
	v_dual_fmac_f32 v22, v78, v81 :: v_dual_add_f32 v13, v13, v20
	v_add_f32_e32 v12, v12, v19
	v_fma_f32 v20, v67, v71, -v21
	s_delay_alu instid0(VALU_DEP_2) | instskip(SKIP_1) | instid1(VALU_DEP_3)
	v_add_f32_e32 v12, v12, v22
	v_mul_f32_e32 v21, v70, v74
	v_add_f32_e32 v13, v13, v20
	s_delay_alu instid0(VALU_DEP_2) | instskip(SKIP_1) | instid1(VALU_DEP_2)
	v_fma_f32 v20, v69, v73, -v21
	v_mul_f32_e32 v21, v76, v80
	v_add_f32_e32 v13, v13, v20
	s_delay_alu instid0(VALU_DEP_2) | instskip(NEXT) | instid1(VALU_DEP_1)
	v_fma_f32 v19, v75, v79, -v21
	v_dual_mul_f32 v20, v78, v82 :: v_dual_add_f32 v13, v13, v19
	s_delay_alu instid0(VALU_DEP_1) | instskip(SKIP_3) | instid1(VALU_DEP_3)
	v_fma_f32 v19, v77, v81, -v20
	v_add_co_u32 v20, vcc_lo, v10, s18
	s_wait_alu 0xfffd
	v_add_co_ci_u32_e64 v11, null, s19, v11, vcc_lo
	v_dual_add_f32 v13, v13, v19 :: v_dual_mul_f32 v10, v8, v12
	s_wait_alu 0xfffe
	v_add_co_u32 v19, vcc_lo, v20, s16
	s_wait_alu 0xfffd
	v_add_co_ci_u32_e64 v11, null, s17, v11, vcc_lo
	v_fmac_f32_e32 v10, v9, v13
	v_mul_f32_e32 v9, v9, v12
	v_add_co_u32 v12, vcc_lo, v19, v6
	s_wait_alu 0xfffd
	v_add_co_ci_u32_e64 v19, null, v11, v7, vcc_lo
	s_delay_alu instid0(VALU_DEP_3) | instskip(NEXT) | instid1(VALU_DEP_3)
	v_fma_f32 v9, v8, v13, -v9
	v_add_co_u32 v11, vcc_lo, v12, v18
	s_wait_alu 0xfffd
	s_delay_alu instid0(VALU_DEP_3)
	v_add_co_ci_u32_e64 v12, null, 0, v19, vcc_lo
	flat_store_b64 v[11:12], v[9:10]
	s_branch .LBB176_2
.LBB176_19:
	s_endpgm
	.section	.rodata,"a",@progbits
	.p2align	6, 0x0
	.amdhsa_kernel _ZL23rocblas_trmm_rTx_kernelILi16ELb0E19rocblas_complex_numIfEPKS1_KS3_KPS1_Ev13rocblas_fill_17rocblas_diagonal_iiT2_lPT3_llSB_llPT4_lli
		.amdhsa_group_segment_fixed_size 4096
		.amdhsa_private_segment_fixed_size 0
		.amdhsa_kernarg_size 108
		.amdhsa_user_sgpr_count 2
		.amdhsa_user_sgpr_dispatch_ptr 0
		.amdhsa_user_sgpr_queue_ptr 0
		.amdhsa_user_sgpr_kernarg_segment_ptr 1
		.amdhsa_user_sgpr_dispatch_id 0
		.amdhsa_user_sgpr_private_segment_size 0
		.amdhsa_wavefront_size32 1
		.amdhsa_uses_dynamic_stack 0
		.amdhsa_enable_private_segment 0
		.amdhsa_system_sgpr_workgroup_id_x 1
		.amdhsa_system_sgpr_workgroup_id_y 0
		.amdhsa_system_sgpr_workgroup_id_z 1
		.amdhsa_system_sgpr_workgroup_info 0
		.amdhsa_system_vgpr_workitem_id 1
		.amdhsa_next_free_vgpr 92
		.amdhsa_next_free_sgpr 38
		.amdhsa_reserve_vcc 1
		.amdhsa_float_round_mode_32 0
		.amdhsa_float_round_mode_16_64 0
		.amdhsa_float_denorm_mode_32 3
		.amdhsa_float_denorm_mode_16_64 3
		.amdhsa_fp16_overflow 0
		.amdhsa_workgroup_processor_mode 1
		.amdhsa_memory_ordered 1
		.amdhsa_forward_progress 1
		.amdhsa_inst_pref_size 15
		.amdhsa_round_robin_scheduling 0
		.amdhsa_exception_fp_ieee_invalid_op 0
		.amdhsa_exception_fp_denorm_src 0
		.amdhsa_exception_fp_ieee_div_zero 0
		.amdhsa_exception_fp_ieee_overflow 0
		.amdhsa_exception_fp_ieee_underflow 0
		.amdhsa_exception_fp_ieee_inexact 0
		.amdhsa_exception_int_div_zero 0
	.end_amdhsa_kernel
	.section	.text._ZL23rocblas_trmm_rTx_kernelILi16ELb0E19rocblas_complex_numIfEPKS1_KS3_KPS1_Ev13rocblas_fill_17rocblas_diagonal_iiT2_lPT3_llSB_llPT4_lli,"axG",@progbits,_ZL23rocblas_trmm_rTx_kernelILi16ELb0E19rocblas_complex_numIfEPKS1_KS3_KPS1_Ev13rocblas_fill_17rocblas_diagonal_iiT2_lPT3_llSB_llPT4_lli,comdat
.Lfunc_end176:
	.size	_ZL23rocblas_trmm_rTx_kernelILi16ELb0E19rocblas_complex_numIfEPKS1_KS3_KPS1_Ev13rocblas_fill_17rocblas_diagonal_iiT2_lPT3_llSB_llPT4_lli, .Lfunc_end176-_ZL23rocblas_trmm_rTx_kernelILi16ELb0E19rocblas_complex_numIfEPKS1_KS3_KPS1_Ev13rocblas_fill_17rocblas_diagonal_iiT2_lPT3_llSB_llPT4_lli
                                        ; -- End function
	.set _ZL23rocblas_trmm_rTx_kernelILi16ELb0E19rocblas_complex_numIfEPKS1_KS3_KPS1_Ev13rocblas_fill_17rocblas_diagonal_iiT2_lPT3_llSB_llPT4_lli.num_vgpr, 92
	.set _ZL23rocblas_trmm_rTx_kernelILi16ELb0E19rocblas_complex_numIfEPKS1_KS3_KPS1_Ev13rocblas_fill_17rocblas_diagonal_iiT2_lPT3_llSB_llPT4_lli.num_agpr, 0
	.set _ZL23rocblas_trmm_rTx_kernelILi16ELb0E19rocblas_complex_numIfEPKS1_KS3_KPS1_Ev13rocblas_fill_17rocblas_diagonal_iiT2_lPT3_llSB_llPT4_lli.numbered_sgpr, 38
	.set _ZL23rocblas_trmm_rTx_kernelILi16ELb0E19rocblas_complex_numIfEPKS1_KS3_KPS1_Ev13rocblas_fill_17rocblas_diagonal_iiT2_lPT3_llSB_llPT4_lli.num_named_barrier, 0
	.set _ZL23rocblas_trmm_rTx_kernelILi16ELb0E19rocblas_complex_numIfEPKS1_KS3_KPS1_Ev13rocblas_fill_17rocblas_diagonal_iiT2_lPT3_llSB_llPT4_lli.private_seg_size, 0
	.set _ZL23rocblas_trmm_rTx_kernelILi16ELb0E19rocblas_complex_numIfEPKS1_KS3_KPS1_Ev13rocblas_fill_17rocblas_diagonal_iiT2_lPT3_llSB_llPT4_lli.uses_vcc, 1
	.set _ZL23rocblas_trmm_rTx_kernelILi16ELb0E19rocblas_complex_numIfEPKS1_KS3_KPS1_Ev13rocblas_fill_17rocblas_diagonal_iiT2_lPT3_llSB_llPT4_lli.uses_flat_scratch, 0
	.set _ZL23rocblas_trmm_rTx_kernelILi16ELb0E19rocblas_complex_numIfEPKS1_KS3_KPS1_Ev13rocblas_fill_17rocblas_diagonal_iiT2_lPT3_llSB_llPT4_lli.has_dyn_sized_stack, 0
	.set _ZL23rocblas_trmm_rTx_kernelILi16ELb0E19rocblas_complex_numIfEPKS1_KS3_KPS1_Ev13rocblas_fill_17rocblas_diagonal_iiT2_lPT3_llSB_llPT4_lli.has_recursion, 0
	.set _ZL23rocblas_trmm_rTx_kernelILi16ELb0E19rocblas_complex_numIfEPKS1_KS3_KPS1_Ev13rocblas_fill_17rocblas_diagonal_iiT2_lPT3_llSB_llPT4_lli.has_indirect_call, 0
	.section	.AMDGPU.csdata,"",@progbits
; Kernel info:
; codeLenInByte = 1816
; TotalNumSgprs: 40
; NumVgprs: 92
; ScratchSize: 0
; MemoryBound: 0
; FloatMode: 240
; IeeeMode: 1
; LDSByteSize: 4096 bytes/workgroup (compile time only)
; SGPRBlocks: 0
; VGPRBlocks: 11
; NumSGPRsForWavesPerEU: 40
; NumVGPRsForWavesPerEU: 92
; Occupancy: 16
; WaveLimiterHint : 1
; COMPUTE_PGM_RSRC2:SCRATCH_EN: 0
; COMPUTE_PGM_RSRC2:USER_SGPR: 2
; COMPUTE_PGM_RSRC2:TRAP_HANDLER: 0
; COMPUTE_PGM_RSRC2:TGID_X_EN: 1
; COMPUTE_PGM_RSRC2:TGID_Y_EN: 0
; COMPUTE_PGM_RSRC2:TGID_Z_EN: 1
; COMPUTE_PGM_RSRC2:TIDIG_COMP_CNT: 1
	.section	.text._ZL23rocblas_trmm_rTx_kernelILi16ELb0E19rocblas_complex_numIfES1_KPKS1_KPS1_Ev13rocblas_fill_17rocblas_diagonal_iiT2_lPT3_llSB_llPT4_lli,"axG",@progbits,_ZL23rocblas_trmm_rTx_kernelILi16ELb0E19rocblas_complex_numIfES1_KPKS1_KPS1_Ev13rocblas_fill_17rocblas_diagonal_iiT2_lPT3_llSB_llPT4_lli,comdat
	.globl	_ZL23rocblas_trmm_rTx_kernelILi16ELb0E19rocblas_complex_numIfES1_KPKS1_KPS1_Ev13rocblas_fill_17rocblas_diagonal_iiT2_lPT3_llSB_llPT4_lli ; -- Begin function _ZL23rocblas_trmm_rTx_kernelILi16ELb0E19rocblas_complex_numIfES1_KPKS1_KPS1_Ev13rocblas_fill_17rocblas_diagonal_iiT2_lPT3_llSB_llPT4_lli
	.p2align	8
	.type	_ZL23rocblas_trmm_rTx_kernelILi16ELb0E19rocblas_complex_numIfES1_KPKS1_KPS1_Ev13rocblas_fill_17rocblas_diagonal_iiT2_lPT3_llSB_llPT4_lli,@function
_ZL23rocblas_trmm_rTx_kernelILi16ELb0E19rocblas_complex_numIfES1_KPKS1_KPS1_Ev13rocblas_fill_17rocblas_diagonal_iiT2_lPT3_llSB_llPT4_lli: ; @_ZL23rocblas_trmm_rTx_kernelILi16ELb0E19rocblas_complex_numIfES1_KPKS1_KPS1_Ev13rocblas_fill_17rocblas_diagonal_iiT2_lPT3_llSB_llPT4_lli
; %bb.0:
	s_load_b32 s30, s[0:1], 0x68
	s_lshr_b32 s6, ttmp7, 16
	s_wait_kmcnt 0x0
	s_cmp_ge_u32 s6, s30
	s_cbranch_scc1 .LBB177_19
; %bb.1:
	s_clause 0x2
	s_load_b64 s[28:29], s[0:1], 0x10
	s_load_b128 s[24:27], s[0:1], 0x0
	s_load_b512 s[8:23], s[0:1], 0x20
	v_bfe_u32 v11, v0, 10, 10
	v_dual_mov_b32 v1, 0 :: v_dual_and_b32 v16, 0x3ff, v0
	s_load_b64 s[34:35], s[0:1], 0x60
	s_mov_b32 s7, 0
	s_delay_alu instid0(VALU_DEP_2) | instskip(NEXT) | instid1(VALU_DEP_2)
	v_lshlrev_b32_e32 v15, 3, v11
	v_cmp_eq_u32_e32 vcc_lo, v11, v16
	v_cmp_lt_u32_e64 s0, v16, v11
	v_cmp_gt_u32_e64 s1, v16, v11
	v_lshl_add_u32 v14, v16, 3, 0x800
	s_wait_kmcnt 0x0
	s_cmp_neq_f32 s28, 0
	v_cmp_gt_i32_e64 s3, s27, v16
	v_mad_co_u64_u32 v[4:5], null, s16, v11, 0
	s_cselect_b32 s4, -1, 0
	s_cmp_neq_f32 s29, 0
	v_lshlrev_b32_e32 v0, 4, v11
	v_mad_co_u64_u32 v[2:3], null, s10, v11, 0
	s_cselect_b32 s5, -1, 0
	s_add_co_i32 s10, s26, -1
	v_mad_co_u64_u32 v[6:7], null, s22, v11, 0
	s_wait_alu 0xfffe
	s_ashr_i32 s16, s10, 31
	v_add_lshl_u32 v12, v0, v16, 3
	s_wait_alu 0xfffe
	s_lshr_b32 s16, s16, 28
	v_mov_b32_e32 v0, v3
	s_wait_alu 0xfffe
	s_add_co_i32 s10, s10, s16
	s_or_b32 s22, s4, s5
	v_add_nc_u32_e32 v13, 0x800, v12
	s_wait_alu 0xfffe
	s_and_b32 s4, s10, -16
	v_mov_b32_e32 v3, v5
	s_ashr_i32 s5, s10, 4
	s_sub_co_i32 s4, s26, s4
	v_mov_b32_e32 v5, v7
	s_cmp_ge_i32 ttmp9, s5
	v_mad_co_u64_u32 v[7:8], null, s11, v11, v[0:1]
	s_cselect_b32 s4, s4, 16
	v_mad_co_u64_u32 v[8:9], null, s17, v11, v[3:4]
	v_cmp_gt_i32_e64 s4, s4, v16
	v_lshlrev_b32_e32 v16, 3, v16
	v_mad_co_u64_u32 v[9:10], null, s23, v11, v[5:6]
	v_cmp_gt_i32_e64 s2, s27, v11
	s_lshl_b32 s10, ttmp9, 4
	v_dual_mov_b32 v3, v7 :: v_dual_mov_b32 v0, 1.0
	v_mov_b32_e32 v5, v8
	s_and_b32 s26, s2, s3
	v_mov_b32_e32 v7, v9
	s_wait_alu 0xfffe
	s_ashr_i32 s11, s10, 31
	s_and_b32 s27, s2, s4
	s_cmp_eq_u32 s25, 0x84
	v_lshlrev_b64_e32 v[2:3], 3, v[2:3]
	s_cselect_b32 s2, -1, 0
	v_lshlrev_b64_e32 v[4:5], 3, v[4:5]
	v_lshlrev_b64_e32 v[6:7], 3, v[6:7]
	s_and_b32 s23, vcc_lo, s2
	s_cmp_lg_u32 s24, 0x79
	s_cselect_b32 s24, -1, 0
	s_lshl_b64 s[2:3], s[12:13], 3
	s_lshl_b64 s[4:5], s[18:19], 3
	s_wait_alu 0xfffe
	s_lshl_b64 s[10:11], s[10:11], 3
	s_lshl_b64 s[12:13], s[34:35], 3
	s_branch .LBB177_4
.LBB177_2:                              ;   in Loop: Header=BB177_4 Depth=1
	s_wait_alu 0xfffe
	s_or_b32 exec_lo, exec_lo, s16
.LBB177_3:                              ;   in Loop: Header=BB177_4 Depth=1
	s_add_co_i32 s6, s6, 0x10000
	s_delay_alu instid0(SALU_CYCLE_1)
	s_cmp_lt_u32 s6, s30
	s_cbranch_scc0 .LBB177_19
.LBB177_4:                              ; =>This Inner Loop Header: Depth=1
	s_and_not1_b32 vcc_lo, exec_lo, s22
	s_wait_alu 0xfffe
	s_cbranch_vccnz .LBB177_3
; %bb.5:                                ;   in Loop: Header=BB177_4 Depth=1
	s_lshl_b64 s[16:17], s[6:7], 3
	s_wait_alu 0xfffe
	s_add_nc_u64 s[18:19], s[14:15], s[16:17]
	s_add_nc_u64 s[34:35], s[20:21], s[16:17]
	s_clause 0x1
	global_load_b64 v[10:11], v1, s[18:19]
	global_load_b64 v[8:9], v1, s[34:35]
	s_mov_b32 s18, s7
	s_mov_b32 s19, s7
	s_wait_alu 0xfffe
	v_dual_mov_b32 v17, s18 :: v_dual_mov_b32 v18, s19
	ds_store_b64 v12, v[17:18]
	ds_store_b64 v13, v[17:18]
	s_and_saveexec_b32 s18, s26
	s_cbranch_execnz .LBB177_10
; %bb.6:                                ;   in Loop: Header=BB177_4 Depth=1
	s_wait_alu 0xfffe
	s_or_b32 exec_lo, exec_lo, s18
	s_and_saveexec_b32 s16, s27
	s_cbranch_execnz .LBB177_11
.LBB177_7:                              ;   in Loop: Header=BB177_4 Depth=1
	s_wait_alu 0xfffe
	s_or_b32 exec_lo, exec_lo, s16
	s_and_saveexec_b32 s16, s23
	s_cbranch_execnz .LBB177_12
.LBB177_8:                              ;   in Loop: Header=BB177_4 Depth=1
	s_wait_alu 0xfffe
	s_or_b32 exec_lo, exec_lo, s16
	s_delay_alu instid0(SALU_CYCLE_1)
	s_and_b32 vcc_lo, exec_lo, s24
	s_wait_alu 0xfffe
	s_cbranch_vccz .LBB177_13
.LBB177_9:                              ;   in Loop: Header=BB177_4 Depth=1
	s_and_b32 s16, s0, exec_lo
	s_cbranch_execz .LBB177_14
	s_branch .LBB177_15
.LBB177_10:                             ;   in Loop: Header=BB177_4 Depth=1
	s_add_nc_u64 s[16:17], s[8:9], s[16:17]
	global_load_b64 v[17:18], v1, s[16:17]
	s_wait_loadcnt 0x0
	v_add_co_u32 v17, vcc_lo, v17, s2
	s_wait_alu 0xfffd
	v_add_co_ci_u32_e64 v18, null, s3, v18, vcc_lo
	s_delay_alu instid0(VALU_DEP_2) | instskip(SKIP_1) | instid1(VALU_DEP_2)
	v_add_co_u32 v17, vcc_lo, v17, v2
	s_wait_alu 0xfffd
	v_add_co_ci_u32_e64 v18, null, v18, v3, vcc_lo
	s_delay_alu instid0(VALU_DEP_2) | instskip(SKIP_1) | instid1(VALU_DEP_2)
	v_add_co_u32 v17, vcc_lo, v17, v16
	s_wait_alu 0xfffd
	v_add_co_ci_u32_e64 v18, null, 0, v18, vcc_lo
	flat_load_b64 v[17:18], v[17:18]
	s_wait_loadcnt_dscnt 0x0
	ds_store_b64 v12, v[17:18]
	s_wait_alu 0xfffe
	s_or_b32 exec_lo, exec_lo, s18
	s_and_saveexec_b32 s16, s27
	s_cbranch_execz .LBB177_7
.LBB177_11:                             ;   in Loop: Header=BB177_4 Depth=1
	s_wait_loadcnt 0x1
	v_add_co_u32 v10, vcc_lo, v10, s4
	s_wait_alu 0xfffd
	v_add_co_ci_u32_e64 v11, null, s5, v11, vcc_lo
	s_delay_alu instid0(VALU_DEP_2) | instskip(SKIP_1) | instid1(VALU_DEP_2)
	v_add_co_u32 v10, vcc_lo, v10, s10
	s_wait_alu 0xfffd
	v_add_co_ci_u32_e64 v11, null, s11, v11, vcc_lo
	s_delay_alu instid0(VALU_DEP_2) | instskip(SKIP_1) | instid1(VALU_DEP_2)
	v_add_co_u32 v10, vcc_lo, v10, v4
	s_wait_alu 0xfffd
	v_add_co_ci_u32_e64 v11, null, v11, v5, vcc_lo
	s_delay_alu instid0(VALU_DEP_2) | instskip(SKIP_1) | instid1(VALU_DEP_2)
	v_add_co_u32 v10, vcc_lo, v10, v16
	s_wait_alu 0xfffd
	v_add_co_ci_u32_e64 v11, null, 0, v11, vcc_lo
	flat_load_b64 v[10:11], v[10:11]
	s_wait_loadcnt_dscnt 0x0
	ds_store_b64 v13, v[10:11]
	s_wait_alu 0xfffe
	s_or_b32 exec_lo, exec_lo, s16
	s_and_saveexec_b32 s16, s23
	s_cbranch_execz .LBB177_8
.LBB177_12:                             ;   in Loop: Header=BB177_4 Depth=1
	ds_store_b64 v12, v[0:1]
	s_wait_alu 0xfffe
	s_or_b32 exec_lo, exec_lo, s16
	s_delay_alu instid0(SALU_CYCLE_1)
	s_and_b32 vcc_lo, exec_lo, s24
	s_wait_alu 0xfffe
	s_cbranch_vccnz .LBB177_9
.LBB177_13:                             ;   in Loop: Header=BB177_4 Depth=1
	s_mov_b32 s16, 0
.LBB177_14:                             ;   in Loop: Header=BB177_4 Depth=1
	s_wait_alu 0xfffe
	s_and_not1_b32 s16, s16, exec_lo
	s_and_b32 s17, s1, exec_lo
	s_wait_alu 0xfffe
	s_or_b32 s16, s16, s17
.LBB177_15:                             ;   in Loop: Header=BB177_4 Depth=1
	s_wait_alu 0xfffe
	s_and_saveexec_b32 s17, s16
	s_cbranch_execz .LBB177_17
; %bb.16:                               ;   in Loop: Header=BB177_4 Depth=1
	s_wait_loadcnt 0x1
	v_dual_mov_b32 v10, v1 :: v_dual_mov_b32 v11, v1
	ds_store_b64 v12, v[10:11]
.LBB177_17:                             ;   in Loop: Header=BB177_4 Depth=1
	s_wait_alu 0xfffe
	s_or_b32 exec_lo, exec_lo, s17
	s_wait_loadcnt_dscnt 0x0
	s_barrier_signal -1
	s_barrier_wait -1
	global_inv scope:SCOPE_SE
	s_and_saveexec_b32 s16, s27
	s_cbranch_execz .LBB177_2
; %bb.18:                               ;   in Loop: Header=BB177_4 Depth=1
	ds_load_2addr_b64 v[17:20], v15 offset1:16
	ds_load_2addr_b64 v[21:24], v14 offset1:16
	ds_load_2addr_b64 v[25:28], v15 offset0:32 offset1:48
	ds_load_2addr_b64 v[29:32], v14 offset0:32 offset1:48
	;; [unrolled: 1-line block ×14, first 2 shown]
	v_add_co_u32 v8, vcc_lo, v8, s12
	s_wait_dscnt 0xe
	v_dual_mul_f32 v10, v17, v22 :: v_dual_mul_f32 v11, v19, v24
	s_wait_dscnt 0xc
	v_dual_mul_f32 v81, v25, v30 :: v_dual_mul_f32 v82, v27, v32
	;; [unrolled: 2-line block ×4, first 2 shown]
	s_wait_dscnt 0x6
	v_dual_mul_f32 v87, v49, v54 :: v_dual_fmac_f32 v10, v18, v21
	v_dual_mul_f32 v18, v18, v22 :: v_dual_fmac_f32 v11, v20, v23
	s_wait_dscnt 0x4
	v_dual_mul_f32 v22, v59, v64 :: v_dual_fmac_f32 v81, v26, v29
	s_delay_alu instid0(VALU_DEP_3) | instskip(NEXT) | instid1(VALU_DEP_3)
	v_add_f32_e32 v10, 0, v10
	v_fma_f32 v17, v17, v21, -v18
	v_dual_mul_f32 v20, v20, v24 :: v_dual_fmac_f32 v83, v34, v37
	v_fmac_f32_e32 v84, v36, v39
	s_delay_alu instid0(VALU_DEP_4)
	v_add_f32_e32 v10, v10, v11
	v_mul_f32_e32 v11, v26, v30
	v_add_f32_e32 v17, 0, v17
	v_fma_f32 v18, v19, v23, -v20
	v_fmac_f32_e32 v82, v28, v31
	v_mul_f32_e32 v19, v28, v32
	v_fma_f32 v11, v25, v29, -v11
	v_dual_fmac_f32 v85, v42, v45 :: v_dual_fmac_f32 v86, v44, v47
	v_dual_add_f32 v17, v17, v18 :: v_dual_add_f32 v10, v10, v81
	s_delay_alu instid0(VALU_DEP_4) | instskip(SKIP_1) | instid1(VALU_DEP_3)
	v_fma_f32 v19, v27, v31, -v19
	v_dual_mul_f32 v88, v51, v56 :: v_dual_mul_f32 v89, v57, v62
	v_dual_add_f32 v11, v17, v11 :: v_dual_add_f32 v10, v10, v82
	v_dual_mul_f32 v17, v36, v40 :: v_dual_mul_f32 v18, v34, v38
	s_delay_alu instid0(VALU_DEP_3) | instskip(NEXT) | instid1(VALU_DEP_3)
	v_dual_fmac_f32 v87, v50, v53 :: v_dual_fmac_f32 v88, v52, v55
	v_add_f32_e32 v11, v11, v19
	v_mul_f32_e32 v19, v42, v46
	s_delay_alu instid0(VALU_DEP_4) | instskip(SKIP_4) | instid1(VALU_DEP_3)
	v_fma_f32 v18, v33, v37, -v18
	v_add_f32_e32 v10, v10, v83
	v_fma_f32 v17, v35, v39, -v17
	s_wait_dscnt 0x2
	v_dual_fmac_f32 v89, v58, v61 :: v_dual_mul_f32 v20, v67, v72
	v_dual_add_f32 v11, v11, v18 :: v_dual_add_f32 v10, v10, v84
	v_mul_f32_e32 v18, v44, v48
	v_fma_f32 v19, v41, v45, -v19
	s_delay_alu instid0(VALU_DEP_3) | instskip(NEXT) | instid1(VALU_DEP_4)
	v_dual_fmac_f32 v22, v60, v63 :: v_dual_add_f32 v11, v11, v17
	v_add_f32_e32 v10, v10, v85
	v_mul_f32_e32 v17, v50, v54
	v_fma_f32 v18, v43, v47, -v18
	v_fmac_f32_e32 v20, v68, v71
	s_delay_alu instid0(VALU_DEP_4) | instskip(SKIP_2) | instid1(VALU_DEP_3)
	v_dual_add_f32 v11, v11, v19 :: v_dual_add_f32 v10, v10, v86
	v_mul_f32_e32 v19, v52, v56
	v_fma_f32 v17, v49, v53, -v17
	v_dual_add_f32 v11, v11, v18 :: v_dual_add_f32 v10, v10, v87
	s_delay_alu instid0(VALU_DEP_3) | instskip(NEXT) | instid1(VALU_DEP_2)
	v_fma_f32 v19, v51, v55, -v19
	v_dual_add_f32 v11, v11, v17 :: v_dual_add_f32 v10, v10, v88
	v_mul_f32_e32 v18, v58, v62
	v_mul_f32_e32 v17, v65, v70
	s_delay_alu instid0(VALU_DEP_3) | instskip(NEXT) | instid1(VALU_DEP_3)
	v_dual_add_f32 v11, v11, v19 :: v_dual_add_f32 v10, v10, v89
	v_fma_f32 v18, v57, v61, -v18
	v_mul_f32_e32 v19, v60, v64
	s_delay_alu instid0(VALU_DEP_4) | instskip(NEXT) | instid1(VALU_DEP_4)
	v_fmac_f32_e32 v17, v66, v69
	v_add_f32_e32 v10, v10, v22
	s_delay_alu instid0(VALU_DEP_4) | instskip(NEXT) | instid1(VALU_DEP_4)
	v_add_f32_e32 v11, v11, v18
	v_fma_f32 v18, v59, v63, -v19
	v_mul_f32_e32 v19, v66, v70
	s_wait_dscnt 0x0
	v_dual_add_f32 v10, v10, v17 :: v_dual_mul_f32 v17, v73, v78
	s_delay_alu instid0(VALU_DEP_1) | instskip(NEXT) | instid1(VALU_DEP_2)
	v_add_f32_e32 v10, v10, v20
	v_dual_mul_f32 v20, v75, v80 :: v_dual_fmac_f32 v17, v74, v77
	s_delay_alu instid0(VALU_DEP_1) | instskip(NEXT) | instid1(VALU_DEP_2)
	v_dual_fmac_f32 v20, v76, v79 :: v_dual_add_f32 v11, v11, v18
	v_add_f32_e32 v10, v10, v17
	v_fma_f32 v18, v65, v69, -v19
	s_delay_alu instid0(VALU_DEP_2) | instskip(SKIP_1) | instid1(VALU_DEP_3)
	v_add_f32_e32 v10, v10, v20
	v_mul_f32_e32 v19, v68, v72
	v_add_f32_e32 v11, v11, v18
	s_delay_alu instid0(VALU_DEP_2) | instskip(SKIP_1) | instid1(VALU_DEP_2)
	v_fma_f32 v18, v67, v71, -v19
	v_mul_f32_e32 v19, v74, v78
	v_add_f32_e32 v11, v11, v18
	s_delay_alu instid0(VALU_DEP_2) | instskip(NEXT) | instid1(VALU_DEP_1)
	v_fma_f32 v17, v73, v77, -v19
	v_dual_mul_f32 v18, v76, v80 :: v_dual_add_f32 v11, v11, v17
	s_delay_alu instid0(VALU_DEP_1) | instskip(SKIP_3) | instid1(VALU_DEP_3)
	v_fma_f32 v17, v75, v79, -v18
	s_wait_alu 0xfffd
	v_add_co_ci_u32_e64 v18, null, s13, v9, vcc_lo
	v_add_co_u32 v8, vcc_lo, v8, s10
	v_add_f32_e32 v11, v11, v17
	s_wait_alu 0xfffd
	s_delay_alu instid0(VALU_DEP_3)
	v_add_co_ci_u32_e64 v17, null, s11, v18, vcc_lo
	v_mul_f32_e32 v9, s28, v10
	v_mul_f32_e32 v10, s29, v10
	v_add_co_u32 v18, vcc_lo, v8, v6
	s_wait_alu 0xfffd
	v_add_co_ci_u32_e64 v17, null, v17, v7, vcc_lo
	s_delay_alu instid0(VALU_DEP_3) | instskip(NEXT) | instid1(VALU_DEP_3)
	v_fma_f32 v8, s28, v11, -v10
	v_add_co_u32 v10, vcc_lo, v18, v16
	v_fmac_f32_e32 v9, s29, v11
	s_wait_alu 0xfffd
	v_add_co_ci_u32_e64 v11, null, 0, v17, vcc_lo
	flat_store_b64 v[10:11], v[8:9]
	s_branch .LBB177_2
.LBB177_19:
	s_endpgm
	.section	.rodata,"a",@progbits
	.p2align	6, 0x0
	.amdhsa_kernel _ZL23rocblas_trmm_rTx_kernelILi16ELb0E19rocblas_complex_numIfES1_KPKS1_KPS1_Ev13rocblas_fill_17rocblas_diagonal_iiT2_lPT3_llSB_llPT4_lli
		.amdhsa_group_segment_fixed_size 4096
		.amdhsa_private_segment_fixed_size 0
		.amdhsa_kernarg_size 108
		.amdhsa_user_sgpr_count 2
		.amdhsa_user_sgpr_dispatch_ptr 0
		.amdhsa_user_sgpr_queue_ptr 0
		.amdhsa_user_sgpr_kernarg_segment_ptr 1
		.amdhsa_user_sgpr_dispatch_id 0
		.amdhsa_user_sgpr_private_segment_size 0
		.amdhsa_wavefront_size32 1
		.amdhsa_uses_dynamic_stack 0
		.amdhsa_enable_private_segment 0
		.amdhsa_system_sgpr_workgroup_id_x 1
		.amdhsa_system_sgpr_workgroup_id_y 0
		.amdhsa_system_sgpr_workgroup_id_z 1
		.amdhsa_system_sgpr_workgroup_info 0
		.amdhsa_system_vgpr_workitem_id 1
		.amdhsa_next_free_vgpr 90
		.amdhsa_next_free_sgpr 36
		.amdhsa_reserve_vcc 1
		.amdhsa_float_round_mode_32 0
		.amdhsa_float_round_mode_16_64 0
		.amdhsa_float_denorm_mode_32 3
		.amdhsa_float_denorm_mode_16_64 3
		.amdhsa_fp16_overflow 0
		.amdhsa_workgroup_processor_mode 1
		.amdhsa_memory_ordered 1
		.amdhsa_forward_progress 1
		.amdhsa_inst_pref_size 15
		.amdhsa_round_robin_scheduling 0
		.amdhsa_exception_fp_ieee_invalid_op 0
		.amdhsa_exception_fp_denorm_src 0
		.amdhsa_exception_fp_ieee_div_zero 0
		.amdhsa_exception_fp_ieee_overflow 0
		.amdhsa_exception_fp_ieee_underflow 0
		.amdhsa_exception_fp_ieee_inexact 0
		.amdhsa_exception_int_div_zero 0
	.end_amdhsa_kernel
	.section	.text._ZL23rocblas_trmm_rTx_kernelILi16ELb0E19rocblas_complex_numIfES1_KPKS1_KPS1_Ev13rocblas_fill_17rocblas_diagonal_iiT2_lPT3_llSB_llPT4_lli,"axG",@progbits,_ZL23rocblas_trmm_rTx_kernelILi16ELb0E19rocblas_complex_numIfES1_KPKS1_KPS1_Ev13rocblas_fill_17rocblas_diagonal_iiT2_lPT3_llSB_llPT4_lli,comdat
.Lfunc_end177:
	.size	_ZL23rocblas_trmm_rTx_kernelILi16ELb0E19rocblas_complex_numIfES1_KPKS1_KPS1_Ev13rocblas_fill_17rocblas_diagonal_iiT2_lPT3_llSB_llPT4_lli, .Lfunc_end177-_ZL23rocblas_trmm_rTx_kernelILi16ELb0E19rocblas_complex_numIfES1_KPKS1_KPS1_Ev13rocblas_fill_17rocblas_diagonal_iiT2_lPT3_llSB_llPT4_lli
                                        ; -- End function
	.set _ZL23rocblas_trmm_rTx_kernelILi16ELb0E19rocblas_complex_numIfES1_KPKS1_KPS1_Ev13rocblas_fill_17rocblas_diagonal_iiT2_lPT3_llSB_llPT4_lli.num_vgpr, 90
	.set _ZL23rocblas_trmm_rTx_kernelILi16ELb0E19rocblas_complex_numIfES1_KPKS1_KPS1_Ev13rocblas_fill_17rocblas_diagonal_iiT2_lPT3_llSB_llPT4_lli.num_agpr, 0
	.set _ZL23rocblas_trmm_rTx_kernelILi16ELb0E19rocblas_complex_numIfES1_KPKS1_KPS1_Ev13rocblas_fill_17rocblas_diagonal_iiT2_lPT3_llSB_llPT4_lli.numbered_sgpr, 36
	.set _ZL23rocblas_trmm_rTx_kernelILi16ELb0E19rocblas_complex_numIfES1_KPKS1_KPS1_Ev13rocblas_fill_17rocblas_diagonal_iiT2_lPT3_llSB_llPT4_lli.num_named_barrier, 0
	.set _ZL23rocblas_trmm_rTx_kernelILi16ELb0E19rocblas_complex_numIfES1_KPKS1_KPS1_Ev13rocblas_fill_17rocblas_diagonal_iiT2_lPT3_llSB_llPT4_lli.private_seg_size, 0
	.set _ZL23rocblas_trmm_rTx_kernelILi16ELb0E19rocblas_complex_numIfES1_KPKS1_KPS1_Ev13rocblas_fill_17rocblas_diagonal_iiT2_lPT3_llSB_llPT4_lli.uses_vcc, 1
	.set _ZL23rocblas_trmm_rTx_kernelILi16ELb0E19rocblas_complex_numIfES1_KPKS1_KPS1_Ev13rocblas_fill_17rocblas_diagonal_iiT2_lPT3_llSB_llPT4_lli.uses_flat_scratch, 0
	.set _ZL23rocblas_trmm_rTx_kernelILi16ELb0E19rocblas_complex_numIfES1_KPKS1_KPS1_Ev13rocblas_fill_17rocblas_diagonal_iiT2_lPT3_llSB_llPT4_lli.has_dyn_sized_stack, 0
	.set _ZL23rocblas_trmm_rTx_kernelILi16ELb0E19rocblas_complex_numIfES1_KPKS1_KPS1_Ev13rocblas_fill_17rocblas_diagonal_iiT2_lPT3_llSB_llPT4_lli.has_recursion, 0
	.set _ZL23rocblas_trmm_rTx_kernelILi16ELb0E19rocblas_complex_numIfES1_KPKS1_KPS1_Ev13rocblas_fill_17rocblas_diagonal_iiT2_lPT3_llSB_llPT4_lli.has_indirect_call, 0
	.section	.AMDGPU.csdata,"",@progbits
; Kernel info:
; codeLenInByte = 1800
; TotalNumSgprs: 38
; NumVgprs: 90
; ScratchSize: 0
; MemoryBound: 0
; FloatMode: 240
; IeeeMode: 1
; LDSByteSize: 4096 bytes/workgroup (compile time only)
; SGPRBlocks: 0
; VGPRBlocks: 11
; NumSGPRsForWavesPerEU: 38
; NumVGPRsForWavesPerEU: 90
; Occupancy: 16
; WaveLimiterHint : 1
; COMPUTE_PGM_RSRC2:SCRATCH_EN: 0
; COMPUTE_PGM_RSRC2:USER_SGPR: 2
; COMPUTE_PGM_RSRC2:TRAP_HANDLER: 0
; COMPUTE_PGM_RSRC2:TGID_X_EN: 1
; COMPUTE_PGM_RSRC2:TGID_Y_EN: 0
; COMPUTE_PGM_RSRC2:TGID_Z_EN: 1
; COMPUTE_PGM_RSRC2:TIDIG_COMP_CNT: 1
	.section	.text._ZL23rocblas_trmm_rTx_kernelILi16ELb1E19rocblas_complex_numIfEPKS1_KS3_KPS1_Ev13rocblas_fill_17rocblas_diagonal_iiT2_lPT3_llSB_llPT4_lli,"axG",@progbits,_ZL23rocblas_trmm_rTx_kernelILi16ELb1E19rocblas_complex_numIfEPKS1_KS3_KPS1_Ev13rocblas_fill_17rocblas_diagonal_iiT2_lPT3_llSB_llPT4_lli,comdat
	.globl	_ZL23rocblas_trmm_rTx_kernelILi16ELb1E19rocblas_complex_numIfEPKS1_KS3_KPS1_Ev13rocblas_fill_17rocblas_diagonal_iiT2_lPT3_llSB_llPT4_lli ; -- Begin function _ZL23rocblas_trmm_rTx_kernelILi16ELb1E19rocblas_complex_numIfEPKS1_KS3_KPS1_Ev13rocblas_fill_17rocblas_diagonal_iiT2_lPT3_llSB_llPT4_lli
	.p2align	8
	.type	_ZL23rocblas_trmm_rTx_kernelILi16ELb1E19rocblas_complex_numIfEPKS1_KS3_KPS1_Ev13rocblas_fill_17rocblas_diagonal_iiT2_lPT3_llSB_llPT4_lli,@function
_ZL23rocblas_trmm_rTx_kernelILi16ELb1E19rocblas_complex_numIfEPKS1_KS3_KPS1_Ev13rocblas_fill_17rocblas_diagonal_iiT2_lPT3_llSB_llPT4_lli: ; @_ZL23rocblas_trmm_rTx_kernelILi16ELb1E19rocblas_complex_numIfEPKS1_KS3_KPS1_Ev13rocblas_fill_17rocblas_diagonal_iiT2_lPT3_llSB_llPT4_lli
; %bb.0:
	s_load_b32 s30, s[0:1], 0x68
	s_lshr_b32 s28, ttmp7, 16
	s_wait_kmcnt 0x0
	s_cmp_ge_u32 s28, s30
	s_cbranch_scc1 .LBB178_19
; %bb.1:
	s_clause 0x3
	s_load_b128 s[24:27], s[0:1], 0x0
	s_load_b512 s[4:19], s[0:1], 0x10
	s_load_b128 s[20:23], s[0:1], 0x50
	s_load_b64 s[2:3], s[0:1], 0x60
	v_bfe_u32 v11, v0, 10, 10
	v_dual_mov_b32 v1, 0 :: v_dual_and_b32 v12, 0x3ff, v0
	s_mov_b32 s29, 0
	s_delay_alu instid0(VALU_DEP_2) | instskip(NEXT) | instid1(VALU_DEP_2)
	v_lshlrev_b32_e32 v17, 3, v11
	v_cmp_eq_u32_e32 vcc_lo, v11, v12
	v_lshl_add_u32 v16, v12, 3, 0x800
	v_lshlrev_b32_e32 v18, 3, v12
	s_wait_kmcnt 0x0
	s_add_co_i32 s1, s26, -1
	v_mad_co_u64_u32 v[4:5], null, s16, v11, 0
	v_lshlrev_b32_e32 v0, 4, v11
	v_mad_co_u64_u32 v[2:3], null, s10, v11, 0
	v_mad_co_u64_u32 v[6:7], null, s22, v11, 0
	s_delay_alu instid0(VALU_DEP_3)
	v_add_lshl_u32 v14, v0, v12, 3
	s_ashr_i32 s10, s1, 31
	v_cmp_gt_i32_e64 s0, s27, v11
	s_wait_alu 0xfffe
	s_lshr_b32 s10, s10, 28
	v_dual_mov_b32 v0, v3 :: v_dual_add_nc_u32 v15, 0x800, v14
	v_mov_b32_e32 v3, v5
	s_wait_alu 0xfffe
	s_add_co_i32 s10, s1, s10
	v_mov_b32_e32 v5, v7
	s_wait_alu 0xfffe
	s_ashr_i32 s16, s10, 4
	s_and_b32 s10, s10, -16
	v_mad_co_u64_u32 v[7:8], null, s11, v11, v[0:1]
	v_cmp_gt_i32_e64 s1, s27, v12
	s_wait_alu 0xfffe
	s_sub_co_i32 s10, s26, s10
	v_mad_co_u64_u32 v[8:9], null, s17, v11, v[3:4]
	s_cmp_ge_i32 ttmp9, s16
	v_mad_co_u64_u32 v[9:10], null, s23, v11, v[5:6]
	s_wait_alu 0xfffe
	s_cselect_b32 s10, s10, 16
	s_and_b32 s22, s0, s1
	s_wait_alu 0xfffe
	v_cmp_gt_i32_e64 s1, s10, v12
	s_lshl_b32 s16, ttmp9, 4
	v_dual_mov_b32 v3, v7 :: v_dual_mov_b32 v0, 1.0
	v_mov_b32_e32 v5, v8
	v_mov_b32_e32 v7, v9
	s_wait_alu 0xfffe
	s_ashr_i32 s17, s16, 31
	s_and_b32 s26, s0, s1
	s_cmp_eq_u32 s25, 0x84
	v_lshlrev_b64_e32 v[2:3], 3, v[2:3]
	s_cselect_b32 s0, -1, 0
	v_lshlrev_b64_e32 v[4:5], 3, v[4:5]
	v_lshlrev_b64_e32 v[6:7], 3, v[6:7]
	s_and_b32 s23, vcc_lo, s0
	v_cmp_lt_u32_e64 s0, v12, v11
	v_cmp_gt_u32_e64 s1, v12, v11
	s_cmp_lg_u32 s24, 0x79
	s_cselect_b32 s24, -1, 0
	s_lshl_b64 s[10:11], s[12:13], 3
	s_lshl_b64 s[12:13], s[18:19], 3
	s_wait_alu 0xfffe
	s_lshl_b64 s[16:17], s[16:17], 3
	s_lshl_b64 s[18:19], s[2:3], 3
	s_branch .LBB178_4
.LBB178_2:                              ;   in Loop: Header=BB178_4 Depth=1
	s_or_b32 exec_lo, exec_lo, s2
.LBB178_3:                              ;   in Loop: Header=BB178_4 Depth=1
	s_add_co_i32 s28, s28, 0x10000
	s_delay_alu instid0(SALU_CYCLE_1)
	s_cmp_lt_u32 s28, s30
	s_cbranch_scc0 .LBB178_19
.LBB178_4:                              ; =>This Inner Loop Header: Depth=1
	s_mul_u64 s[2:3], s[6:7], s[28:29]
	s_delay_alu instid0(SALU_CYCLE_1) | instskip(NEXT) | instid1(SALU_CYCLE_1)
	s_lshl_b64 s[2:3], s[2:3], 3
	s_add_nc_u64 s[2:3], s[4:5], s[2:3]
	global_load_b64 v[8:9], v1, s[2:3]
	s_wait_loadcnt 0x0
	v_cmp_neq_f32_e32 vcc_lo, 0, v8
	v_cmp_neq_f32_e64 s2, 0, v9
	s_or_b32 s2, vcc_lo, s2
	s_delay_alu instid0(SALU_CYCLE_1)
	s_and_not1_b32 vcc_lo, exec_lo, s2
	s_wait_alu 0xfffe
	s_cbranch_vccnz .LBB178_3
; %bb.5:                                ;   in Loop: Header=BB178_4 Depth=1
	s_lshl_b64 s[2:3], s[28:29], 3
	s_delay_alu instid0(SALU_CYCLE_1)
	s_add_nc_u64 s[34:35], s[14:15], s[2:3]
	s_add_nc_u64 s[36:37], s[20:21], s[2:3]
	s_clause 0x1
	global_load_b64 v[12:13], v1, s[34:35]
	global_load_b64 v[10:11], v1, s[36:37]
	s_mov_b32 s34, s29
	s_mov_b32 s35, s29
	s_wait_alu 0xfffe
	v_dual_mov_b32 v19, s34 :: v_dual_mov_b32 v20, s35
	ds_store_b64 v14, v[19:20]
	ds_store_b64 v15, v[19:20]
	s_and_saveexec_b32 s25, s22
	s_cbranch_execnz .LBB178_10
; %bb.6:                                ;   in Loop: Header=BB178_4 Depth=1
	s_or_b32 exec_lo, exec_lo, s25
	s_and_saveexec_b32 s2, s26
	s_cbranch_execnz .LBB178_11
.LBB178_7:                              ;   in Loop: Header=BB178_4 Depth=1
	s_or_b32 exec_lo, exec_lo, s2
	s_and_saveexec_b32 s2, s23
	s_cbranch_execnz .LBB178_12
.LBB178_8:                              ;   in Loop: Header=BB178_4 Depth=1
	s_or_b32 exec_lo, exec_lo, s2
	s_delay_alu instid0(SALU_CYCLE_1)
	s_and_b32 vcc_lo, exec_lo, s24
	s_wait_alu 0xfffe
	s_cbranch_vccz .LBB178_13
.LBB178_9:                              ;   in Loop: Header=BB178_4 Depth=1
	s_and_b32 s2, s0, exec_lo
	s_cbranch_execz .LBB178_14
	s_branch .LBB178_15
.LBB178_10:                             ;   in Loop: Header=BB178_4 Depth=1
	s_add_nc_u64 s[2:3], s[8:9], s[2:3]
	global_load_b64 v[19:20], v1, s[2:3]
	s_wait_loadcnt 0x0
	v_add_co_u32 v19, vcc_lo, v19, s10
	s_wait_alu 0xfffd
	v_add_co_ci_u32_e64 v20, null, s11, v20, vcc_lo
	s_delay_alu instid0(VALU_DEP_2) | instskip(SKIP_1) | instid1(VALU_DEP_2)
	v_add_co_u32 v19, vcc_lo, v19, v2
	s_wait_alu 0xfffd
	v_add_co_ci_u32_e64 v20, null, v20, v3, vcc_lo
	s_delay_alu instid0(VALU_DEP_2) | instskip(SKIP_1) | instid1(VALU_DEP_2)
	v_add_co_u32 v19, vcc_lo, v19, v18
	s_wait_alu 0xfffd
	v_add_co_ci_u32_e64 v20, null, 0, v20, vcc_lo
	flat_load_b64 v[19:20], v[19:20]
	s_wait_loadcnt_dscnt 0x0
	v_xor_b32_e32 v20, 0x80000000, v20
	ds_store_b64 v14, v[19:20]
	s_or_b32 exec_lo, exec_lo, s25
	s_and_saveexec_b32 s2, s26
	s_cbranch_execz .LBB178_7
.LBB178_11:                             ;   in Loop: Header=BB178_4 Depth=1
	s_wait_loadcnt 0x1
	v_add_co_u32 v12, vcc_lo, v12, s12
	s_wait_alu 0xfffd
	v_add_co_ci_u32_e64 v13, null, s13, v13, vcc_lo
	s_wait_alu 0xfffe
	s_delay_alu instid0(VALU_DEP_2) | instskip(SKIP_1) | instid1(VALU_DEP_2)
	v_add_co_u32 v12, vcc_lo, v12, s16
	s_wait_alu 0xfffd
	v_add_co_ci_u32_e64 v13, null, s17, v13, vcc_lo
	s_delay_alu instid0(VALU_DEP_2) | instskip(SKIP_1) | instid1(VALU_DEP_2)
	v_add_co_u32 v12, vcc_lo, v12, v4
	s_wait_alu 0xfffd
	v_add_co_ci_u32_e64 v13, null, v13, v5, vcc_lo
	;; [unrolled: 4-line block ×3, first 2 shown]
	flat_load_b64 v[12:13], v[12:13]
	s_wait_loadcnt_dscnt 0x0
	ds_store_b64 v15, v[12:13]
	s_or_b32 exec_lo, exec_lo, s2
	s_and_saveexec_b32 s2, s23
	s_cbranch_execz .LBB178_8
.LBB178_12:                             ;   in Loop: Header=BB178_4 Depth=1
	ds_store_b64 v14, v[0:1]
	s_or_b32 exec_lo, exec_lo, s2
	s_delay_alu instid0(SALU_CYCLE_1)
	s_and_b32 vcc_lo, exec_lo, s24
	s_wait_alu 0xfffe
	s_cbranch_vccnz .LBB178_9
.LBB178_13:                             ;   in Loop: Header=BB178_4 Depth=1
	s_mov_b32 s2, 0
.LBB178_14:                             ;   in Loop: Header=BB178_4 Depth=1
	s_delay_alu instid0(SALU_CYCLE_1) | instskip(SKIP_1) | instid1(SALU_CYCLE_1)
	s_and_not1_b32 s2, s2, exec_lo
	s_and_b32 s3, s1, exec_lo
	s_or_b32 s2, s2, s3
.LBB178_15:                             ;   in Loop: Header=BB178_4 Depth=1
	s_delay_alu instid0(SALU_CYCLE_1)
	s_and_saveexec_b32 s3, s2
	s_cbranch_execz .LBB178_17
; %bb.16:                               ;   in Loop: Header=BB178_4 Depth=1
	s_wait_loadcnt 0x1
	v_dual_mov_b32 v12, v1 :: v_dual_mov_b32 v13, v1
	ds_store_b64 v14, v[12:13]
.LBB178_17:                             ;   in Loop: Header=BB178_4 Depth=1
	s_or_b32 exec_lo, exec_lo, s3
	s_wait_loadcnt_dscnt 0x0
	s_barrier_signal -1
	s_barrier_wait -1
	global_inv scope:SCOPE_SE
	s_and_saveexec_b32 s2, s26
	s_cbranch_execz .LBB178_2
; %bb.18:                               ;   in Loop: Header=BB178_4 Depth=1
	ds_load_2addr_b64 v[19:22], v17 offset1:16
	ds_load_2addr_b64 v[23:26], v16 offset1:16
	ds_load_2addr_b64 v[27:30], v17 offset0:32 offset1:48
	ds_load_2addr_b64 v[31:34], v16 offset0:32 offset1:48
	ds_load_2addr_b64 v[35:38], v17 offset0:64 offset1:80
	ds_load_2addr_b64 v[39:42], v16 offset0:64 offset1:80
	ds_load_2addr_b64 v[43:46], v17 offset0:96 offset1:112
	ds_load_2addr_b64 v[47:50], v16 offset0:96 offset1:112
	ds_load_2addr_b64 v[51:54], v17 offset0:128 offset1:144
	ds_load_2addr_b64 v[55:58], v16 offset0:128 offset1:144
	ds_load_2addr_b64 v[59:62], v17 offset0:160 offset1:176
	ds_load_2addr_b64 v[63:66], v16 offset0:160 offset1:176
	ds_load_2addr_b64 v[67:70], v17 offset0:192 offset1:208
	ds_load_2addr_b64 v[71:74], v16 offset0:192 offset1:208
	ds_load_2addr_b64 v[75:78], v17 offset0:224 offset1:240
	ds_load_2addr_b64 v[79:82], v16 offset0:224 offset1:240
	s_wait_dscnt 0xe
	v_dual_mul_f32 v12, v19, v24 :: v_dual_mul_f32 v13, v21, v26
	s_wait_dscnt 0xc
	v_dual_mul_f32 v83, v27, v32 :: v_dual_mul_f32 v84, v29, v34
	;; [unrolled: 2-line block ×4, first 2 shown]
	s_wait_dscnt 0x6
	v_dual_mul_f32 v89, v51, v56 :: v_dual_fmac_f32 v12, v20, v23
	v_dual_mul_f32 v20, v20, v24 :: v_dual_fmac_f32 v13, v22, v25
	s_wait_dscnt 0x4
	v_dual_mul_f32 v24, v61, v66 :: v_dual_fmac_f32 v83, v28, v31
	s_delay_alu instid0(VALU_DEP_3) | instskip(NEXT) | instid1(VALU_DEP_3)
	v_add_f32_e32 v12, 0, v12
	v_fma_f32 v19, v19, v23, -v20
	v_dual_mul_f32 v22, v22, v26 :: v_dual_fmac_f32 v85, v36, v39
	v_fmac_f32_e32 v86, v38, v41
	s_delay_alu instid0(VALU_DEP_4)
	v_add_f32_e32 v12, v12, v13
	v_mul_f32_e32 v13, v28, v32
	v_add_f32_e32 v19, 0, v19
	v_fma_f32 v20, v21, v25, -v22
	v_fmac_f32_e32 v84, v30, v33
	v_mul_f32_e32 v21, v30, v34
	v_fma_f32 v13, v27, v31, -v13
	v_dual_fmac_f32 v87, v44, v47 :: v_dual_fmac_f32 v88, v46, v49
	v_dual_add_f32 v19, v19, v20 :: v_dual_add_f32 v12, v12, v83
	s_delay_alu instid0(VALU_DEP_4) | instskip(SKIP_1) | instid1(VALU_DEP_3)
	v_fma_f32 v21, v29, v33, -v21
	v_dual_mul_f32 v90, v53, v58 :: v_dual_mul_f32 v91, v59, v64
	v_dual_add_f32 v13, v19, v13 :: v_dual_add_f32 v12, v12, v84
	v_dual_mul_f32 v19, v38, v42 :: v_dual_mul_f32 v20, v36, v40
	s_delay_alu instid0(VALU_DEP_3) | instskip(NEXT) | instid1(VALU_DEP_3)
	v_dual_fmac_f32 v89, v52, v55 :: v_dual_fmac_f32 v90, v54, v57
	v_add_f32_e32 v13, v13, v21
	v_mul_f32_e32 v21, v44, v48
	s_delay_alu instid0(VALU_DEP_4) | instskip(SKIP_4) | instid1(VALU_DEP_3)
	v_fma_f32 v20, v35, v39, -v20
	v_add_f32_e32 v12, v12, v85
	v_fma_f32 v19, v37, v41, -v19
	s_wait_dscnt 0x2
	v_dual_fmac_f32 v91, v60, v63 :: v_dual_mul_f32 v22, v69, v74
	v_dual_add_f32 v13, v13, v20 :: v_dual_add_f32 v12, v12, v86
	v_mul_f32_e32 v20, v46, v50
	v_fma_f32 v21, v43, v47, -v21
	s_delay_alu instid0(VALU_DEP_3) | instskip(NEXT) | instid1(VALU_DEP_4)
	v_dual_fmac_f32 v24, v62, v65 :: v_dual_add_f32 v13, v13, v19
	v_add_f32_e32 v12, v12, v87
	v_mul_f32_e32 v19, v52, v56
	v_fma_f32 v20, v45, v49, -v20
	v_fmac_f32_e32 v22, v70, v73
	s_delay_alu instid0(VALU_DEP_4) | instskip(SKIP_2) | instid1(VALU_DEP_3)
	v_dual_add_f32 v13, v13, v21 :: v_dual_add_f32 v12, v12, v88
	v_mul_f32_e32 v21, v54, v58
	v_fma_f32 v19, v51, v55, -v19
	v_dual_add_f32 v13, v13, v20 :: v_dual_add_f32 v12, v12, v89
	s_delay_alu instid0(VALU_DEP_3) | instskip(NEXT) | instid1(VALU_DEP_2)
	v_fma_f32 v21, v53, v57, -v21
	v_dual_add_f32 v13, v13, v19 :: v_dual_add_f32 v12, v12, v90
	v_mul_f32_e32 v20, v60, v64
	v_mul_f32_e32 v19, v67, v72
	s_delay_alu instid0(VALU_DEP_3) | instskip(NEXT) | instid1(VALU_DEP_3)
	v_dual_add_f32 v13, v13, v21 :: v_dual_add_f32 v12, v12, v91
	v_fma_f32 v20, v59, v63, -v20
	v_mul_f32_e32 v21, v62, v66
	s_delay_alu instid0(VALU_DEP_4) | instskip(NEXT) | instid1(VALU_DEP_4)
	v_fmac_f32_e32 v19, v68, v71
	v_add_f32_e32 v12, v12, v24
	s_delay_alu instid0(VALU_DEP_4) | instskip(NEXT) | instid1(VALU_DEP_4)
	v_add_f32_e32 v13, v13, v20
	v_fma_f32 v20, v61, v65, -v21
	v_mul_f32_e32 v21, v68, v72
	s_wait_dscnt 0x0
	v_dual_add_f32 v12, v12, v19 :: v_dual_mul_f32 v19, v75, v80
	s_delay_alu instid0(VALU_DEP_1) | instskip(NEXT) | instid1(VALU_DEP_2)
	v_add_f32_e32 v12, v12, v22
	v_dual_mul_f32 v22, v77, v82 :: v_dual_fmac_f32 v19, v76, v79
	s_delay_alu instid0(VALU_DEP_1) | instskip(NEXT) | instid1(VALU_DEP_2)
	v_dual_fmac_f32 v22, v78, v81 :: v_dual_add_f32 v13, v13, v20
	v_add_f32_e32 v12, v12, v19
	v_fma_f32 v20, v67, v71, -v21
	s_delay_alu instid0(VALU_DEP_2) | instskip(SKIP_1) | instid1(VALU_DEP_3)
	v_add_f32_e32 v12, v12, v22
	v_mul_f32_e32 v21, v70, v74
	v_add_f32_e32 v13, v13, v20
	s_delay_alu instid0(VALU_DEP_2) | instskip(SKIP_1) | instid1(VALU_DEP_2)
	v_fma_f32 v20, v69, v73, -v21
	v_mul_f32_e32 v21, v76, v80
	v_add_f32_e32 v13, v13, v20
	s_delay_alu instid0(VALU_DEP_2) | instskip(NEXT) | instid1(VALU_DEP_1)
	v_fma_f32 v19, v75, v79, -v21
	v_dual_mul_f32 v20, v78, v82 :: v_dual_add_f32 v13, v13, v19
	s_delay_alu instid0(VALU_DEP_1) | instskip(SKIP_3) | instid1(VALU_DEP_3)
	v_fma_f32 v19, v77, v81, -v20
	v_add_co_u32 v20, vcc_lo, v10, s18
	s_wait_alu 0xfffd
	v_add_co_ci_u32_e64 v11, null, s19, v11, vcc_lo
	v_dual_add_f32 v13, v13, v19 :: v_dual_mul_f32 v10, v8, v12
	s_wait_alu 0xfffe
	v_add_co_u32 v19, vcc_lo, v20, s16
	s_wait_alu 0xfffd
	v_add_co_ci_u32_e64 v11, null, s17, v11, vcc_lo
	v_fmac_f32_e32 v10, v9, v13
	v_mul_f32_e32 v9, v9, v12
	v_add_co_u32 v12, vcc_lo, v19, v6
	s_wait_alu 0xfffd
	v_add_co_ci_u32_e64 v19, null, v11, v7, vcc_lo
	s_delay_alu instid0(VALU_DEP_3) | instskip(NEXT) | instid1(VALU_DEP_3)
	v_fma_f32 v9, v8, v13, -v9
	v_add_co_u32 v11, vcc_lo, v12, v18
	s_wait_alu 0xfffd
	s_delay_alu instid0(VALU_DEP_3)
	v_add_co_ci_u32_e64 v12, null, 0, v19, vcc_lo
	flat_store_b64 v[11:12], v[9:10]
	s_branch .LBB178_2
.LBB178_19:
	s_endpgm
	.section	.rodata,"a",@progbits
	.p2align	6, 0x0
	.amdhsa_kernel _ZL23rocblas_trmm_rTx_kernelILi16ELb1E19rocblas_complex_numIfEPKS1_KS3_KPS1_Ev13rocblas_fill_17rocblas_diagonal_iiT2_lPT3_llSB_llPT4_lli
		.amdhsa_group_segment_fixed_size 4096
		.amdhsa_private_segment_fixed_size 0
		.amdhsa_kernarg_size 108
		.amdhsa_user_sgpr_count 2
		.amdhsa_user_sgpr_dispatch_ptr 0
		.amdhsa_user_sgpr_queue_ptr 0
		.amdhsa_user_sgpr_kernarg_segment_ptr 1
		.amdhsa_user_sgpr_dispatch_id 0
		.amdhsa_user_sgpr_private_segment_size 0
		.amdhsa_wavefront_size32 1
		.amdhsa_uses_dynamic_stack 0
		.amdhsa_enable_private_segment 0
		.amdhsa_system_sgpr_workgroup_id_x 1
		.amdhsa_system_sgpr_workgroup_id_y 0
		.amdhsa_system_sgpr_workgroup_id_z 1
		.amdhsa_system_sgpr_workgroup_info 0
		.amdhsa_system_vgpr_workitem_id 1
		.amdhsa_next_free_vgpr 92
		.amdhsa_next_free_sgpr 38
		.amdhsa_reserve_vcc 1
		.amdhsa_float_round_mode_32 0
		.amdhsa_float_round_mode_16_64 0
		.amdhsa_float_denorm_mode_32 3
		.amdhsa_float_denorm_mode_16_64 3
		.amdhsa_fp16_overflow 0
		.amdhsa_workgroup_processor_mode 1
		.amdhsa_memory_ordered 1
		.amdhsa_forward_progress 1
		.amdhsa_inst_pref_size 15
		.amdhsa_round_robin_scheduling 0
		.amdhsa_exception_fp_ieee_invalid_op 0
		.amdhsa_exception_fp_denorm_src 0
		.amdhsa_exception_fp_ieee_div_zero 0
		.amdhsa_exception_fp_ieee_overflow 0
		.amdhsa_exception_fp_ieee_underflow 0
		.amdhsa_exception_fp_ieee_inexact 0
		.amdhsa_exception_int_div_zero 0
	.end_amdhsa_kernel
	.section	.text._ZL23rocblas_trmm_rTx_kernelILi16ELb1E19rocblas_complex_numIfEPKS1_KS3_KPS1_Ev13rocblas_fill_17rocblas_diagonal_iiT2_lPT3_llSB_llPT4_lli,"axG",@progbits,_ZL23rocblas_trmm_rTx_kernelILi16ELb1E19rocblas_complex_numIfEPKS1_KS3_KPS1_Ev13rocblas_fill_17rocblas_diagonal_iiT2_lPT3_llSB_llPT4_lli,comdat
.Lfunc_end178:
	.size	_ZL23rocblas_trmm_rTx_kernelILi16ELb1E19rocblas_complex_numIfEPKS1_KS3_KPS1_Ev13rocblas_fill_17rocblas_diagonal_iiT2_lPT3_llSB_llPT4_lli, .Lfunc_end178-_ZL23rocblas_trmm_rTx_kernelILi16ELb1E19rocblas_complex_numIfEPKS1_KS3_KPS1_Ev13rocblas_fill_17rocblas_diagonal_iiT2_lPT3_llSB_llPT4_lli
                                        ; -- End function
	.set _ZL23rocblas_trmm_rTx_kernelILi16ELb1E19rocblas_complex_numIfEPKS1_KS3_KPS1_Ev13rocblas_fill_17rocblas_diagonal_iiT2_lPT3_llSB_llPT4_lli.num_vgpr, 92
	.set _ZL23rocblas_trmm_rTx_kernelILi16ELb1E19rocblas_complex_numIfEPKS1_KS3_KPS1_Ev13rocblas_fill_17rocblas_diagonal_iiT2_lPT3_llSB_llPT4_lli.num_agpr, 0
	.set _ZL23rocblas_trmm_rTx_kernelILi16ELb1E19rocblas_complex_numIfEPKS1_KS3_KPS1_Ev13rocblas_fill_17rocblas_diagonal_iiT2_lPT3_llSB_llPT4_lli.numbered_sgpr, 38
	.set _ZL23rocblas_trmm_rTx_kernelILi16ELb1E19rocblas_complex_numIfEPKS1_KS3_KPS1_Ev13rocblas_fill_17rocblas_diagonal_iiT2_lPT3_llSB_llPT4_lli.num_named_barrier, 0
	.set _ZL23rocblas_trmm_rTx_kernelILi16ELb1E19rocblas_complex_numIfEPKS1_KS3_KPS1_Ev13rocblas_fill_17rocblas_diagonal_iiT2_lPT3_llSB_llPT4_lli.private_seg_size, 0
	.set _ZL23rocblas_trmm_rTx_kernelILi16ELb1E19rocblas_complex_numIfEPKS1_KS3_KPS1_Ev13rocblas_fill_17rocblas_diagonal_iiT2_lPT3_llSB_llPT4_lli.uses_vcc, 1
	.set _ZL23rocblas_trmm_rTx_kernelILi16ELb1E19rocblas_complex_numIfEPKS1_KS3_KPS1_Ev13rocblas_fill_17rocblas_diagonal_iiT2_lPT3_llSB_llPT4_lli.uses_flat_scratch, 0
	.set _ZL23rocblas_trmm_rTx_kernelILi16ELb1E19rocblas_complex_numIfEPKS1_KS3_KPS1_Ev13rocblas_fill_17rocblas_diagonal_iiT2_lPT3_llSB_llPT4_lli.has_dyn_sized_stack, 0
	.set _ZL23rocblas_trmm_rTx_kernelILi16ELb1E19rocblas_complex_numIfEPKS1_KS3_KPS1_Ev13rocblas_fill_17rocblas_diagonal_iiT2_lPT3_llSB_llPT4_lli.has_recursion, 0
	.set _ZL23rocblas_trmm_rTx_kernelILi16ELb1E19rocblas_complex_numIfEPKS1_KS3_KPS1_Ev13rocblas_fill_17rocblas_diagonal_iiT2_lPT3_llSB_llPT4_lli.has_indirect_call, 0
	.section	.AMDGPU.csdata,"",@progbits
; Kernel info:
; codeLenInByte = 1824
; TotalNumSgprs: 40
; NumVgprs: 92
; ScratchSize: 0
; MemoryBound: 0
; FloatMode: 240
; IeeeMode: 1
; LDSByteSize: 4096 bytes/workgroup (compile time only)
; SGPRBlocks: 0
; VGPRBlocks: 11
; NumSGPRsForWavesPerEU: 40
; NumVGPRsForWavesPerEU: 92
; Occupancy: 16
; WaveLimiterHint : 1
; COMPUTE_PGM_RSRC2:SCRATCH_EN: 0
; COMPUTE_PGM_RSRC2:USER_SGPR: 2
; COMPUTE_PGM_RSRC2:TRAP_HANDLER: 0
; COMPUTE_PGM_RSRC2:TGID_X_EN: 1
; COMPUTE_PGM_RSRC2:TGID_Y_EN: 0
; COMPUTE_PGM_RSRC2:TGID_Z_EN: 1
; COMPUTE_PGM_RSRC2:TIDIG_COMP_CNT: 1
	.section	.text._ZL23rocblas_trmm_rTx_kernelILi16ELb1E19rocblas_complex_numIfES1_KPKS1_KPS1_Ev13rocblas_fill_17rocblas_diagonal_iiT2_lPT3_llSB_llPT4_lli,"axG",@progbits,_ZL23rocblas_trmm_rTx_kernelILi16ELb1E19rocblas_complex_numIfES1_KPKS1_KPS1_Ev13rocblas_fill_17rocblas_diagonal_iiT2_lPT3_llSB_llPT4_lli,comdat
	.globl	_ZL23rocblas_trmm_rTx_kernelILi16ELb1E19rocblas_complex_numIfES1_KPKS1_KPS1_Ev13rocblas_fill_17rocblas_diagonal_iiT2_lPT3_llSB_llPT4_lli ; -- Begin function _ZL23rocblas_trmm_rTx_kernelILi16ELb1E19rocblas_complex_numIfES1_KPKS1_KPS1_Ev13rocblas_fill_17rocblas_diagonal_iiT2_lPT3_llSB_llPT4_lli
	.p2align	8
	.type	_ZL23rocblas_trmm_rTx_kernelILi16ELb1E19rocblas_complex_numIfES1_KPKS1_KPS1_Ev13rocblas_fill_17rocblas_diagonal_iiT2_lPT3_llSB_llPT4_lli,@function
_ZL23rocblas_trmm_rTx_kernelILi16ELb1E19rocblas_complex_numIfES1_KPKS1_KPS1_Ev13rocblas_fill_17rocblas_diagonal_iiT2_lPT3_llSB_llPT4_lli: ; @_ZL23rocblas_trmm_rTx_kernelILi16ELb1E19rocblas_complex_numIfES1_KPKS1_KPS1_Ev13rocblas_fill_17rocblas_diagonal_iiT2_lPT3_llSB_llPT4_lli
; %bb.0:
	s_load_b32 s30, s[0:1], 0x68
	s_lshr_b32 s6, ttmp7, 16
	s_wait_kmcnt 0x0
	s_cmp_ge_u32 s6, s30
	s_cbranch_scc1 .LBB179_19
; %bb.1:
	s_clause 0x2
	s_load_b64 s[28:29], s[0:1], 0x10
	s_load_b128 s[24:27], s[0:1], 0x0
	s_load_b512 s[8:23], s[0:1], 0x20
	v_bfe_u32 v11, v0, 10, 10
	v_dual_mov_b32 v1, 0 :: v_dual_and_b32 v16, 0x3ff, v0
	s_load_b64 s[34:35], s[0:1], 0x60
	s_mov_b32 s7, 0
	s_delay_alu instid0(VALU_DEP_2) | instskip(NEXT) | instid1(VALU_DEP_2)
	v_lshlrev_b32_e32 v15, 3, v11
	v_cmp_eq_u32_e32 vcc_lo, v11, v16
	v_cmp_lt_u32_e64 s0, v16, v11
	v_cmp_gt_u32_e64 s1, v16, v11
	v_lshl_add_u32 v14, v16, 3, 0x800
	s_wait_kmcnt 0x0
	s_cmp_neq_f32 s28, 0
	v_cmp_gt_i32_e64 s3, s27, v16
	v_mad_co_u64_u32 v[4:5], null, s16, v11, 0
	s_cselect_b32 s4, -1, 0
	s_cmp_neq_f32 s29, 0
	v_lshlrev_b32_e32 v0, 4, v11
	v_mad_co_u64_u32 v[2:3], null, s10, v11, 0
	s_cselect_b32 s5, -1, 0
	s_add_co_i32 s10, s26, -1
	v_mad_co_u64_u32 v[6:7], null, s22, v11, 0
	s_wait_alu 0xfffe
	s_ashr_i32 s16, s10, 31
	v_add_lshl_u32 v12, v0, v16, 3
	s_wait_alu 0xfffe
	s_lshr_b32 s16, s16, 28
	v_mov_b32_e32 v0, v3
	s_wait_alu 0xfffe
	s_add_co_i32 s10, s10, s16
	s_or_b32 s22, s4, s5
	v_add_nc_u32_e32 v13, 0x800, v12
	s_wait_alu 0xfffe
	s_and_b32 s4, s10, -16
	v_mov_b32_e32 v3, v5
	s_ashr_i32 s5, s10, 4
	s_sub_co_i32 s4, s26, s4
	v_mov_b32_e32 v5, v7
	s_cmp_ge_i32 ttmp9, s5
	v_mad_co_u64_u32 v[7:8], null, s11, v11, v[0:1]
	s_cselect_b32 s4, s4, 16
	v_mad_co_u64_u32 v[8:9], null, s17, v11, v[3:4]
	v_cmp_gt_i32_e64 s4, s4, v16
	v_lshlrev_b32_e32 v16, 3, v16
	v_mad_co_u64_u32 v[9:10], null, s23, v11, v[5:6]
	v_cmp_gt_i32_e64 s2, s27, v11
	s_lshl_b32 s10, ttmp9, 4
	v_dual_mov_b32 v3, v7 :: v_dual_mov_b32 v0, 1.0
	v_mov_b32_e32 v5, v8
	s_and_b32 s26, s2, s3
	v_mov_b32_e32 v7, v9
	s_wait_alu 0xfffe
	s_ashr_i32 s11, s10, 31
	s_and_b32 s27, s2, s4
	s_cmp_eq_u32 s25, 0x84
	v_lshlrev_b64_e32 v[2:3], 3, v[2:3]
	s_cselect_b32 s2, -1, 0
	v_lshlrev_b64_e32 v[4:5], 3, v[4:5]
	v_lshlrev_b64_e32 v[6:7], 3, v[6:7]
	s_and_b32 s23, vcc_lo, s2
	s_cmp_lg_u32 s24, 0x79
	s_cselect_b32 s24, -1, 0
	s_lshl_b64 s[2:3], s[12:13], 3
	s_lshl_b64 s[4:5], s[18:19], 3
	s_wait_alu 0xfffe
	s_lshl_b64 s[10:11], s[10:11], 3
	s_lshl_b64 s[12:13], s[34:35], 3
	s_branch .LBB179_4
.LBB179_2:                              ;   in Loop: Header=BB179_4 Depth=1
	s_wait_alu 0xfffe
	s_or_b32 exec_lo, exec_lo, s16
.LBB179_3:                              ;   in Loop: Header=BB179_4 Depth=1
	s_add_co_i32 s6, s6, 0x10000
	s_delay_alu instid0(SALU_CYCLE_1)
	s_cmp_lt_u32 s6, s30
	s_cbranch_scc0 .LBB179_19
.LBB179_4:                              ; =>This Inner Loop Header: Depth=1
	s_and_not1_b32 vcc_lo, exec_lo, s22
	s_wait_alu 0xfffe
	s_cbranch_vccnz .LBB179_3
; %bb.5:                                ;   in Loop: Header=BB179_4 Depth=1
	s_lshl_b64 s[16:17], s[6:7], 3
	s_wait_alu 0xfffe
	s_add_nc_u64 s[18:19], s[14:15], s[16:17]
	s_add_nc_u64 s[34:35], s[20:21], s[16:17]
	s_clause 0x1
	global_load_b64 v[10:11], v1, s[18:19]
	global_load_b64 v[8:9], v1, s[34:35]
	s_mov_b32 s18, s7
	s_mov_b32 s19, s7
	s_wait_alu 0xfffe
	v_dual_mov_b32 v17, s18 :: v_dual_mov_b32 v18, s19
	ds_store_b64 v12, v[17:18]
	ds_store_b64 v13, v[17:18]
	s_and_saveexec_b32 s18, s26
	s_cbranch_execnz .LBB179_10
; %bb.6:                                ;   in Loop: Header=BB179_4 Depth=1
	s_wait_alu 0xfffe
	s_or_b32 exec_lo, exec_lo, s18
	s_and_saveexec_b32 s16, s27
	s_cbranch_execnz .LBB179_11
.LBB179_7:                              ;   in Loop: Header=BB179_4 Depth=1
	s_wait_alu 0xfffe
	s_or_b32 exec_lo, exec_lo, s16
	s_and_saveexec_b32 s16, s23
	s_cbranch_execnz .LBB179_12
.LBB179_8:                              ;   in Loop: Header=BB179_4 Depth=1
	s_wait_alu 0xfffe
	s_or_b32 exec_lo, exec_lo, s16
	s_delay_alu instid0(SALU_CYCLE_1)
	s_and_b32 vcc_lo, exec_lo, s24
	s_wait_alu 0xfffe
	s_cbranch_vccz .LBB179_13
.LBB179_9:                              ;   in Loop: Header=BB179_4 Depth=1
	s_and_b32 s16, s0, exec_lo
	s_cbranch_execz .LBB179_14
	s_branch .LBB179_15
.LBB179_10:                             ;   in Loop: Header=BB179_4 Depth=1
	s_add_nc_u64 s[16:17], s[8:9], s[16:17]
	global_load_b64 v[17:18], v1, s[16:17]
	s_wait_loadcnt 0x0
	v_add_co_u32 v17, vcc_lo, v17, s2
	s_wait_alu 0xfffd
	v_add_co_ci_u32_e64 v18, null, s3, v18, vcc_lo
	s_delay_alu instid0(VALU_DEP_2) | instskip(SKIP_1) | instid1(VALU_DEP_2)
	v_add_co_u32 v17, vcc_lo, v17, v2
	s_wait_alu 0xfffd
	v_add_co_ci_u32_e64 v18, null, v18, v3, vcc_lo
	s_delay_alu instid0(VALU_DEP_2) | instskip(SKIP_1) | instid1(VALU_DEP_2)
	v_add_co_u32 v17, vcc_lo, v17, v16
	s_wait_alu 0xfffd
	v_add_co_ci_u32_e64 v18, null, 0, v18, vcc_lo
	flat_load_b64 v[17:18], v[17:18]
	s_wait_loadcnt_dscnt 0x0
	v_xor_b32_e32 v18, 0x80000000, v18
	ds_store_b64 v12, v[17:18]
	s_wait_alu 0xfffe
	s_or_b32 exec_lo, exec_lo, s18
	s_and_saveexec_b32 s16, s27
	s_cbranch_execz .LBB179_7
.LBB179_11:                             ;   in Loop: Header=BB179_4 Depth=1
	s_wait_loadcnt 0x1
	v_add_co_u32 v10, vcc_lo, v10, s4
	s_wait_alu 0xfffd
	v_add_co_ci_u32_e64 v11, null, s5, v11, vcc_lo
	s_delay_alu instid0(VALU_DEP_2) | instskip(SKIP_1) | instid1(VALU_DEP_2)
	v_add_co_u32 v10, vcc_lo, v10, s10
	s_wait_alu 0xfffd
	v_add_co_ci_u32_e64 v11, null, s11, v11, vcc_lo
	s_delay_alu instid0(VALU_DEP_2) | instskip(SKIP_1) | instid1(VALU_DEP_2)
	;; [unrolled: 4-line block ×3, first 2 shown]
	v_add_co_u32 v10, vcc_lo, v10, v16
	s_wait_alu 0xfffd
	v_add_co_ci_u32_e64 v11, null, 0, v11, vcc_lo
	flat_load_b64 v[10:11], v[10:11]
	s_wait_loadcnt_dscnt 0x0
	ds_store_b64 v13, v[10:11]
	s_wait_alu 0xfffe
	s_or_b32 exec_lo, exec_lo, s16
	s_and_saveexec_b32 s16, s23
	s_cbranch_execz .LBB179_8
.LBB179_12:                             ;   in Loop: Header=BB179_4 Depth=1
	ds_store_b64 v12, v[0:1]
	s_wait_alu 0xfffe
	s_or_b32 exec_lo, exec_lo, s16
	s_delay_alu instid0(SALU_CYCLE_1)
	s_and_b32 vcc_lo, exec_lo, s24
	s_wait_alu 0xfffe
	s_cbranch_vccnz .LBB179_9
.LBB179_13:                             ;   in Loop: Header=BB179_4 Depth=1
	s_mov_b32 s16, 0
.LBB179_14:                             ;   in Loop: Header=BB179_4 Depth=1
	s_wait_alu 0xfffe
	s_and_not1_b32 s16, s16, exec_lo
	s_and_b32 s17, s1, exec_lo
	s_wait_alu 0xfffe
	s_or_b32 s16, s16, s17
.LBB179_15:                             ;   in Loop: Header=BB179_4 Depth=1
	s_wait_alu 0xfffe
	s_and_saveexec_b32 s17, s16
	s_cbranch_execz .LBB179_17
; %bb.16:                               ;   in Loop: Header=BB179_4 Depth=1
	s_wait_loadcnt 0x1
	v_dual_mov_b32 v10, v1 :: v_dual_mov_b32 v11, v1
	ds_store_b64 v12, v[10:11]
.LBB179_17:                             ;   in Loop: Header=BB179_4 Depth=1
	s_wait_alu 0xfffe
	s_or_b32 exec_lo, exec_lo, s17
	s_wait_loadcnt_dscnt 0x0
	s_barrier_signal -1
	s_barrier_wait -1
	global_inv scope:SCOPE_SE
	s_and_saveexec_b32 s16, s27
	s_cbranch_execz .LBB179_2
; %bb.18:                               ;   in Loop: Header=BB179_4 Depth=1
	ds_load_2addr_b64 v[17:20], v15 offset1:16
	ds_load_2addr_b64 v[21:24], v14 offset1:16
	ds_load_2addr_b64 v[25:28], v15 offset0:32 offset1:48
	ds_load_2addr_b64 v[29:32], v14 offset0:32 offset1:48
	;; [unrolled: 1-line block ×14, first 2 shown]
	v_add_co_u32 v8, vcc_lo, v8, s12
	s_wait_dscnt 0xe
	v_dual_mul_f32 v10, v17, v22 :: v_dual_mul_f32 v11, v19, v24
	s_wait_dscnt 0xc
	v_dual_mul_f32 v81, v25, v30 :: v_dual_mul_f32 v82, v27, v32
	;; [unrolled: 2-line block ×4, first 2 shown]
	s_wait_dscnt 0x6
	v_dual_mul_f32 v87, v49, v54 :: v_dual_fmac_f32 v10, v18, v21
	v_dual_mul_f32 v18, v18, v22 :: v_dual_fmac_f32 v11, v20, v23
	s_wait_dscnt 0x4
	v_dual_mul_f32 v22, v59, v64 :: v_dual_fmac_f32 v81, v26, v29
	s_delay_alu instid0(VALU_DEP_3) | instskip(NEXT) | instid1(VALU_DEP_3)
	v_add_f32_e32 v10, 0, v10
	v_fma_f32 v17, v17, v21, -v18
	v_dual_mul_f32 v20, v20, v24 :: v_dual_fmac_f32 v83, v34, v37
	v_fmac_f32_e32 v84, v36, v39
	s_delay_alu instid0(VALU_DEP_4)
	v_add_f32_e32 v10, v10, v11
	v_mul_f32_e32 v11, v26, v30
	v_add_f32_e32 v17, 0, v17
	v_fma_f32 v18, v19, v23, -v20
	v_fmac_f32_e32 v82, v28, v31
	v_mul_f32_e32 v19, v28, v32
	v_fma_f32 v11, v25, v29, -v11
	v_dual_fmac_f32 v85, v42, v45 :: v_dual_fmac_f32 v86, v44, v47
	v_dual_add_f32 v17, v17, v18 :: v_dual_add_f32 v10, v10, v81
	s_delay_alu instid0(VALU_DEP_4) | instskip(SKIP_1) | instid1(VALU_DEP_3)
	v_fma_f32 v19, v27, v31, -v19
	v_dual_mul_f32 v88, v51, v56 :: v_dual_mul_f32 v89, v57, v62
	v_dual_add_f32 v11, v17, v11 :: v_dual_add_f32 v10, v10, v82
	v_dual_mul_f32 v17, v36, v40 :: v_dual_mul_f32 v18, v34, v38
	s_delay_alu instid0(VALU_DEP_3) | instskip(NEXT) | instid1(VALU_DEP_3)
	v_dual_fmac_f32 v87, v50, v53 :: v_dual_fmac_f32 v88, v52, v55
	v_add_f32_e32 v11, v11, v19
	v_mul_f32_e32 v19, v42, v46
	s_delay_alu instid0(VALU_DEP_4) | instskip(SKIP_4) | instid1(VALU_DEP_3)
	v_fma_f32 v18, v33, v37, -v18
	v_add_f32_e32 v10, v10, v83
	v_fma_f32 v17, v35, v39, -v17
	s_wait_dscnt 0x2
	v_dual_fmac_f32 v89, v58, v61 :: v_dual_mul_f32 v20, v67, v72
	v_dual_add_f32 v11, v11, v18 :: v_dual_add_f32 v10, v10, v84
	v_mul_f32_e32 v18, v44, v48
	v_fma_f32 v19, v41, v45, -v19
	s_delay_alu instid0(VALU_DEP_3) | instskip(NEXT) | instid1(VALU_DEP_4)
	v_dual_fmac_f32 v22, v60, v63 :: v_dual_add_f32 v11, v11, v17
	v_add_f32_e32 v10, v10, v85
	v_mul_f32_e32 v17, v50, v54
	v_fma_f32 v18, v43, v47, -v18
	v_fmac_f32_e32 v20, v68, v71
	s_delay_alu instid0(VALU_DEP_4) | instskip(SKIP_2) | instid1(VALU_DEP_3)
	v_dual_add_f32 v11, v11, v19 :: v_dual_add_f32 v10, v10, v86
	v_mul_f32_e32 v19, v52, v56
	v_fma_f32 v17, v49, v53, -v17
	v_dual_add_f32 v11, v11, v18 :: v_dual_add_f32 v10, v10, v87
	s_delay_alu instid0(VALU_DEP_3) | instskip(NEXT) | instid1(VALU_DEP_2)
	v_fma_f32 v19, v51, v55, -v19
	v_dual_add_f32 v11, v11, v17 :: v_dual_add_f32 v10, v10, v88
	v_mul_f32_e32 v18, v58, v62
	v_mul_f32_e32 v17, v65, v70
	s_delay_alu instid0(VALU_DEP_3) | instskip(NEXT) | instid1(VALU_DEP_3)
	v_dual_add_f32 v11, v11, v19 :: v_dual_add_f32 v10, v10, v89
	v_fma_f32 v18, v57, v61, -v18
	v_mul_f32_e32 v19, v60, v64
	s_delay_alu instid0(VALU_DEP_4) | instskip(NEXT) | instid1(VALU_DEP_4)
	v_fmac_f32_e32 v17, v66, v69
	v_add_f32_e32 v10, v10, v22
	s_delay_alu instid0(VALU_DEP_4) | instskip(NEXT) | instid1(VALU_DEP_4)
	v_add_f32_e32 v11, v11, v18
	v_fma_f32 v18, v59, v63, -v19
	v_mul_f32_e32 v19, v66, v70
	s_wait_dscnt 0x0
	v_dual_add_f32 v10, v10, v17 :: v_dual_mul_f32 v17, v73, v78
	s_delay_alu instid0(VALU_DEP_1) | instskip(NEXT) | instid1(VALU_DEP_2)
	v_add_f32_e32 v10, v10, v20
	v_dual_mul_f32 v20, v75, v80 :: v_dual_fmac_f32 v17, v74, v77
	s_delay_alu instid0(VALU_DEP_1) | instskip(NEXT) | instid1(VALU_DEP_2)
	v_dual_fmac_f32 v20, v76, v79 :: v_dual_add_f32 v11, v11, v18
	v_add_f32_e32 v10, v10, v17
	v_fma_f32 v18, v65, v69, -v19
	s_delay_alu instid0(VALU_DEP_2) | instskip(SKIP_1) | instid1(VALU_DEP_3)
	v_add_f32_e32 v10, v10, v20
	v_mul_f32_e32 v19, v68, v72
	v_add_f32_e32 v11, v11, v18
	s_delay_alu instid0(VALU_DEP_2) | instskip(SKIP_1) | instid1(VALU_DEP_2)
	v_fma_f32 v18, v67, v71, -v19
	v_mul_f32_e32 v19, v74, v78
	v_add_f32_e32 v11, v11, v18
	s_delay_alu instid0(VALU_DEP_2) | instskip(NEXT) | instid1(VALU_DEP_1)
	v_fma_f32 v17, v73, v77, -v19
	v_dual_mul_f32 v18, v76, v80 :: v_dual_add_f32 v11, v11, v17
	s_delay_alu instid0(VALU_DEP_1) | instskip(SKIP_3) | instid1(VALU_DEP_3)
	v_fma_f32 v17, v75, v79, -v18
	s_wait_alu 0xfffd
	v_add_co_ci_u32_e64 v18, null, s13, v9, vcc_lo
	v_add_co_u32 v8, vcc_lo, v8, s10
	v_add_f32_e32 v11, v11, v17
	s_wait_alu 0xfffd
	s_delay_alu instid0(VALU_DEP_3)
	v_add_co_ci_u32_e64 v17, null, s11, v18, vcc_lo
	v_mul_f32_e32 v9, s28, v10
	v_mul_f32_e32 v10, s29, v10
	v_add_co_u32 v18, vcc_lo, v8, v6
	s_wait_alu 0xfffd
	v_add_co_ci_u32_e64 v17, null, v17, v7, vcc_lo
	s_delay_alu instid0(VALU_DEP_3) | instskip(NEXT) | instid1(VALU_DEP_3)
	v_fma_f32 v8, s28, v11, -v10
	v_add_co_u32 v10, vcc_lo, v18, v16
	v_fmac_f32_e32 v9, s29, v11
	s_wait_alu 0xfffd
	v_add_co_ci_u32_e64 v11, null, 0, v17, vcc_lo
	flat_store_b64 v[10:11], v[8:9]
	s_branch .LBB179_2
.LBB179_19:
	s_endpgm
	.section	.rodata,"a",@progbits
	.p2align	6, 0x0
	.amdhsa_kernel _ZL23rocblas_trmm_rTx_kernelILi16ELb1E19rocblas_complex_numIfES1_KPKS1_KPS1_Ev13rocblas_fill_17rocblas_diagonal_iiT2_lPT3_llSB_llPT4_lli
		.amdhsa_group_segment_fixed_size 4096
		.amdhsa_private_segment_fixed_size 0
		.amdhsa_kernarg_size 108
		.amdhsa_user_sgpr_count 2
		.amdhsa_user_sgpr_dispatch_ptr 0
		.amdhsa_user_sgpr_queue_ptr 0
		.amdhsa_user_sgpr_kernarg_segment_ptr 1
		.amdhsa_user_sgpr_dispatch_id 0
		.amdhsa_user_sgpr_private_segment_size 0
		.amdhsa_wavefront_size32 1
		.amdhsa_uses_dynamic_stack 0
		.amdhsa_enable_private_segment 0
		.amdhsa_system_sgpr_workgroup_id_x 1
		.amdhsa_system_sgpr_workgroup_id_y 0
		.amdhsa_system_sgpr_workgroup_id_z 1
		.amdhsa_system_sgpr_workgroup_info 0
		.amdhsa_system_vgpr_workitem_id 1
		.amdhsa_next_free_vgpr 90
		.amdhsa_next_free_sgpr 36
		.amdhsa_reserve_vcc 1
		.amdhsa_float_round_mode_32 0
		.amdhsa_float_round_mode_16_64 0
		.amdhsa_float_denorm_mode_32 3
		.amdhsa_float_denorm_mode_16_64 3
		.amdhsa_fp16_overflow 0
		.amdhsa_workgroup_processor_mode 1
		.amdhsa_memory_ordered 1
		.amdhsa_forward_progress 1
		.amdhsa_inst_pref_size 15
		.amdhsa_round_robin_scheduling 0
		.amdhsa_exception_fp_ieee_invalid_op 0
		.amdhsa_exception_fp_denorm_src 0
		.amdhsa_exception_fp_ieee_div_zero 0
		.amdhsa_exception_fp_ieee_overflow 0
		.amdhsa_exception_fp_ieee_underflow 0
		.amdhsa_exception_fp_ieee_inexact 0
		.amdhsa_exception_int_div_zero 0
	.end_amdhsa_kernel
	.section	.text._ZL23rocblas_trmm_rTx_kernelILi16ELb1E19rocblas_complex_numIfES1_KPKS1_KPS1_Ev13rocblas_fill_17rocblas_diagonal_iiT2_lPT3_llSB_llPT4_lli,"axG",@progbits,_ZL23rocblas_trmm_rTx_kernelILi16ELb1E19rocblas_complex_numIfES1_KPKS1_KPS1_Ev13rocblas_fill_17rocblas_diagonal_iiT2_lPT3_llSB_llPT4_lli,comdat
.Lfunc_end179:
	.size	_ZL23rocblas_trmm_rTx_kernelILi16ELb1E19rocblas_complex_numIfES1_KPKS1_KPS1_Ev13rocblas_fill_17rocblas_diagonal_iiT2_lPT3_llSB_llPT4_lli, .Lfunc_end179-_ZL23rocblas_trmm_rTx_kernelILi16ELb1E19rocblas_complex_numIfES1_KPKS1_KPS1_Ev13rocblas_fill_17rocblas_diagonal_iiT2_lPT3_llSB_llPT4_lli
                                        ; -- End function
	.set _ZL23rocblas_trmm_rTx_kernelILi16ELb1E19rocblas_complex_numIfES1_KPKS1_KPS1_Ev13rocblas_fill_17rocblas_diagonal_iiT2_lPT3_llSB_llPT4_lli.num_vgpr, 90
	.set _ZL23rocblas_trmm_rTx_kernelILi16ELb1E19rocblas_complex_numIfES1_KPKS1_KPS1_Ev13rocblas_fill_17rocblas_diagonal_iiT2_lPT3_llSB_llPT4_lli.num_agpr, 0
	.set _ZL23rocblas_trmm_rTx_kernelILi16ELb1E19rocblas_complex_numIfES1_KPKS1_KPS1_Ev13rocblas_fill_17rocblas_diagonal_iiT2_lPT3_llSB_llPT4_lli.numbered_sgpr, 36
	.set _ZL23rocblas_trmm_rTx_kernelILi16ELb1E19rocblas_complex_numIfES1_KPKS1_KPS1_Ev13rocblas_fill_17rocblas_diagonal_iiT2_lPT3_llSB_llPT4_lli.num_named_barrier, 0
	.set _ZL23rocblas_trmm_rTx_kernelILi16ELb1E19rocblas_complex_numIfES1_KPKS1_KPS1_Ev13rocblas_fill_17rocblas_diagonal_iiT2_lPT3_llSB_llPT4_lli.private_seg_size, 0
	.set _ZL23rocblas_trmm_rTx_kernelILi16ELb1E19rocblas_complex_numIfES1_KPKS1_KPS1_Ev13rocblas_fill_17rocblas_diagonal_iiT2_lPT3_llSB_llPT4_lli.uses_vcc, 1
	.set _ZL23rocblas_trmm_rTx_kernelILi16ELb1E19rocblas_complex_numIfES1_KPKS1_KPS1_Ev13rocblas_fill_17rocblas_diagonal_iiT2_lPT3_llSB_llPT4_lli.uses_flat_scratch, 0
	.set _ZL23rocblas_trmm_rTx_kernelILi16ELb1E19rocblas_complex_numIfES1_KPKS1_KPS1_Ev13rocblas_fill_17rocblas_diagonal_iiT2_lPT3_llSB_llPT4_lli.has_dyn_sized_stack, 0
	.set _ZL23rocblas_trmm_rTx_kernelILi16ELb1E19rocblas_complex_numIfES1_KPKS1_KPS1_Ev13rocblas_fill_17rocblas_diagonal_iiT2_lPT3_llSB_llPT4_lli.has_recursion, 0
	.set _ZL23rocblas_trmm_rTx_kernelILi16ELb1E19rocblas_complex_numIfES1_KPKS1_KPS1_Ev13rocblas_fill_17rocblas_diagonal_iiT2_lPT3_llSB_llPT4_lli.has_indirect_call, 0
	.section	.AMDGPU.csdata,"",@progbits
; Kernel info:
; codeLenInByte = 1808
; TotalNumSgprs: 38
; NumVgprs: 90
; ScratchSize: 0
; MemoryBound: 0
; FloatMode: 240
; IeeeMode: 1
; LDSByteSize: 4096 bytes/workgroup (compile time only)
; SGPRBlocks: 0
; VGPRBlocks: 11
; NumSGPRsForWavesPerEU: 38
; NumVGPRsForWavesPerEU: 90
; Occupancy: 16
; WaveLimiterHint : 1
; COMPUTE_PGM_RSRC2:SCRATCH_EN: 0
; COMPUTE_PGM_RSRC2:USER_SGPR: 2
; COMPUTE_PGM_RSRC2:TRAP_HANDLER: 0
; COMPUTE_PGM_RSRC2:TGID_X_EN: 1
; COMPUTE_PGM_RSRC2:TGID_Y_EN: 0
; COMPUTE_PGM_RSRC2:TGID_Z_EN: 1
; COMPUTE_PGM_RSRC2:TIDIG_COMP_CNT: 1
	.section	.text._ZL23rocblas_trmm_lNx_kernelILi16E19rocblas_complex_numIdEPKS1_KS3_KPS1_Ev13rocblas_fill_17rocblas_diagonal_iiT1_lPT2_llSB_llPT3_lli,"axG",@progbits,_ZL23rocblas_trmm_lNx_kernelILi16E19rocblas_complex_numIdEPKS1_KS3_KPS1_Ev13rocblas_fill_17rocblas_diagonal_iiT1_lPT2_llSB_llPT3_lli,comdat
	.globl	_ZL23rocblas_trmm_lNx_kernelILi16E19rocblas_complex_numIdEPKS1_KS3_KPS1_Ev13rocblas_fill_17rocblas_diagonal_iiT1_lPT2_llSB_llPT3_lli ; -- Begin function _ZL23rocblas_trmm_lNx_kernelILi16E19rocblas_complex_numIdEPKS1_KS3_KPS1_Ev13rocblas_fill_17rocblas_diagonal_iiT1_lPT2_llSB_llPT3_lli
	.p2align	8
	.type	_ZL23rocblas_trmm_lNx_kernelILi16E19rocblas_complex_numIdEPKS1_KS3_KPS1_Ev13rocblas_fill_17rocblas_diagonal_iiT1_lPT2_llSB_llPT3_lli,@function
_ZL23rocblas_trmm_lNx_kernelILi16E19rocblas_complex_numIdEPKS1_KS3_KPS1_Ev13rocblas_fill_17rocblas_diagonal_iiT1_lPT2_llSB_llPT3_lli: ; @_ZL23rocblas_trmm_lNx_kernelILi16E19rocblas_complex_numIdEPKS1_KS3_KPS1_Ev13rocblas_fill_17rocblas_diagonal_iiT1_lPT2_llSB_llPT3_lli
; %bb.0:
	s_load_b32 s30, s[0:1], 0x68
	s_lshr_b32 s28, ttmp7, 16
	s_wait_kmcnt 0x0
	s_cmp_ge_u32 s28, s30
	s_cbranch_scc1 .LBB180_19
; %bb.1:
	s_clause 0x3
	s_load_b128 s[24:27], s[0:1], 0x0
	s_load_b512 s[4:19], s[0:1], 0x10
	s_load_b128 s[20:23], s[0:1], 0x50
	s_load_b64 s[2:3], s[0:1], 0x60
	v_bfe_u32 v10, v0, 10, 10
	v_and_b32_e32 v14, 0x3ff, v0
	s_mov_b32 s29, 0
	s_delay_alu instid0(VALU_DEP_2) | instskip(NEXT) | instid1(VALU_DEP_2)
	v_lshlrev_b32_e32 v0, 4, v10
	v_cmp_eq_u32_e32 vcc_lo, v10, v14
	v_lshl_add_u32 v19, v10, 8, 0x1000
	v_lshlrev_b32_e32 v18, 4, v14
	v_lshlrev_b32_e32 v20, 4, v14
	s_wait_kmcnt 0x0
	s_add_co_i32 s1, s27, -1
	v_mad_co_u64_u32 v[1:2], null, s10, v10, 0
	v_mad_co_u64_u32 v[3:4], null, s16, v10, 0
	s_ashr_i32 s10, s1, 31
	v_mad_co_u64_u32 v[5:6], null, s22, v10, 0
	s_wait_alu 0xfffe
	s_lshr_b32 s10, s10, 28
	v_cmp_gt_i32_e64 s0, s26, v10
	s_wait_alu 0xfffe
	s_add_co_i32 s10, s1, s10
	v_cmp_gt_i32_e64 s1, s26, v14
	s_wait_alu 0xfffe
	s_ashr_i32 s26, s10, 4
	s_and_b32 s10, s10, -16
	v_mad_co_u64_u32 v[7:8], null, s11, v10, v[2:3]
	s_wait_alu 0xfffe
	s_sub_co_i32 s10, s27, s10
	s_cmp_ge_i32 ttmp9, s26
	v_mad_co_u64_u32 v[8:9], null, s17, v10, v[4:5]
	s_wait_alu 0xfffe
	s_cselect_b32 s27, s10, 16
	s_and_b32 s26, s0, s1
	s_wait_alu 0xfffe
	v_cmp_gt_i32_e64 s0, s27, v10
	v_mov_b32_e32 v2, v7
	v_mad_co_u64_u32 v[6:7], null, s23, v10, v[6:7]
	s_lshl_b32 s10, ttmp9, 4
	s_and_b32 s27, s1, s0
	s_wait_alu 0xfffe
	s_ashr_i32 s11, s10, 31
	v_mov_b32_e32 v4, v8
	s_cmp_eq_u32 s25, 0x84
	v_lshlrev_b64_e32 v[8:9], 4, v[1:2]
	v_mov_b32_e32 v1, 0x3ff00000
	v_add_lshl_u32 v16, v0, v14, 4
	s_cselect_b32 s0, -1, 0
	v_cmp_gt_u32_e64 s1, v14, v10
	s_and_b32 s25, vcc_lo, s0
	v_cmp_lt_u32_e64 s0, v14, v10
	v_lshlrev_b64_e32 v[10:11], 4, v[3:4]
	v_lshlrev_b64_e32 v[12:13], 4, v[5:6]
	v_dual_mov_b32 v0, 0 :: v_dual_add_nc_u32 v17, 0x1000, v16
	s_wait_alu 0xfffe
	s_mul_u64 s[16:17], s[16:17], s[10:11]
	s_mul_u64 s[34:35], s[22:23], s[10:11]
	s_cmp_lg_u32 s24, 0x79
	s_cselect_b32 s24, -1, 0
	s_lshl_b64 s[10:11], s[12:13], 4
	s_lshl_b64 s[12:13], s[18:19], 4
	s_wait_alu 0xfffe
	s_lshl_b64 s[16:17], s[16:17], 4
	s_lshl_b64 s[18:19], s[2:3], 4
	;; [unrolled: 1-line block ×3, first 2 shown]
	s_branch .LBB180_4
.LBB180_2:                              ;   in Loop: Header=BB180_4 Depth=1
	s_or_b32 exec_lo, exec_lo, s2
.LBB180_3:                              ;   in Loop: Header=BB180_4 Depth=1
	s_add_co_i32 s28, s28, 0x10000
	s_delay_alu instid0(SALU_CYCLE_1)
	s_cmp_lt_u32 s28, s30
	s_cbranch_scc0 .LBB180_19
.LBB180_4:                              ; =>This Inner Loop Header: Depth=1
	s_mul_u64 s[2:3], s[6:7], s[28:29]
	s_delay_alu instid0(SALU_CYCLE_1) | instskip(NEXT) | instid1(SALU_CYCLE_1)
	s_lshl_b64 s[2:3], s[2:3], 4
	s_add_nc_u64 s[2:3], s[4:5], s[2:3]
	global_load_b128 v[4:7], v0, s[2:3]
	s_wait_loadcnt 0x0
	v_cmp_neq_f64_e32 vcc_lo, 0, v[4:5]
	v_cmp_neq_f64_e64 s2, 0, v[6:7]
	s_or_b32 s2, vcc_lo, s2
	s_delay_alu instid0(SALU_CYCLE_1)
	s_and_not1_b32 vcc_lo, exec_lo, s2
	s_wait_alu 0xfffe
	s_cbranch_vccnz .LBB180_3
; %bb.5:                                ;   in Loop: Header=BB180_4 Depth=1
	s_lshl_b64 s[2:3], s[28:29], 3
	s_mov_b32 s38, s29
	s_add_nc_u64 s[34:35], s[14:15], s[2:3]
	s_add_nc_u64 s[36:37], s[20:21], s[2:3]
	s_clause 0x1
	global_load_b64 v[2:3], v0, s[34:35]
	global_load_b64 v[14:15], v0, s[36:37]
	s_mov_b32 s36, s29
	s_mov_b32 s37, s29
	;; [unrolled: 1-line block ×3, first 2 shown]
	s_wait_alu 0xfffe
	v_dual_mov_b32 v21, s36 :: v_dual_mov_b32 v22, s37
	v_dual_mov_b32 v23, s38 :: v_dual_mov_b32 v24, s39
	ds_store_b128 v16, v[21:24]
	ds_store_b128 v17, v[21:24]
	s_and_saveexec_b32 s31, s26
	s_cbranch_execnz .LBB180_10
; %bb.6:                                ;   in Loop: Header=BB180_4 Depth=1
	s_or_b32 exec_lo, exec_lo, s31
	s_and_saveexec_b32 s2, s27
	s_cbranch_execnz .LBB180_11
.LBB180_7:                              ;   in Loop: Header=BB180_4 Depth=1
	s_or_b32 exec_lo, exec_lo, s2
	s_and_saveexec_b32 s2, s25
	s_cbranch_execnz .LBB180_12
.LBB180_8:                              ;   in Loop: Header=BB180_4 Depth=1
	s_or_b32 exec_lo, exec_lo, s2
	s_delay_alu instid0(SALU_CYCLE_1)
	s_and_b32 vcc_lo, exec_lo, s24
	s_wait_alu 0xfffe
	s_cbranch_vccz .LBB180_13
.LBB180_9:                              ;   in Loop: Header=BB180_4 Depth=1
	s_and_b32 s2, s0, exec_lo
	s_cbranch_execz .LBB180_14
	s_branch .LBB180_15
.LBB180_10:                             ;   in Loop: Header=BB180_4 Depth=1
	s_add_nc_u64 s[2:3], s[8:9], s[2:3]
	global_load_b64 v[21:22], v0, s[2:3]
	s_wait_loadcnt 0x0
	v_add_co_u32 v21, vcc_lo, v21, s10
	s_wait_alu 0xfffd
	v_add_co_ci_u32_e64 v22, null, s11, v22, vcc_lo
	s_delay_alu instid0(VALU_DEP_2) | instskip(SKIP_1) | instid1(VALU_DEP_2)
	v_add_co_u32 v21, vcc_lo, v21, v8
	s_wait_alu 0xfffd
	v_add_co_ci_u32_e64 v22, null, v22, v9, vcc_lo
	s_delay_alu instid0(VALU_DEP_2) | instskip(SKIP_1) | instid1(VALU_DEP_2)
	v_add_co_u32 v21, vcc_lo, v21, v20
	s_wait_alu 0xfffd
	v_add_co_ci_u32_e64 v22, null, 0, v22, vcc_lo
	flat_load_b128 v[21:24], v[21:22]
	s_wait_loadcnt_dscnt 0x0
	ds_store_2addr_b64 v16, v[21:22], v[23:24] offset1:1
	s_or_b32 exec_lo, exec_lo, s31
	s_and_saveexec_b32 s2, s27
	s_cbranch_execz .LBB180_7
.LBB180_11:                             ;   in Loop: Header=BB180_4 Depth=1
	s_wait_loadcnt 0x1
	v_add_co_u32 v2, vcc_lo, v2, s12
	s_wait_alu 0xfffd
	v_add_co_ci_u32_e64 v3, null, s13, v3, vcc_lo
	s_wait_alu 0xfffe
	s_delay_alu instid0(VALU_DEP_2) | instskip(SKIP_1) | instid1(VALU_DEP_2)
	v_add_co_u32 v2, vcc_lo, v2, s16
	s_wait_alu 0xfffd
	v_add_co_ci_u32_e64 v3, null, s17, v3, vcc_lo
	s_delay_alu instid0(VALU_DEP_2) | instskip(SKIP_1) | instid1(VALU_DEP_2)
	v_add_co_u32 v2, vcc_lo, v2, v10
	s_wait_alu 0xfffd
	v_add_co_ci_u32_e64 v3, null, v3, v11, vcc_lo
	;; [unrolled: 4-line block ×3, first 2 shown]
	flat_load_b128 v[21:24], v[2:3]
	s_wait_loadcnt_dscnt 0x0
	ds_store_2addr_b64 v17, v[21:22], v[23:24] offset1:1
	s_or_b32 exec_lo, exec_lo, s2
	s_and_saveexec_b32 s2, s25
	s_cbranch_execz .LBB180_8
.LBB180_12:                             ;   in Loop: Header=BB180_4 Depth=1
	s_wait_loadcnt 0x1
	v_dual_mov_b32 v2, v0 :: v_dual_mov_b32 v3, v0
	ds_store_b128 v16, v[0:3]
	s_or_b32 exec_lo, exec_lo, s2
	s_delay_alu instid0(SALU_CYCLE_1)
	s_and_b32 vcc_lo, exec_lo, s24
	s_wait_alu 0xfffe
	s_cbranch_vccnz .LBB180_9
.LBB180_13:                             ;   in Loop: Header=BB180_4 Depth=1
	s_mov_b32 s2, 0
.LBB180_14:                             ;   in Loop: Header=BB180_4 Depth=1
	s_delay_alu instid0(SALU_CYCLE_1) | instskip(SKIP_1) | instid1(SALU_CYCLE_1)
	s_and_not1_b32 s2, s2, exec_lo
	s_and_b32 s3, s1, exec_lo
	s_or_b32 s2, s2, s3
.LBB180_15:                             ;   in Loop: Header=BB180_4 Depth=1
	s_delay_alu instid0(SALU_CYCLE_1)
	s_and_saveexec_b32 s3, s2
; %bb.16:                               ;   in Loop: Header=BB180_4 Depth=1
	v_dual_mov_b32 v21, v0 :: v_dual_mov_b32 v22, v0
	v_dual_mov_b32 v23, v0 :: v_dual_mov_b32 v24, v0
	ds_store_b128 v16, v[21:24]
; %bb.17:                               ;   in Loop: Header=BB180_4 Depth=1
	s_or_b32 exec_lo, exec_lo, s3
	s_wait_loadcnt_dscnt 0x0
	s_barrier_signal -1
	s_barrier_wait -1
	global_inv scope:SCOPE_SE
	s_and_saveexec_b32 s2, s27
	s_cbranch_execz .LBB180_2
; %bb.18:                               ;   in Loop: Header=BB180_4 Depth=1
	ds_load_b128 v[21:24], v18
	ds_load_b128 v[25:28], v19
	ds_load_b128 v[29:32], v19 offset:16
	ds_load_b128 v[33:36], v18 offset:256
	;; [unrolled: 1-line block ×6, first 2 shown]
	s_wait_dscnt 0x6
	v_mul_f64_e32 v[2:3], v[25:26], v[23:24]
	v_mul_f64_e32 v[23:24], v[27:28], v[23:24]
	s_wait_dscnt 0x4
	v_mul_f64_e32 v[53:54], v[29:30], v[35:36]
	v_mul_f64_e32 v[35:36], v[31:32], v[35:36]
	s_delay_alu instid0(VALU_DEP_4) | instskip(SKIP_2) | instid1(VALU_DEP_4)
	v_fma_f64 v[2:3], v[27:28], v[21:22], v[2:3]
	s_wait_dscnt 0x2
	v_mul_f64_e32 v[27:28], v[41:42], v[39:40]
	v_fma_f64 v[31:32], v[31:32], v[33:34], v[53:54]
	v_fma_f64 v[21:22], v[25:26], v[21:22], -v[23:24]
	s_wait_dscnt 0x0
	v_mul_f64_e32 v[53:54], v[45:46], v[51:52]
	v_mul_f64_e32 v[39:40], v[43:44], v[39:40]
	v_fma_f64 v[55:56], v[29:30], v[33:34], -v[35:36]
	v_mul_f64_e32 v[51:52], v[47:48], v[51:52]
	v_add_f64_e32 v[2:3], 0, v[2:3]
	v_fma_f64 v[43:44], v[43:44], v[37:38], v[27:28]
	v_add_f64_e32 v[57:58], 0, v[21:22]
	v_fma_f64 v[47:48], v[47:48], v[49:50], v[53:54]
	v_fma_f64 v[37:38], v[41:42], v[37:38], -v[39:40]
	v_add_f64_e32 v[2:3], v[2:3], v[31:32]
	ds_load_b128 v[21:24], v18 offset:1024
	ds_load_b128 v[25:28], v19 offset:64
	ds_load_b128 v[29:32], v19 offset:80
	ds_load_b128 v[33:36], v18 offset:1280
	v_add_f64_e32 v[39:40], v[57:58], v[55:56]
	v_fma_f64 v[55:56], v[45:46], v[49:50], -v[51:52]
	s_wait_dscnt 0x2
	v_mul_f64_e32 v[59:60], v[25:26], v[23:24]
	v_mul_f64_e32 v[23:24], v[27:28], v[23:24]
	s_wait_dscnt 0x0
	v_mul_f64_e32 v[53:54], v[29:30], v[35:36]
	v_mul_f64_e32 v[35:36], v[31:32], v[35:36]
	v_add_f64_e32 v[2:3], v[2:3], v[43:44]
	v_add_f64_e32 v[57:58], v[39:40], v[37:38]
	v_fma_f64 v[27:28], v[27:28], v[21:22], v[59:60]
	v_fma_f64 v[21:22], v[25:26], v[21:22], -v[23:24]
	v_fma_f64 v[31:32], v[31:32], v[33:34], v[53:54]
	v_add_f64_e32 v[2:3], v[2:3], v[47:48]
	ds_load_b128 v[37:40], v18 offset:1536
	ds_load_b128 v[41:44], v19 offset:96
	ds_load_b128 v[45:48], v19 offset:112
	ds_load_b128 v[49:52], v18 offset:1792
	v_add_f64_e32 v[23:24], v[57:58], v[55:56]
	v_fma_f64 v[55:56], v[29:30], v[33:34], -v[35:36]
	s_wait_dscnt 0x2
	v_mul_f64_e32 v[59:60], v[41:42], v[39:40]
	v_mul_f64_e32 v[39:40], v[43:44], v[39:40]
	s_wait_dscnt 0x0
	v_mul_f64_e32 v[53:54], v[45:46], v[51:52]
	v_mul_f64_e32 v[51:52], v[47:48], v[51:52]
	v_add_f64_e32 v[2:3], v[2:3], v[27:28]
	v_add_f64_e32 v[57:58], v[23:24], v[21:22]
	v_fma_f64 v[43:44], v[43:44], v[37:38], v[59:60]
	v_fma_f64 v[37:38], v[41:42], v[37:38], -v[39:40]
	v_fma_f64 v[47:48], v[47:48], v[49:50], v[53:54]
	;; [unrolled: 18-line block ×5, first 2 shown]
	v_fma_f64 v[29:30], v[29:30], v[33:34], -v[35:36]
	v_add_f64_e32 v[2:3], v[2:3], v[47:48]
	ds_load_b128 v[37:40], v18 offset:3584
	ds_load_b128 v[41:44], v19 offset:224
	;; [unrolled: 1-line block ×4, first 2 shown]
	v_add_f64_e32 v[23:24], v[57:58], v[55:56]
	s_wait_dscnt 0x2
	v_mul_f64_e32 v[59:60], v[41:42], v[39:40]
	s_wait_dscnt 0x0
	v_mul_f64_e32 v[25:26], v[45:46], v[51:52]
	v_add_f64_e32 v[2:3], v[2:3], v[27:28]
	v_mul_f64_e32 v[27:28], v[43:44], v[39:40]
	v_add_f64_e32 v[21:22], v[23:24], v[21:22]
	v_mul_f64_e32 v[23:24], v[47:48], v[51:52]
	v_fma_f64 v[39:40], v[43:44], v[37:38], v[59:60]
	v_fma_f64 v[25:26], v[47:48], v[49:50], v[25:26]
	v_add_f64_e32 v[2:3], v[2:3], v[31:32]
	v_fma_f64 v[27:28], v[41:42], v[37:38], -v[27:28]
	v_add_f64_e32 v[21:22], v[21:22], v[29:30]
	v_fma_f64 v[23:24], v[45:46], v[49:50], -v[23:24]
	s_delay_alu instid0(VALU_DEP_4) | instskip(NEXT) | instid1(VALU_DEP_3)
	v_add_f64_e32 v[2:3], v[2:3], v[39:40]
	v_add_f64_e32 v[21:22], v[21:22], v[27:28]
	s_delay_alu instid0(VALU_DEP_2) | instskip(NEXT) | instid1(VALU_DEP_2)
	v_add_f64_e32 v[2:3], v[2:3], v[25:26]
	v_add_f64_e32 v[21:22], v[21:22], v[23:24]
	s_delay_alu instid0(VALU_DEP_2) | instskip(SKIP_1) | instid1(VALU_DEP_2)
	v_mul_f64_e32 v[23:24], v[4:5], v[2:3]
	v_mul_f64_e32 v[2:3], v[6:7], v[2:3]
	v_fma_f64 v[6:7], v[6:7], v[21:22], v[23:24]
	s_delay_alu instid0(VALU_DEP_2) | instskip(SKIP_4) | instid1(VALU_DEP_2)
	v_fma_f64 v[4:5], v[4:5], v[21:22], -v[2:3]
	v_add_co_u32 v2, vcc_lo, v14, s18
	s_wait_alu 0xfffd
	v_add_co_ci_u32_e64 v3, null, s19, v15, vcc_lo
	s_wait_alu 0xfffe
	v_add_co_u32 v2, vcc_lo, v2, s22
	s_wait_alu 0xfffd
	s_delay_alu instid0(VALU_DEP_2) | instskip(NEXT) | instid1(VALU_DEP_2)
	v_add_co_ci_u32_e64 v3, null, s23, v3, vcc_lo
	v_add_co_u32 v2, vcc_lo, v2, v12
	s_wait_alu 0xfffd
	s_delay_alu instid0(VALU_DEP_2) | instskip(NEXT) | instid1(VALU_DEP_2)
	v_add_co_ci_u32_e64 v3, null, v3, v13, vcc_lo
	v_add_co_u32 v2, vcc_lo, v2, v20
	s_wait_alu 0xfffd
	s_delay_alu instid0(VALU_DEP_2)
	v_add_co_ci_u32_e64 v3, null, 0, v3, vcc_lo
	flat_store_b128 v[2:3], v[4:7]
	s_branch .LBB180_2
.LBB180_19:
	s_endpgm
	.section	.rodata,"a",@progbits
	.p2align	6, 0x0
	.amdhsa_kernel _ZL23rocblas_trmm_lNx_kernelILi16E19rocblas_complex_numIdEPKS1_KS3_KPS1_Ev13rocblas_fill_17rocblas_diagonal_iiT1_lPT2_llSB_llPT3_lli
		.amdhsa_group_segment_fixed_size 8192
		.amdhsa_private_segment_fixed_size 0
		.amdhsa_kernarg_size 108
		.amdhsa_user_sgpr_count 2
		.amdhsa_user_sgpr_dispatch_ptr 0
		.amdhsa_user_sgpr_queue_ptr 0
		.amdhsa_user_sgpr_kernarg_segment_ptr 1
		.amdhsa_user_sgpr_dispatch_id 0
		.amdhsa_user_sgpr_private_segment_size 0
		.amdhsa_wavefront_size32 1
		.amdhsa_uses_dynamic_stack 0
		.amdhsa_enable_private_segment 0
		.amdhsa_system_sgpr_workgroup_id_x 1
		.amdhsa_system_sgpr_workgroup_id_y 0
		.amdhsa_system_sgpr_workgroup_id_z 1
		.amdhsa_system_sgpr_workgroup_info 0
		.amdhsa_system_vgpr_workitem_id 1
		.amdhsa_next_free_vgpr 61
		.amdhsa_next_free_sgpr 40
		.amdhsa_reserve_vcc 1
		.amdhsa_float_round_mode_32 0
		.amdhsa_float_round_mode_16_64 0
		.amdhsa_float_denorm_mode_32 3
		.amdhsa_float_denorm_mode_16_64 3
		.amdhsa_fp16_overflow 0
		.amdhsa_workgroup_processor_mode 1
		.amdhsa_memory_ordered 1
		.amdhsa_forward_progress 1
		.amdhsa_inst_pref_size 16
		.amdhsa_round_robin_scheduling 0
		.amdhsa_exception_fp_ieee_invalid_op 0
		.amdhsa_exception_fp_denorm_src 0
		.amdhsa_exception_fp_ieee_div_zero 0
		.amdhsa_exception_fp_ieee_overflow 0
		.amdhsa_exception_fp_ieee_underflow 0
		.amdhsa_exception_fp_ieee_inexact 0
		.amdhsa_exception_int_div_zero 0
	.end_amdhsa_kernel
	.section	.text._ZL23rocblas_trmm_lNx_kernelILi16E19rocblas_complex_numIdEPKS1_KS3_KPS1_Ev13rocblas_fill_17rocblas_diagonal_iiT1_lPT2_llSB_llPT3_lli,"axG",@progbits,_ZL23rocblas_trmm_lNx_kernelILi16E19rocblas_complex_numIdEPKS1_KS3_KPS1_Ev13rocblas_fill_17rocblas_diagonal_iiT1_lPT2_llSB_llPT3_lli,comdat
.Lfunc_end180:
	.size	_ZL23rocblas_trmm_lNx_kernelILi16E19rocblas_complex_numIdEPKS1_KS3_KPS1_Ev13rocblas_fill_17rocblas_diagonal_iiT1_lPT2_llSB_llPT3_lli, .Lfunc_end180-_ZL23rocblas_trmm_lNx_kernelILi16E19rocblas_complex_numIdEPKS1_KS3_KPS1_Ev13rocblas_fill_17rocblas_diagonal_iiT1_lPT2_llSB_llPT3_lli
                                        ; -- End function
	.set _ZL23rocblas_trmm_lNx_kernelILi16E19rocblas_complex_numIdEPKS1_KS3_KPS1_Ev13rocblas_fill_17rocblas_diagonal_iiT1_lPT2_llSB_llPT3_lli.num_vgpr, 61
	.set _ZL23rocblas_trmm_lNx_kernelILi16E19rocblas_complex_numIdEPKS1_KS3_KPS1_Ev13rocblas_fill_17rocblas_diagonal_iiT1_lPT2_llSB_llPT3_lli.num_agpr, 0
	.set _ZL23rocblas_trmm_lNx_kernelILi16E19rocblas_complex_numIdEPKS1_KS3_KPS1_Ev13rocblas_fill_17rocblas_diagonal_iiT1_lPT2_llSB_llPT3_lli.numbered_sgpr, 40
	.set _ZL23rocblas_trmm_lNx_kernelILi16E19rocblas_complex_numIdEPKS1_KS3_KPS1_Ev13rocblas_fill_17rocblas_diagonal_iiT1_lPT2_llSB_llPT3_lli.num_named_barrier, 0
	.set _ZL23rocblas_trmm_lNx_kernelILi16E19rocblas_complex_numIdEPKS1_KS3_KPS1_Ev13rocblas_fill_17rocblas_diagonal_iiT1_lPT2_llSB_llPT3_lli.private_seg_size, 0
	.set _ZL23rocblas_trmm_lNx_kernelILi16E19rocblas_complex_numIdEPKS1_KS3_KPS1_Ev13rocblas_fill_17rocblas_diagonal_iiT1_lPT2_llSB_llPT3_lli.uses_vcc, 1
	.set _ZL23rocblas_trmm_lNx_kernelILi16E19rocblas_complex_numIdEPKS1_KS3_KPS1_Ev13rocblas_fill_17rocblas_diagonal_iiT1_lPT2_llSB_llPT3_lli.uses_flat_scratch, 0
	.set _ZL23rocblas_trmm_lNx_kernelILi16E19rocblas_complex_numIdEPKS1_KS3_KPS1_Ev13rocblas_fill_17rocblas_diagonal_iiT1_lPT2_llSB_llPT3_lli.has_dyn_sized_stack, 0
	.set _ZL23rocblas_trmm_lNx_kernelILi16E19rocblas_complex_numIdEPKS1_KS3_KPS1_Ev13rocblas_fill_17rocblas_diagonal_iiT1_lPT2_llSB_llPT3_lli.has_recursion, 0
	.set _ZL23rocblas_trmm_lNx_kernelILi16E19rocblas_complex_numIdEPKS1_KS3_KPS1_Ev13rocblas_fill_17rocblas_diagonal_iiT1_lPT2_llSB_llPT3_lli.has_indirect_call, 0
	.section	.AMDGPU.csdata,"",@progbits
; Kernel info:
; codeLenInByte = 2024
; TotalNumSgprs: 42
; NumVgprs: 61
; ScratchSize: 0
; MemoryBound: 0
; FloatMode: 240
; IeeeMode: 1
; LDSByteSize: 8192 bytes/workgroup (compile time only)
; SGPRBlocks: 0
; VGPRBlocks: 7
; NumSGPRsForWavesPerEU: 42
; NumVGPRsForWavesPerEU: 61
; Occupancy: 16
; WaveLimiterHint : 1
; COMPUTE_PGM_RSRC2:SCRATCH_EN: 0
; COMPUTE_PGM_RSRC2:USER_SGPR: 2
; COMPUTE_PGM_RSRC2:TRAP_HANDLER: 0
; COMPUTE_PGM_RSRC2:TGID_X_EN: 1
; COMPUTE_PGM_RSRC2:TGID_Y_EN: 0
; COMPUTE_PGM_RSRC2:TGID_Z_EN: 1
; COMPUTE_PGM_RSRC2:TIDIG_COMP_CNT: 1
	.section	.text._ZL23rocblas_trmm_lNx_kernelILi16E19rocblas_complex_numIdES1_KPKS1_KPS1_Ev13rocblas_fill_17rocblas_diagonal_iiT1_lPT2_llSB_llPT3_lli,"axG",@progbits,_ZL23rocblas_trmm_lNx_kernelILi16E19rocblas_complex_numIdES1_KPKS1_KPS1_Ev13rocblas_fill_17rocblas_diagonal_iiT1_lPT2_llSB_llPT3_lli,comdat
	.globl	_ZL23rocblas_trmm_lNx_kernelILi16E19rocblas_complex_numIdES1_KPKS1_KPS1_Ev13rocblas_fill_17rocblas_diagonal_iiT1_lPT2_llSB_llPT3_lli ; -- Begin function _ZL23rocblas_trmm_lNx_kernelILi16E19rocblas_complex_numIdES1_KPKS1_KPS1_Ev13rocblas_fill_17rocblas_diagonal_iiT1_lPT2_llSB_llPT3_lli
	.p2align	8
	.type	_ZL23rocblas_trmm_lNx_kernelILi16E19rocblas_complex_numIdES1_KPKS1_KPS1_Ev13rocblas_fill_17rocblas_diagonal_iiT1_lPT2_llSB_llPT3_lli,@function
_ZL23rocblas_trmm_lNx_kernelILi16E19rocblas_complex_numIdES1_KPKS1_KPS1_Ev13rocblas_fill_17rocblas_diagonal_iiT1_lPT2_llSB_llPT3_lli: ; @_ZL23rocblas_trmm_lNx_kernelILi16E19rocblas_complex_numIdES1_KPKS1_KPS1_Ev13rocblas_fill_17rocblas_diagonal_iiT1_lPT2_llSB_llPT3_lli
; %bb.0:
	s_load_b32 s33, s[0:1], 0x70
	s_lshr_b32 s6, ttmp7, 16
	s_wait_kmcnt 0x0
	s_cmp_ge_u32 s6, s33
	s_cbranch_scc1 .LBB181_19
; %bb.1:
	s_clause 0x2
	s_load_b256 s[24:31], s[0:1], 0x0
	s_load_b512 s[8:23], s[0:1], 0x28
	s_load_b64 s[34:35], s[0:1], 0x68
	v_bfe_u32 v17, v0, 10, 10
	s_mov_b32 s7, 0
	s_delay_alu instid0(VALU_DEP_1)
	v_dual_mov_b32 v1, 0x3ff00000 :: v_dual_lshlrev_b32 v2, 4, v17
	v_lshl_add_u32 v13, v17, 8, 0x1000
	s_wait_kmcnt 0x0
	v_cmp_neq_f64_e64 s4, s[28:29], 0
	v_cmp_neq_f64_e64 s5, s[30:31], 0
	v_mad_co_u64_u32 v[8:9], null, s22, v17, 0
	v_and_b32_e32 v18, 0x3ff, v0
	v_mad_co_u64_u32 v[6:7], null, s16, v17, 0
	s_add_co_i32 s3, s27, -1
	v_cmp_gt_i32_e64 s2, s26, v17
	v_dual_mov_b32 v0, 0 :: v_dual_mov_b32 v5, v9
	v_add_lshl_u32 v15, v2, v18, 4
	v_mad_co_u64_u32 v[2:3], null, s10, v17, 0
	s_ashr_i32 s10, s3, 31
	v_mov_b32_e32 v4, v7
	s_wait_alu 0xfffe
	s_lshr_b32 s10, s10, 28
	v_cmp_eq_u32_e32 vcc_lo, v17, v18
	s_wait_alu 0xfffe
	s_add_co_i32 s10, s3, s10
	v_cmp_gt_i32_e64 s3, s26, v18
	v_mad_co_u64_u32 v[9:10], null, s11, v17, v[3:4]
	s_wait_alu 0xfffe
	s_and_b32 s11, s10, -16
	s_ashr_i32 s10, s10, 4
	s_wait_alu 0xfffe
	s_sub_co_i32 s11, s27, s11
	v_mad_co_u64_u32 v[10:11], null, s17, v17, v[4:5]
	v_mad_co_u64_u32 v[4:5], null, s23, v17, v[5:6]
	v_lshlrev_b32_e32 v12, 4, v18
	v_dual_mov_b32 v3, v9 :: v_dual_lshlrev_b32 v14, 4, v18
	v_cmp_lt_u32_e64 s0, v18, v17
	v_mov_b32_e32 v7, v10
	v_cmp_gt_u32_e64 s1, v18, v17
	v_mov_b32_e32 v9, v4
	v_lshlrev_b64_e32 v[4:5], 4, v[2:3]
	v_add_nc_u32_e32 v16, 0x1000, v15
	v_lshlrev_b64_e32 v[6:7], 4, v[6:7]
	s_or_b32 s26, s4, s5
	s_cmp_ge_i32 ttmp9, s10
	v_lshlrev_b64_e32 v[8:9], 4, v[8:9]
	s_wait_alu 0xfffe
	s_cselect_b32 s4, s11, 16
	s_lshl_b32 s10, ttmp9, 4
	v_cmp_gt_i32_e64 s4, s4, v17
	s_and_b32 s27, s2, s3
	s_wait_alu 0xfffe
	s_ashr_i32 s11, s10, 31
	s_wait_alu 0xfffe
	s_mul_u64 s[16:17], s[16:17], s[10:11]
	s_and_b32 s36, s3, s4
	s_cmp_eq_u32 s25, 0x84
	s_mul_u64 s[38:39], s[22:23], s[10:11]
	s_cselect_b32 s2, -1, 0
	s_delay_alu instid0(SALU_CYCLE_1)
	s_and_b32 s25, vcc_lo, s2
	s_cmp_lg_u32 s24, 0x79
	s_cselect_b32 s22, -1, 0
	s_lshl_b64 s[2:3], s[12:13], 4
	s_lshl_b64 s[4:5], s[18:19], 4
	s_wait_alu 0xfffe
	s_lshl_b64 s[10:11], s[16:17], 4
	s_lshl_b64 s[12:13], s[34:35], 4
	;; [unrolled: 1-line block ×3, first 2 shown]
	s_branch .LBB181_4
.LBB181_2:                              ;   in Loop: Header=BB181_4 Depth=1
	s_or_b32 exec_lo, exec_lo, s18
.LBB181_3:                              ;   in Loop: Header=BB181_4 Depth=1
	s_add_co_i32 s6, s6, 0x10000
	s_delay_alu instid0(SALU_CYCLE_1)
	s_cmp_lt_u32 s6, s33
	s_cbranch_scc0 .LBB181_19
.LBB181_4:                              ; =>This Inner Loop Header: Depth=1
	s_and_not1_b32 vcc_lo, exec_lo, s26
	s_wait_alu 0xfffe
	s_cbranch_vccnz .LBB181_3
; %bb.5:                                ;   in Loop: Header=BB181_4 Depth=1
	s_lshl_b64 s[18:19], s[6:7], 3
	s_mov_b32 s40, s7
	s_add_nc_u64 s[34:35], s[14:15], s[18:19]
	s_add_nc_u64 s[38:39], s[20:21], s[18:19]
	s_clause 0x1
	global_load_b64 v[2:3], v0, s[34:35]
	global_load_b64 v[10:11], v0, s[38:39]
	s_mov_b32 s41, s7
	s_mov_b32 s42, s7
	;; [unrolled: 1-line block ×3, first 2 shown]
	s_wait_alu 0xfffe
	v_dual_mov_b32 v17, s40 :: v_dual_mov_b32 v18, s41
	v_dual_mov_b32 v19, s42 :: v_dual_mov_b32 v20, s43
	ds_store_b128 v15, v[17:20]
	ds_store_b128 v16, v[17:20]
	s_and_saveexec_b32 s23, s27
	s_cbranch_execnz .LBB181_10
; %bb.6:                                ;   in Loop: Header=BB181_4 Depth=1
	s_wait_alu 0xfffe
	s_or_b32 exec_lo, exec_lo, s23
	s_and_saveexec_b32 s18, s36
	s_cbranch_execnz .LBB181_11
.LBB181_7:                              ;   in Loop: Header=BB181_4 Depth=1
	s_or_b32 exec_lo, exec_lo, s18
	s_and_saveexec_b32 s18, s25
	s_cbranch_execnz .LBB181_12
.LBB181_8:                              ;   in Loop: Header=BB181_4 Depth=1
	s_or_b32 exec_lo, exec_lo, s18
	s_delay_alu instid0(SALU_CYCLE_1)
	s_and_b32 vcc_lo, exec_lo, s22
	s_wait_alu 0xfffe
	s_cbranch_vccz .LBB181_13
.LBB181_9:                              ;   in Loop: Header=BB181_4 Depth=1
	s_and_b32 s18, s0, exec_lo
	s_cbranch_execz .LBB181_14
	s_branch .LBB181_15
.LBB181_10:                             ;   in Loop: Header=BB181_4 Depth=1
	s_add_nc_u64 s[18:19], s[8:9], s[18:19]
	global_load_b64 v[17:18], v0, s[18:19]
	s_wait_loadcnt 0x0
	v_add_co_u32 v17, vcc_lo, v17, s2
	s_wait_alu 0xfffd
	v_add_co_ci_u32_e64 v18, null, s3, v18, vcc_lo
	s_delay_alu instid0(VALU_DEP_2) | instskip(SKIP_1) | instid1(VALU_DEP_2)
	v_add_co_u32 v17, vcc_lo, v17, v4
	s_wait_alu 0xfffd
	v_add_co_ci_u32_e64 v18, null, v18, v5, vcc_lo
	s_delay_alu instid0(VALU_DEP_2) | instskip(SKIP_1) | instid1(VALU_DEP_2)
	v_add_co_u32 v17, vcc_lo, v17, v14
	s_wait_alu 0xfffd
	v_add_co_ci_u32_e64 v18, null, 0, v18, vcc_lo
	flat_load_b128 v[17:20], v[17:18]
	s_wait_loadcnt_dscnt 0x0
	ds_store_2addr_b64 v15, v[17:18], v[19:20] offset1:1
	s_wait_alu 0xfffe
	s_or_b32 exec_lo, exec_lo, s23
	s_and_saveexec_b32 s18, s36
	s_cbranch_execz .LBB181_7
.LBB181_11:                             ;   in Loop: Header=BB181_4 Depth=1
	s_wait_loadcnt 0x1
	v_add_co_u32 v2, vcc_lo, v2, s4
	s_wait_alu 0xfffd
	v_add_co_ci_u32_e64 v3, null, s5, v3, vcc_lo
	s_delay_alu instid0(VALU_DEP_2) | instskip(SKIP_1) | instid1(VALU_DEP_2)
	v_add_co_u32 v2, vcc_lo, v2, s10
	s_wait_alu 0xfffd
	v_add_co_ci_u32_e64 v3, null, s11, v3, vcc_lo
	s_delay_alu instid0(VALU_DEP_2) | instskip(SKIP_1) | instid1(VALU_DEP_2)
	;; [unrolled: 4-line block ×3, first 2 shown]
	v_add_co_u32 v2, vcc_lo, v2, v14
	s_wait_alu 0xfffd
	v_add_co_ci_u32_e64 v3, null, 0, v3, vcc_lo
	flat_load_b128 v[17:20], v[2:3]
	s_wait_loadcnt_dscnt 0x0
	ds_store_2addr_b64 v16, v[17:18], v[19:20] offset1:1
	s_or_b32 exec_lo, exec_lo, s18
	s_and_saveexec_b32 s18, s25
	s_cbranch_execz .LBB181_8
.LBB181_12:                             ;   in Loop: Header=BB181_4 Depth=1
	s_wait_loadcnt 0x1
	v_dual_mov_b32 v2, v0 :: v_dual_mov_b32 v3, v0
	ds_store_b128 v15, v[0:3]
	s_or_b32 exec_lo, exec_lo, s18
	s_delay_alu instid0(SALU_CYCLE_1)
	s_and_b32 vcc_lo, exec_lo, s22
	s_wait_alu 0xfffe
	s_cbranch_vccnz .LBB181_9
.LBB181_13:                             ;   in Loop: Header=BB181_4 Depth=1
	s_mov_b32 s18, 0
.LBB181_14:                             ;   in Loop: Header=BB181_4 Depth=1
	s_delay_alu instid0(SALU_CYCLE_1) | instskip(SKIP_1) | instid1(SALU_CYCLE_1)
	s_and_not1_b32 s18, s18, exec_lo
	s_and_b32 s19, s1, exec_lo
	s_or_b32 s18, s18, s19
.LBB181_15:                             ;   in Loop: Header=BB181_4 Depth=1
	s_delay_alu instid0(SALU_CYCLE_1)
	s_and_saveexec_b32 s19, s18
; %bb.16:                               ;   in Loop: Header=BB181_4 Depth=1
	v_dual_mov_b32 v17, v0 :: v_dual_mov_b32 v18, v0
	v_dual_mov_b32 v19, v0 :: v_dual_mov_b32 v20, v0
	ds_store_b128 v15, v[17:20]
; %bb.17:                               ;   in Loop: Header=BB181_4 Depth=1
	s_or_b32 exec_lo, exec_lo, s19
	s_wait_loadcnt_dscnt 0x0
	s_barrier_signal -1
	s_barrier_wait -1
	global_inv scope:SCOPE_SE
	s_and_saveexec_b32 s18, s36
	s_cbranch_execz .LBB181_2
; %bb.18:                               ;   in Loop: Header=BB181_4 Depth=1
	ds_load_b128 v[17:20], v12
	ds_load_b128 v[21:24], v13
	ds_load_b128 v[25:28], v13 offset:16
	ds_load_b128 v[29:32], v12 offset:256
	;; [unrolled: 1-line block ×6, first 2 shown]
	s_wait_dscnt 0x6
	v_mul_f64_e32 v[2:3], v[21:22], v[19:20]
	v_mul_f64_e32 v[19:20], v[23:24], v[19:20]
	s_wait_dscnt 0x4
	v_mul_f64_e32 v[49:50], v[25:26], v[31:32]
	v_mul_f64_e32 v[31:32], v[27:28], v[31:32]
	s_delay_alu instid0(VALU_DEP_4) | instskip(SKIP_2) | instid1(VALU_DEP_4)
	v_fma_f64 v[2:3], v[23:24], v[17:18], v[2:3]
	s_wait_dscnt 0x2
	v_mul_f64_e32 v[23:24], v[37:38], v[35:36]
	v_fma_f64 v[27:28], v[27:28], v[29:30], v[49:50]
	v_fma_f64 v[17:18], v[21:22], v[17:18], -v[19:20]
	s_wait_dscnt 0x0
	v_mul_f64_e32 v[49:50], v[41:42], v[47:48]
	v_mul_f64_e32 v[35:36], v[39:40], v[35:36]
	v_fma_f64 v[51:52], v[25:26], v[29:30], -v[31:32]
	v_mul_f64_e32 v[47:48], v[43:44], v[47:48]
	v_add_f64_e32 v[2:3], 0, v[2:3]
	v_fma_f64 v[39:40], v[39:40], v[33:34], v[23:24]
	v_add_f64_e32 v[53:54], 0, v[17:18]
	v_fma_f64 v[43:44], v[43:44], v[45:46], v[49:50]
	v_fma_f64 v[33:34], v[37:38], v[33:34], -v[35:36]
	v_add_f64_e32 v[2:3], v[2:3], v[27:28]
	ds_load_b128 v[17:20], v12 offset:1024
	ds_load_b128 v[21:24], v13 offset:64
	ds_load_b128 v[25:28], v13 offset:80
	ds_load_b128 v[29:32], v12 offset:1280
	v_add_f64_e32 v[35:36], v[53:54], v[51:52]
	v_fma_f64 v[51:52], v[41:42], v[45:46], -v[47:48]
	s_wait_dscnt 0x2
	v_mul_f64_e32 v[55:56], v[21:22], v[19:20]
	v_mul_f64_e32 v[19:20], v[23:24], v[19:20]
	s_wait_dscnt 0x0
	v_mul_f64_e32 v[49:50], v[25:26], v[31:32]
	v_mul_f64_e32 v[31:32], v[27:28], v[31:32]
	v_add_f64_e32 v[2:3], v[2:3], v[39:40]
	v_add_f64_e32 v[53:54], v[35:36], v[33:34]
	v_fma_f64 v[23:24], v[23:24], v[17:18], v[55:56]
	v_fma_f64 v[17:18], v[21:22], v[17:18], -v[19:20]
	v_fma_f64 v[27:28], v[27:28], v[29:30], v[49:50]
	v_add_f64_e32 v[2:3], v[2:3], v[43:44]
	ds_load_b128 v[33:36], v12 offset:1536
	ds_load_b128 v[37:40], v13 offset:96
	ds_load_b128 v[41:44], v13 offset:112
	ds_load_b128 v[45:48], v12 offset:1792
	v_add_f64_e32 v[19:20], v[53:54], v[51:52]
	v_fma_f64 v[51:52], v[25:26], v[29:30], -v[31:32]
	s_wait_dscnt 0x2
	v_mul_f64_e32 v[55:56], v[37:38], v[35:36]
	v_mul_f64_e32 v[35:36], v[39:40], v[35:36]
	s_wait_dscnt 0x0
	v_mul_f64_e32 v[49:50], v[41:42], v[47:48]
	v_mul_f64_e32 v[47:48], v[43:44], v[47:48]
	v_add_f64_e32 v[2:3], v[2:3], v[23:24]
	v_add_f64_e32 v[53:54], v[19:20], v[17:18]
	v_fma_f64 v[39:40], v[39:40], v[33:34], v[55:56]
	v_fma_f64 v[33:34], v[37:38], v[33:34], -v[35:36]
	v_fma_f64 v[43:44], v[43:44], v[45:46], v[49:50]
	;; [unrolled: 18-line block ×5, first 2 shown]
	v_fma_f64 v[25:26], v[25:26], v[29:30], -v[31:32]
	v_add_f64_e32 v[2:3], v[2:3], v[43:44]
	ds_load_b128 v[33:36], v12 offset:3584
	ds_load_b128 v[37:40], v13 offset:224
	;; [unrolled: 1-line block ×4, first 2 shown]
	v_add_f64_e32 v[19:20], v[53:54], v[51:52]
	s_wait_dscnt 0x2
	v_mul_f64_e32 v[55:56], v[37:38], v[35:36]
	s_wait_dscnt 0x0
	v_mul_f64_e32 v[21:22], v[41:42], v[47:48]
	v_add_f64_e32 v[2:3], v[2:3], v[23:24]
	v_mul_f64_e32 v[23:24], v[39:40], v[35:36]
	v_add_f64_e32 v[17:18], v[19:20], v[17:18]
	v_mul_f64_e32 v[19:20], v[43:44], v[47:48]
	v_fma_f64 v[35:36], v[39:40], v[33:34], v[55:56]
	v_fma_f64 v[21:22], v[43:44], v[45:46], v[21:22]
	v_add_f64_e32 v[2:3], v[2:3], v[27:28]
	v_fma_f64 v[23:24], v[37:38], v[33:34], -v[23:24]
	v_add_f64_e32 v[17:18], v[17:18], v[25:26]
	v_fma_f64 v[19:20], v[41:42], v[45:46], -v[19:20]
	s_delay_alu instid0(VALU_DEP_4) | instskip(NEXT) | instid1(VALU_DEP_3)
	v_add_f64_e32 v[2:3], v[2:3], v[35:36]
	v_add_f64_e32 v[17:18], v[17:18], v[23:24]
	s_delay_alu instid0(VALU_DEP_2) | instskip(NEXT) | instid1(VALU_DEP_2)
	v_add_f64_e32 v[2:3], v[2:3], v[21:22]
	v_add_f64_e32 v[17:18], v[17:18], v[19:20]
	s_delay_alu instid0(VALU_DEP_2) | instskip(SKIP_1) | instid1(VALU_DEP_2)
	v_mul_f64_e32 v[19:20], s[28:29], v[2:3]
	v_mul_f64_e32 v[2:3], s[30:31], v[2:3]
	v_fma_f64 v[19:20], s[30:31], v[17:18], v[19:20]
	s_delay_alu instid0(VALU_DEP_2) | instskip(SKIP_3) | instid1(VALU_DEP_2)
	v_fma_f64 v[17:18], s[28:29], v[17:18], -v[2:3]
	v_add_co_u32 v2, vcc_lo, v10, s12
	s_wait_alu 0xfffd
	v_add_co_ci_u32_e64 v3, null, s13, v11, vcc_lo
	v_add_co_u32 v2, vcc_lo, v2, s16
	s_wait_alu 0xfffd
	s_delay_alu instid0(VALU_DEP_2) | instskip(NEXT) | instid1(VALU_DEP_2)
	v_add_co_ci_u32_e64 v3, null, s17, v3, vcc_lo
	v_add_co_u32 v2, vcc_lo, v2, v8
	s_wait_alu 0xfffd
	s_delay_alu instid0(VALU_DEP_2) | instskip(NEXT) | instid1(VALU_DEP_2)
	v_add_co_ci_u32_e64 v3, null, v3, v9, vcc_lo
	v_add_co_u32 v2, vcc_lo, v2, v14
	s_wait_alu 0xfffd
	s_delay_alu instid0(VALU_DEP_2)
	v_add_co_ci_u32_e64 v3, null, 0, v3, vcc_lo
	flat_store_b128 v[2:3], v[17:20]
	s_branch .LBB181_2
.LBB181_19:
	s_endpgm
	.section	.rodata,"a",@progbits
	.p2align	6, 0x0
	.amdhsa_kernel _ZL23rocblas_trmm_lNx_kernelILi16E19rocblas_complex_numIdES1_KPKS1_KPS1_Ev13rocblas_fill_17rocblas_diagonal_iiT1_lPT2_llSB_llPT3_lli
		.amdhsa_group_segment_fixed_size 8192
		.amdhsa_private_segment_fixed_size 0
		.amdhsa_kernarg_size 116
		.amdhsa_user_sgpr_count 2
		.amdhsa_user_sgpr_dispatch_ptr 0
		.amdhsa_user_sgpr_queue_ptr 0
		.amdhsa_user_sgpr_kernarg_segment_ptr 1
		.amdhsa_user_sgpr_dispatch_id 0
		.amdhsa_user_sgpr_private_segment_size 0
		.amdhsa_wavefront_size32 1
		.amdhsa_uses_dynamic_stack 0
		.amdhsa_enable_private_segment 0
		.amdhsa_system_sgpr_workgroup_id_x 1
		.amdhsa_system_sgpr_workgroup_id_y 0
		.amdhsa_system_sgpr_workgroup_id_z 1
		.amdhsa_system_sgpr_workgroup_info 0
		.amdhsa_system_vgpr_workitem_id 1
		.amdhsa_next_free_vgpr 57
		.amdhsa_next_free_sgpr 44
		.amdhsa_reserve_vcc 1
		.amdhsa_float_round_mode_32 0
		.amdhsa_float_round_mode_16_64 0
		.amdhsa_float_denorm_mode_32 3
		.amdhsa_float_denorm_mode_16_64 3
		.amdhsa_fp16_overflow 0
		.amdhsa_workgroup_processor_mode 1
		.amdhsa_memory_ordered 1
		.amdhsa_forward_progress 1
		.amdhsa_inst_pref_size 16
		.amdhsa_round_robin_scheduling 0
		.amdhsa_exception_fp_ieee_invalid_op 0
		.amdhsa_exception_fp_denorm_src 0
		.amdhsa_exception_fp_ieee_div_zero 0
		.amdhsa_exception_fp_ieee_overflow 0
		.amdhsa_exception_fp_ieee_underflow 0
		.amdhsa_exception_fp_ieee_inexact 0
		.amdhsa_exception_int_div_zero 0
	.end_amdhsa_kernel
	.section	.text._ZL23rocblas_trmm_lNx_kernelILi16E19rocblas_complex_numIdES1_KPKS1_KPS1_Ev13rocblas_fill_17rocblas_diagonal_iiT1_lPT2_llSB_llPT3_lli,"axG",@progbits,_ZL23rocblas_trmm_lNx_kernelILi16E19rocblas_complex_numIdES1_KPKS1_KPS1_Ev13rocblas_fill_17rocblas_diagonal_iiT1_lPT2_llSB_llPT3_lli,comdat
.Lfunc_end181:
	.size	_ZL23rocblas_trmm_lNx_kernelILi16E19rocblas_complex_numIdES1_KPKS1_KPS1_Ev13rocblas_fill_17rocblas_diagonal_iiT1_lPT2_llSB_llPT3_lli, .Lfunc_end181-_ZL23rocblas_trmm_lNx_kernelILi16E19rocblas_complex_numIdES1_KPKS1_KPS1_Ev13rocblas_fill_17rocblas_diagonal_iiT1_lPT2_llSB_llPT3_lli
                                        ; -- End function
	.set _ZL23rocblas_trmm_lNx_kernelILi16E19rocblas_complex_numIdES1_KPKS1_KPS1_Ev13rocblas_fill_17rocblas_diagonal_iiT1_lPT2_llSB_llPT3_lli.num_vgpr, 57
	.set _ZL23rocblas_trmm_lNx_kernelILi16E19rocblas_complex_numIdES1_KPKS1_KPS1_Ev13rocblas_fill_17rocblas_diagonal_iiT1_lPT2_llSB_llPT3_lli.num_agpr, 0
	.set _ZL23rocblas_trmm_lNx_kernelILi16E19rocblas_complex_numIdES1_KPKS1_KPS1_Ev13rocblas_fill_17rocblas_diagonal_iiT1_lPT2_llSB_llPT3_lli.numbered_sgpr, 44
	.set _ZL23rocblas_trmm_lNx_kernelILi16E19rocblas_complex_numIdES1_KPKS1_KPS1_Ev13rocblas_fill_17rocblas_diagonal_iiT1_lPT2_llSB_llPT3_lli.num_named_barrier, 0
	.set _ZL23rocblas_trmm_lNx_kernelILi16E19rocblas_complex_numIdES1_KPKS1_KPS1_Ev13rocblas_fill_17rocblas_diagonal_iiT1_lPT2_llSB_llPT3_lli.private_seg_size, 0
	.set _ZL23rocblas_trmm_lNx_kernelILi16E19rocblas_complex_numIdES1_KPKS1_KPS1_Ev13rocblas_fill_17rocblas_diagonal_iiT1_lPT2_llSB_llPT3_lli.uses_vcc, 1
	.set _ZL23rocblas_trmm_lNx_kernelILi16E19rocblas_complex_numIdES1_KPKS1_KPS1_Ev13rocblas_fill_17rocblas_diagonal_iiT1_lPT2_llSB_llPT3_lli.uses_flat_scratch, 0
	.set _ZL23rocblas_trmm_lNx_kernelILi16E19rocblas_complex_numIdES1_KPKS1_KPS1_Ev13rocblas_fill_17rocblas_diagonal_iiT1_lPT2_llSB_llPT3_lli.has_dyn_sized_stack, 0
	.set _ZL23rocblas_trmm_lNx_kernelILi16E19rocblas_complex_numIdES1_KPKS1_KPS1_Ev13rocblas_fill_17rocblas_diagonal_iiT1_lPT2_llSB_llPT3_lli.has_recursion, 0
	.set _ZL23rocblas_trmm_lNx_kernelILi16E19rocblas_complex_numIdES1_KPKS1_KPS1_Ev13rocblas_fill_17rocblas_diagonal_iiT1_lPT2_llSB_llPT3_lli.has_indirect_call, 0
	.section	.AMDGPU.csdata,"",@progbits
; Kernel info:
; codeLenInByte = 1996
; TotalNumSgprs: 46
; NumVgprs: 57
; ScratchSize: 0
; MemoryBound: 0
; FloatMode: 240
; IeeeMode: 1
; LDSByteSize: 8192 bytes/workgroup (compile time only)
; SGPRBlocks: 0
; VGPRBlocks: 7
; NumSGPRsForWavesPerEU: 46
; NumVGPRsForWavesPerEU: 57
; Occupancy: 16
; WaveLimiterHint : 1
; COMPUTE_PGM_RSRC2:SCRATCH_EN: 0
; COMPUTE_PGM_RSRC2:USER_SGPR: 2
; COMPUTE_PGM_RSRC2:TRAP_HANDLER: 0
; COMPUTE_PGM_RSRC2:TGID_X_EN: 1
; COMPUTE_PGM_RSRC2:TGID_Y_EN: 0
; COMPUTE_PGM_RSRC2:TGID_Z_EN: 1
; COMPUTE_PGM_RSRC2:TIDIG_COMP_CNT: 1
	.section	.text._ZL23rocblas_trmm_lTx_kernelILi16ELb0E19rocblas_complex_numIdEPKS1_KS3_KPS1_Ev13rocblas_fill_17rocblas_diagonal_iiT2_lPT3_llSB_llPT4_lli,"axG",@progbits,_ZL23rocblas_trmm_lTx_kernelILi16ELb0E19rocblas_complex_numIdEPKS1_KS3_KPS1_Ev13rocblas_fill_17rocblas_diagonal_iiT2_lPT3_llSB_llPT4_lli,comdat
	.globl	_ZL23rocblas_trmm_lTx_kernelILi16ELb0E19rocblas_complex_numIdEPKS1_KS3_KPS1_Ev13rocblas_fill_17rocblas_diagonal_iiT2_lPT3_llSB_llPT4_lli ; -- Begin function _ZL23rocblas_trmm_lTx_kernelILi16ELb0E19rocblas_complex_numIdEPKS1_KS3_KPS1_Ev13rocblas_fill_17rocblas_diagonal_iiT2_lPT3_llSB_llPT4_lli
	.p2align	8
	.type	_ZL23rocblas_trmm_lTx_kernelILi16ELb0E19rocblas_complex_numIdEPKS1_KS3_KPS1_Ev13rocblas_fill_17rocblas_diagonal_iiT2_lPT3_llSB_llPT4_lli,@function
_ZL23rocblas_trmm_lTx_kernelILi16ELb0E19rocblas_complex_numIdEPKS1_KS3_KPS1_Ev13rocblas_fill_17rocblas_diagonal_iiT2_lPT3_llSB_llPT4_lli: ; @_ZL23rocblas_trmm_lTx_kernelILi16ELb0E19rocblas_complex_numIdEPKS1_KS3_KPS1_Ev13rocblas_fill_17rocblas_diagonal_iiT2_lPT3_llSB_llPT4_lli
; %bb.0:
	s_load_b32 s3, s[0:1], 0x68
	s_lshr_b32 s28, ttmp7, 16
	s_wait_kmcnt 0x0
	s_cmp_ge_u32 s28, s3
	s_cbranch_scc1 .LBB182_19
; %bb.1:
	s_clause 0x3
	s_load_b128 s[24:27], s[0:1], 0x0
	s_load_b512 s[4:19], s[0:1], 0x10
	s_load_b128 s[20:23], s[0:1], 0x50
	s_load_b64 s[30:31], s[0:1], 0x60
	v_bfe_u32 v10, v0, 10, 10
	v_and_b32_e32 v14, 0x3ff, v0
	v_mov_b32_e32 v0, 0
	s_mov_b32 s29, 0
	s_delay_alu instid0(VALU_DEP_3) | instskip(NEXT) | instid1(VALU_DEP_3)
	v_lshlrev_b32_e32 v11, 4, v10
	v_cmp_eq_u32_e32 vcc_lo, v10, v14
	v_lshl_add_u32 v22, v10, 8, 0x1000
	v_lshlrev_b32_e32 v21, 4, v14
	v_lshlrev_b32_e32 v23, 4, v14
	v_add_lshl_u32 v18, v11, v14, 4
	v_lshl_add_u32 v20, v14, 8, v11
	s_wait_kmcnt 0x0
	s_add_co_i32 s2, s27, -1
	v_mad_co_u64_u32 v[1:2], null, s10, v10, 0
	v_mad_co_u64_u32 v[3:4], null, s16, v10, 0
	v_cmp_gt_i32_e64 s0, s26, v10
	v_cmp_gt_i32_e64 s1, s26, v14
	s_ashr_i32 s26, s2, 31
	v_mad_co_u64_u32 v[5:6], null, s22, v10, 0
	s_wait_alu 0xfffe
	s_lshr_b32 s10, s26, 28
	v_mad_co_u64_u32 v[7:8], null, s11, v10, v[2:3]
	s_wait_alu 0xfffe
	s_add_co_i32 s2, s2, s10
	v_add_nc_u32_e32 v19, 0x1000, v18
	s_ashr_i32 s10, s2, 4
	s_and_b32 s2, s2, -16
	v_mad_co_u64_u32 v[8:9], null, s17, v10, v[4:5]
	s_sub_co_i32 s2, s27, s2
	s_wait_alu 0xfffe
	s_cmp_ge_i32 ttmp9, s10
	v_mov_b32_e32 v4, v6
	s_cselect_b32 s2, s2, 16
	s_and_b32 s26, s0, s1
	v_cmp_gt_i32_e64 s0, s2, v10
	v_mov_b32_e32 v2, v7
	v_mad_co_u64_u32 v[6:7], null, s23, v10, v[4:5]
	s_lshl_b32 s10, ttmp9, 4
	s_and_b32 s27, s1, s0
	s_wait_alu 0xfffe
	s_ashr_i32 s11, s10, 31
	v_mov_b32_e32 v4, v8
	s_cmp_eq_u32 s25, 0x84
	v_cmp_gt_u32_e64 s1, v14, v10
	s_cselect_b32 s0, -1, 0
	v_lshlrev_b64_e32 v[8:9], 4, v[1:2]
	s_and_b32 s25, vcc_lo, s0
	v_cmp_lt_u32_e64 s0, v14, v10
	v_lshlrev_b64_e32 v[10:11], 4, v[3:4]
	v_lshlrev_b64_e32 v[12:13], 4, v[5:6]
	v_mov_b32_e32 v1, 0x3ff00000
	s_wait_alu 0xfffe
	s_mul_u64 s[16:17], s[16:17], s[10:11]
	s_mul_u64 s[34:35], s[22:23], s[10:11]
	s_cmp_lg_u32 s24, 0x7a
	s_cselect_b32 s24, -1, 0
	s_lshl_b64 s[10:11], s[12:13], 4
	s_lshl_b64 s[12:13], s[18:19], 4
	s_wait_alu 0xfffe
	s_lshl_b64 s[16:17], s[16:17], 4
	s_lshl_b64 s[18:19], s[30:31], 4
	;; [unrolled: 1-line block ×3, first 2 shown]
	s_branch .LBB182_4
.LBB182_2:                              ;   in Loop: Header=BB182_4 Depth=1
	s_wait_alu 0xfffe
	s_or_b32 exec_lo, exec_lo, s2
.LBB182_3:                              ;   in Loop: Header=BB182_4 Depth=1
	s_add_co_i32 s28, s28, 0x10000
	s_delay_alu instid0(SALU_CYCLE_1)
	s_cmp_lt_u32 s28, s3
	s_cbranch_scc0 .LBB182_19
.LBB182_4:                              ; =>This Inner Loop Header: Depth=1
	s_mul_u64 s[30:31], s[6:7], s[28:29]
	s_delay_alu instid0(SALU_CYCLE_1) | instskip(NEXT) | instid1(SALU_CYCLE_1)
	s_lshl_b64 s[30:31], s[30:31], 4
	s_add_nc_u64 s[30:31], s[4:5], s[30:31]
	global_load_b128 v[4:7], v0, s[30:31]
	s_wait_loadcnt 0x0
	v_cmp_neq_f64_e32 vcc_lo, 0, v[4:5]
	v_cmp_neq_f64_e64 s2, 0, v[6:7]
	s_or_b32 s2, vcc_lo, s2
	s_wait_alu 0xfffe
	s_and_not1_b32 vcc_lo, exec_lo, s2
	s_wait_alu 0xfffe
	s_cbranch_vccnz .LBB182_3
; %bb.5:                                ;   in Loop: Header=BB182_4 Depth=1
	s_lshl_b64 s[30:31], s[28:29], 3
	s_mov_b32 s38, s29
	s_add_nc_u64 s[34:35], s[8:9], s[30:31]
	s_add_nc_u64 s[36:37], s[14:15], s[30:31]
	s_add_nc_u64 s[30:31], s[20:21], s[30:31]
	s_clause 0x2
	global_load_b64 v[16:17], v0, s[34:35]
	global_load_b64 v[2:3], v0, s[36:37]
	;; [unrolled: 1-line block ×3, first 2 shown]
	s_mov_b32 s36, s29
	s_mov_b32 s37, s29
	;; [unrolled: 1-line block ×3, first 2 shown]
	s_wait_alu 0xfffe
	v_dual_mov_b32 v24, s36 :: v_dual_mov_b32 v25, s37
	v_dual_mov_b32 v26, s38 :: v_dual_mov_b32 v27, s39
	ds_store_b128 v18, v[24:27]
	ds_store_b128 v19, v[24:27]
	s_wait_loadcnt_dscnt 0x0
	s_barrier_signal -1
	s_barrier_wait -1
	global_inv scope:SCOPE_SE
	s_and_saveexec_b32 s2, s26
	s_cbranch_execnz .LBB182_11
; %bb.6:                                ;   in Loop: Header=BB182_4 Depth=1
	s_wait_alu 0xfffe
	s_or_b32 exec_lo, exec_lo, s2
	s_and_saveexec_b32 s2, s27
	s_cbranch_execnz .LBB182_12
.LBB182_7:                              ;   in Loop: Header=BB182_4 Depth=1
	s_wait_alu 0xfffe
	s_or_b32 exec_lo, exec_lo, s2
	s_and_saveexec_b32 s2, s25
.LBB182_8:                              ;   in Loop: Header=BB182_4 Depth=1
	v_dual_mov_b32 v2, v0 :: v_dual_mov_b32 v3, v0
	ds_store_b128 v18, v[0:3]
.LBB182_9:                              ;   in Loop: Header=BB182_4 Depth=1
	s_wait_alu 0xfffe
	s_or_b32 exec_lo, exec_lo, s2
	s_delay_alu instid0(SALU_CYCLE_1)
	s_and_b32 vcc_lo, exec_lo, s24
	s_wait_loadcnt_dscnt 0x0
	s_barrier_signal -1
	s_barrier_wait -1
	global_inv scope:SCOPE_SE
	s_wait_alu 0xfffe
	s_cbranch_vccz .LBB182_13
; %bb.10:                               ;   in Loop: Header=BB182_4 Depth=1
	s_and_b32 s2, s0, exec_lo
	s_cbranch_execz .LBB182_14
	s_branch .LBB182_15
.LBB182_11:                             ;   in Loop: Header=BB182_4 Depth=1
	v_add_co_u32 v16, vcc_lo, v16, s10
	s_wait_alu 0xfffd
	v_add_co_ci_u32_e64 v17, null, s11, v17, vcc_lo
	s_delay_alu instid0(VALU_DEP_2) | instskip(SKIP_1) | instid1(VALU_DEP_2)
	v_add_co_u32 v16, vcc_lo, v16, v8
	s_wait_alu 0xfffd
	v_add_co_ci_u32_e64 v17, null, v17, v9, vcc_lo
	s_delay_alu instid0(VALU_DEP_2) | instskip(SKIP_1) | instid1(VALU_DEP_2)
	v_add_co_u32 v16, vcc_lo, v16, v23
	s_wait_alu 0xfffd
	v_add_co_ci_u32_e64 v17, null, 0, v17, vcc_lo
	flat_load_b128 v[24:27], v[16:17]
	s_wait_loadcnt_dscnt 0x0
	ds_store_2addr_b64 v20, v[24:25], v[26:27] offset1:1
	s_wait_alu 0xfffe
	s_or_b32 exec_lo, exec_lo, s2
	s_and_saveexec_b32 s2, s27
	s_cbranch_execz .LBB182_7
.LBB182_12:                             ;   in Loop: Header=BB182_4 Depth=1
	v_add_co_u32 v2, vcc_lo, v2, s12
	s_wait_alu 0xfffd
	v_add_co_ci_u32_e64 v3, null, s13, v3, vcc_lo
	s_delay_alu instid0(VALU_DEP_2) | instskip(SKIP_1) | instid1(VALU_DEP_2)
	v_add_co_u32 v2, vcc_lo, v2, s16
	s_wait_alu 0xfffd
	v_add_co_ci_u32_e64 v3, null, s17, v3, vcc_lo
	s_delay_alu instid0(VALU_DEP_2) | instskip(SKIP_1) | instid1(VALU_DEP_2)
	;; [unrolled: 4-line block ×3, first 2 shown]
	v_add_co_u32 v2, vcc_lo, v2, v23
	s_wait_alu 0xfffd
	v_add_co_ci_u32_e64 v3, null, 0, v3, vcc_lo
	flat_load_b128 v[24:27], v[2:3]
	s_wait_loadcnt_dscnt 0x0
	ds_store_2addr_b64 v19, v[24:25], v[26:27] offset1:1
	s_wait_alu 0xfffe
	s_or_b32 exec_lo, exec_lo, s2
	s_and_saveexec_b32 s2, s25
	s_cbranch_execnz .LBB182_8
	s_branch .LBB182_9
.LBB182_13:                             ;   in Loop: Header=BB182_4 Depth=1
	s_mov_b32 s2, 0
.LBB182_14:                             ;   in Loop: Header=BB182_4 Depth=1
	s_wait_alu 0xfffe
	s_and_not1_b32 s2, s2, exec_lo
	s_and_b32 s30, s1, exec_lo
	s_wait_alu 0xfffe
	s_or_b32 s2, s2, s30
.LBB182_15:                             ;   in Loop: Header=BB182_4 Depth=1
	s_wait_alu 0xfffe
	s_and_saveexec_b32 s30, s2
; %bb.16:                               ;   in Loop: Header=BB182_4 Depth=1
	v_dual_mov_b32 v24, v0 :: v_dual_mov_b32 v25, v0
	v_dual_mov_b32 v26, v0 :: v_dual_mov_b32 v27, v0
	ds_store_b128 v18, v[24:27]
; %bb.17:                               ;   in Loop: Header=BB182_4 Depth=1
	s_or_b32 exec_lo, exec_lo, s30
	s_wait_loadcnt_dscnt 0x0
	s_barrier_signal -1
	s_barrier_wait -1
	global_inv scope:SCOPE_SE
	s_and_saveexec_b32 s2, s27
	s_cbranch_execz .LBB182_2
; %bb.18:                               ;   in Loop: Header=BB182_4 Depth=1
	ds_load_b128 v[24:27], v21
	ds_load_b128 v[28:31], v22
	ds_load_b128 v[32:35], v22 offset:16
	ds_load_b128 v[36:39], v21 offset:256
	;; [unrolled: 1-line block ×6, first 2 shown]
	s_wait_dscnt 0x6
	v_mul_f64_e32 v[2:3], v[28:29], v[26:27]
	v_mul_f64_e32 v[26:27], v[30:31], v[26:27]
	s_wait_dscnt 0x4
	v_mul_f64_e32 v[16:17], v[32:33], v[38:39]
	v_mul_f64_e32 v[38:39], v[34:35], v[38:39]
	;; [unrolled: 3-line block ×3, first 2 shown]
	v_fma_f64 v[2:3], v[30:31], v[24:25], v[2:3]
	v_mul_f64_e32 v[30:31], v[44:45], v[42:43]
	v_fma_f64 v[16:17], v[34:35], v[36:37], v[16:17]
	v_fma_f64 v[24:25], v[28:29], v[24:25], -v[26:27]
	v_mul_f64_e32 v[42:43], v[46:47], v[42:43]
	v_fma_f64 v[58:59], v[32:33], v[36:37], -v[38:39]
	v_fma_f64 v[50:51], v[50:51], v[52:53], v[56:57]
	v_add_f64_e32 v[2:3], 0, v[2:3]
	v_fma_f64 v[46:47], v[46:47], v[40:41], v[30:31]
	v_add_f64_e32 v[60:61], 0, v[24:25]
	ds_load_b128 v[24:27], v21 offset:1024
	ds_load_b128 v[28:31], v22 offset:64
	;; [unrolled: 1-line block ×4, first 2 shown]
	v_fma_f64 v[40:41], v[44:45], v[40:41], -v[42:43]
	s_wait_dscnt 0x0
	v_mul_f64_e32 v[56:57], v[32:33], v[38:39]
	v_mul_f64_e32 v[38:39], v[34:35], v[38:39]
	v_add_f64_e32 v[2:3], v[2:3], v[16:17]
	v_mul_f64_e32 v[16:17], v[28:29], v[26:27]
	v_mul_f64_e32 v[26:27], v[30:31], v[26:27]
	v_add_f64_e32 v[42:43], v[60:61], v[58:59]
	v_fma_f64 v[34:35], v[34:35], v[36:37], v[56:57]
	v_fma_f64 v[56:57], v[32:33], v[36:37], -v[38:39]
	v_add_f64_e32 v[2:3], v[2:3], v[46:47]
	v_fma_f64 v[16:17], v[30:31], v[24:25], v[16:17]
	v_fma_f64 v[30:31], v[48:49], v[52:53], -v[54:55]
	v_add_f64_e32 v[58:59], v[42:43], v[40:41]
	v_fma_f64 v[24:25], v[28:29], v[24:25], -v[26:27]
	v_add_f64_e32 v[2:3], v[2:3], v[50:51]
	ds_load_b128 v[40:43], v21 offset:1536
	ds_load_b128 v[44:47], v22 offset:96
	;; [unrolled: 1-line block ×4, first 2 shown]
	v_add_f64_e32 v[26:27], v[58:59], v[30:31]
	s_wait_dscnt 0x2
	v_mul_f64_e32 v[60:61], v[44:45], v[42:43]
	v_mul_f64_e32 v[42:43], v[46:47], v[42:43]
	v_add_f64_e32 v[2:3], v[2:3], v[16:17]
	s_wait_dscnt 0x0
	v_mul_f64_e32 v[16:17], v[48:49], v[54:55]
	v_mul_f64_e32 v[54:55], v[50:51], v[54:55]
	v_add_f64_e32 v[58:59], v[26:27], v[24:25]
	v_fma_f64 v[46:47], v[46:47], v[40:41], v[60:61]
	v_fma_f64 v[40:41], v[44:45], v[40:41], -v[42:43]
	v_add_f64_e32 v[2:3], v[2:3], v[34:35]
	ds_load_b128 v[24:27], v21 offset:2048
	ds_load_b128 v[28:31], v22 offset:128
	;; [unrolled: 1-line block ×4, first 2 shown]
	v_fma_f64 v[16:17], v[50:51], v[52:53], v[16:17]
	v_add_f64_e32 v[42:43], v[58:59], v[56:57]
	v_fma_f64 v[58:59], v[48:49], v[52:53], -v[54:55]
	s_wait_dscnt 0x2
	v_mul_f64_e32 v[60:61], v[28:29], v[26:27]
	v_mul_f64_e32 v[26:27], v[30:31], v[26:27]
	s_wait_dscnt 0x0
	v_mul_f64_e32 v[56:57], v[32:33], v[38:39]
	v_mul_f64_e32 v[38:39], v[34:35], v[38:39]
	v_add_f64_e32 v[2:3], v[2:3], v[46:47]
	v_fma_f64 v[30:31], v[30:31], v[24:25], v[60:61]
	v_add_f64_e32 v[60:61], v[42:43], v[40:41]
	ds_load_b128 v[40:43], v21 offset:2560
	ds_load_b128 v[44:47], v22 offset:160
	;; [unrolled: 1-line block ×4, first 2 shown]
	v_fma_f64 v[34:35], v[34:35], v[36:37], v[56:57]
	v_fma_f64 v[24:25], v[28:29], v[24:25], -v[26:27]
	v_add_f64_e32 v[2:3], v[2:3], v[16:17]
	s_wait_dscnt 0x2
	v_mul_f64_e32 v[16:17], v[44:45], v[42:43]
	v_mul_f64_e32 v[42:43], v[46:47], v[42:43]
	s_wait_dscnt 0x0
	v_mul_f64_e32 v[56:57], v[48:49], v[54:55]
	v_mul_f64_e32 v[54:55], v[50:51], v[54:55]
	v_add_f64_e32 v[26:27], v[60:61], v[58:59]
	v_add_f64_e32 v[2:3], v[2:3], v[30:31]
	v_fma_f64 v[16:17], v[46:47], v[40:41], v[16:17]
	v_fma_f64 v[46:47], v[32:33], v[36:37], -v[38:39]
	v_fma_f64 v[50:51], v[50:51], v[52:53], v[56:57]
	v_fma_f64 v[40:41], v[44:45], v[40:41], -v[42:43]
	v_fma_f64 v[56:57], v[48:49], v[52:53], -v[54:55]
	v_add_f64_e32 v[58:59], v[26:27], v[24:25]
	v_add_f64_e32 v[2:3], v[2:3], v[34:35]
	ds_load_b128 v[24:27], v21 offset:3072
	ds_load_b128 v[28:31], v22 offset:192
	;; [unrolled: 1-line block ×4, first 2 shown]
	s_wait_dscnt 0x2
	v_mul_f64_e32 v[60:61], v[28:29], v[26:27]
	v_add_f64_e32 v[42:43], v[58:59], v[46:47]
	v_mul_f64_e32 v[26:27], v[30:31], v[26:27]
	v_add_f64_e32 v[2:3], v[2:3], v[16:17]
	s_wait_dscnt 0x0
	v_mul_f64_e32 v[16:17], v[32:33], v[38:39]
	v_mul_f64_e32 v[38:39], v[34:35], v[38:39]
	v_fma_f64 v[30:31], v[30:31], v[24:25], v[60:61]
	v_add_f64_e32 v[58:59], v[42:43], v[40:41]
	v_fma_f64 v[24:25], v[28:29], v[24:25], -v[26:27]
	v_add_f64_e32 v[2:3], v[2:3], v[50:51]
	ds_load_b128 v[40:43], v21 offset:3584
	ds_load_b128 v[44:47], v22 offset:224
	;; [unrolled: 1-line block ×4, first 2 shown]
	v_fma_f64 v[16:17], v[34:35], v[36:37], v[16:17]
	v_fma_f64 v[32:33], v[32:33], v[36:37], -v[38:39]
	s_wait_dscnt 0x2
	v_mul_f64_e32 v[60:61], v[44:45], v[42:43]
	v_add_f64_e32 v[26:27], v[58:59], v[56:57]
	s_wait_dscnt 0x0
	v_mul_f64_e32 v[28:29], v[48:49], v[54:55]
	v_add_f64_e32 v[2:3], v[2:3], v[30:31]
	v_mul_f64_e32 v[30:31], v[46:47], v[42:43]
	v_fma_f64 v[34:35], v[46:47], v[40:41], v[60:61]
	v_add_f64_e32 v[24:25], v[26:27], v[24:25]
	v_fma_f64 v[26:27], v[50:51], v[52:53], v[28:29]
	v_add_f64_e32 v[2:3], v[2:3], v[16:17]
	v_mul_f64_e32 v[16:17], v[50:51], v[54:55]
	v_fma_f64 v[28:29], v[44:45], v[40:41], -v[30:31]
	v_add_f64_e32 v[24:25], v[24:25], v[32:33]
	s_delay_alu instid0(VALU_DEP_4) | instskip(NEXT) | instid1(VALU_DEP_4)
	v_add_f64_e32 v[2:3], v[2:3], v[34:35]
	v_fma_f64 v[16:17], v[48:49], v[52:53], -v[16:17]
	s_delay_alu instid0(VALU_DEP_3) | instskip(NEXT) | instid1(VALU_DEP_3)
	v_add_f64_e32 v[24:25], v[24:25], v[28:29]
	v_add_f64_e32 v[2:3], v[2:3], v[26:27]
	s_delay_alu instid0(VALU_DEP_2) | instskip(NEXT) | instid1(VALU_DEP_2)
	v_add_f64_e32 v[16:17], v[24:25], v[16:17]
	v_mul_f64_e32 v[24:25], v[4:5], v[2:3]
	v_mul_f64_e32 v[2:3], v[6:7], v[2:3]
	s_delay_alu instid0(VALU_DEP_2) | instskip(NEXT) | instid1(VALU_DEP_2)
	v_fma_f64 v[6:7], v[6:7], v[16:17], v[24:25]
	v_fma_f64 v[4:5], v[4:5], v[16:17], -v[2:3]
	v_add_co_u32 v2, vcc_lo, v14, s18
	s_wait_alu 0xfffd
	v_add_co_ci_u32_e64 v3, null, s19, v15, vcc_lo
	s_delay_alu instid0(VALU_DEP_2) | instskip(SKIP_1) | instid1(VALU_DEP_2)
	v_add_co_u32 v2, vcc_lo, v2, s22
	s_wait_alu 0xfffd
	v_add_co_ci_u32_e64 v3, null, s23, v3, vcc_lo
	s_delay_alu instid0(VALU_DEP_2) | instskip(SKIP_1) | instid1(VALU_DEP_2)
	;; [unrolled: 4-line block ×3, first 2 shown]
	v_add_co_u32 v2, vcc_lo, v2, v23
	s_wait_alu 0xfffd
	v_add_co_ci_u32_e64 v3, null, 0, v3, vcc_lo
	flat_store_b128 v[2:3], v[4:7]
	s_branch .LBB182_2
.LBB182_19:
	s_endpgm
	.section	.rodata,"a",@progbits
	.p2align	6, 0x0
	.amdhsa_kernel _ZL23rocblas_trmm_lTx_kernelILi16ELb0E19rocblas_complex_numIdEPKS1_KS3_KPS1_Ev13rocblas_fill_17rocblas_diagonal_iiT2_lPT3_llSB_llPT4_lli
		.amdhsa_group_segment_fixed_size 8192
		.amdhsa_private_segment_fixed_size 0
		.amdhsa_kernarg_size 108
		.amdhsa_user_sgpr_count 2
		.amdhsa_user_sgpr_dispatch_ptr 0
		.amdhsa_user_sgpr_queue_ptr 0
		.amdhsa_user_sgpr_kernarg_segment_ptr 1
		.amdhsa_user_sgpr_dispatch_id 0
		.amdhsa_user_sgpr_private_segment_size 0
		.amdhsa_wavefront_size32 1
		.amdhsa_uses_dynamic_stack 0
		.amdhsa_enable_private_segment 0
		.amdhsa_system_sgpr_workgroup_id_x 1
		.amdhsa_system_sgpr_workgroup_id_y 0
		.amdhsa_system_sgpr_workgroup_id_z 1
		.amdhsa_system_sgpr_workgroup_info 0
		.amdhsa_system_vgpr_workitem_id 1
		.amdhsa_next_free_vgpr 62
		.amdhsa_next_free_sgpr 40
		.amdhsa_reserve_vcc 1
		.amdhsa_float_round_mode_32 0
		.amdhsa_float_round_mode_16_64 0
		.amdhsa_float_denorm_mode_32 3
		.amdhsa_float_denorm_mode_16_64 3
		.amdhsa_fp16_overflow 0
		.amdhsa_workgroup_processor_mode 1
		.amdhsa_memory_ordered 1
		.amdhsa_forward_progress 1
		.amdhsa_inst_pref_size 16
		.amdhsa_round_robin_scheduling 0
		.amdhsa_exception_fp_ieee_invalid_op 0
		.amdhsa_exception_fp_denorm_src 0
		.amdhsa_exception_fp_ieee_div_zero 0
		.amdhsa_exception_fp_ieee_overflow 0
		.amdhsa_exception_fp_ieee_underflow 0
		.amdhsa_exception_fp_ieee_inexact 0
		.amdhsa_exception_int_div_zero 0
	.end_amdhsa_kernel
	.section	.text._ZL23rocblas_trmm_lTx_kernelILi16ELb0E19rocblas_complex_numIdEPKS1_KS3_KPS1_Ev13rocblas_fill_17rocblas_diagonal_iiT2_lPT3_llSB_llPT4_lli,"axG",@progbits,_ZL23rocblas_trmm_lTx_kernelILi16ELb0E19rocblas_complex_numIdEPKS1_KS3_KPS1_Ev13rocblas_fill_17rocblas_diagonal_iiT2_lPT3_llSB_llPT4_lli,comdat
.Lfunc_end182:
	.size	_ZL23rocblas_trmm_lTx_kernelILi16ELb0E19rocblas_complex_numIdEPKS1_KS3_KPS1_Ev13rocblas_fill_17rocblas_diagonal_iiT2_lPT3_llSB_llPT4_lli, .Lfunc_end182-_ZL23rocblas_trmm_lTx_kernelILi16ELb0E19rocblas_complex_numIdEPKS1_KS3_KPS1_Ev13rocblas_fill_17rocblas_diagonal_iiT2_lPT3_llSB_llPT4_lli
                                        ; -- End function
	.set _ZL23rocblas_trmm_lTx_kernelILi16ELb0E19rocblas_complex_numIdEPKS1_KS3_KPS1_Ev13rocblas_fill_17rocblas_diagonal_iiT2_lPT3_llSB_llPT4_lli.num_vgpr, 62
	.set _ZL23rocblas_trmm_lTx_kernelILi16ELb0E19rocblas_complex_numIdEPKS1_KS3_KPS1_Ev13rocblas_fill_17rocblas_diagonal_iiT2_lPT3_llSB_llPT4_lli.num_agpr, 0
	.set _ZL23rocblas_trmm_lTx_kernelILi16ELb0E19rocblas_complex_numIdEPKS1_KS3_KPS1_Ev13rocblas_fill_17rocblas_diagonal_iiT2_lPT3_llSB_llPT4_lli.numbered_sgpr, 40
	.set _ZL23rocblas_trmm_lTx_kernelILi16ELb0E19rocblas_complex_numIdEPKS1_KS3_KPS1_Ev13rocblas_fill_17rocblas_diagonal_iiT2_lPT3_llSB_llPT4_lli.num_named_barrier, 0
	.set _ZL23rocblas_trmm_lTx_kernelILi16ELb0E19rocblas_complex_numIdEPKS1_KS3_KPS1_Ev13rocblas_fill_17rocblas_diagonal_iiT2_lPT3_llSB_llPT4_lli.private_seg_size, 0
	.set _ZL23rocblas_trmm_lTx_kernelILi16ELb0E19rocblas_complex_numIdEPKS1_KS3_KPS1_Ev13rocblas_fill_17rocblas_diagonal_iiT2_lPT3_llSB_llPT4_lli.uses_vcc, 1
	.set _ZL23rocblas_trmm_lTx_kernelILi16ELb0E19rocblas_complex_numIdEPKS1_KS3_KPS1_Ev13rocblas_fill_17rocblas_diagonal_iiT2_lPT3_llSB_llPT4_lli.uses_flat_scratch, 0
	.set _ZL23rocblas_trmm_lTx_kernelILi16ELb0E19rocblas_complex_numIdEPKS1_KS3_KPS1_Ev13rocblas_fill_17rocblas_diagonal_iiT2_lPT3_llSB_llPT4_lli.has_dyn_sized_stack, 0
	.set _ZL23rocblas_trmm_lTx_kernelILi16ELb0E19rocblas_complex_numIdEPKS1_KS3_KPS1_Ev13rocblas_fill_17rocblas_diagonal_iiT2_lPT3_llSB_llPT4_lli.has_recursion, 0
	.set _ZL23rocblas_trmm_lTx_kernelILi16ELb0E19rocblas_complex_numIdEPKS1_KS3_KPS1_Ev13rocblas_fill_17rocblas_diagonal_iiT2_lPT3_llSB_llPT4_lli.has_indirect_call, 0
	.section	.AMDGPU.csdata,"",@progbits
; Kernel info:
; codeLenInByte = 2048
; TotalNumSgprs: 42
; NumVgprs: 62
; ScratchSize: 0
; MemoryBound: 0
; FloatMode: 240
; IeeeMode: 1
; LDSByteSize: 8192 bytes/workgroup (compile time only)
; SGPRBlocks: 0
; VGPRBlocks: 7
; NumSGPRsForWavesPerEU: 42
; NumVGPRsForWavesPerEU: 62
; Occupancy: 16
; WaveLimiterHint : 1
; COMPUTE_PGM_RSRC2:SCRATCH_EN: 0
; COMPUTE_PGM_RSRC2:USER_SGPR: 2
; COMPUTE_PGM_RSRC2:TRAP_HANDLER: 0
; COMPUTE_PGM_RSRC2:TGID_X_EN: 1
; COMPUTE_PGM_RSRC2:TGID_Y_EN: 0
; COMPUTE_PGM_RSRC2:TGID_Z_EN: 1
; COMPUTE_PGM_RSRC2:TIDIG_COMP_CNT: 1
	.section	.text._ZL23rocblas_trmm_lTx_kernelILi16ELb0E19rocblas_complex_numIdES1_KPKS1_KPS1_Ev13rocblas_fill_17rocblas_diagonal_iiT2_lPT3_llSB_llPT4_lli,"axG",@progbits,_ZL23rocblas_trmm_lTx_kernelILi16ELb0E19rocblas_complex_numIdES1_KPKS1_KPS1_Ev13rocblas_fill_17rocblas_diagonal_iiT2_lPT3_llSB_llPT4_lli,comdat
	.globl	_ZL23rocblas_trmm_lTx_kernelILi16ELb0E19rocblas_complex_numIdES1_KPKS1_KPS1_Ev13rocblas_fill_17rocblas_diagonal_iiT2_lPT3_llSB_llPT4_lli ; -- Begin function _ZL23rocblas_trmm_lTx_kernelILi16ELb0E19rocblas_complex_numIdES1_KPKS1_KPS1_Ev13rocblas_fill_17rocblas_diagonal_iiT2_lPT3_llSB_llPT4_lli
	.p2align	8
	.type	_ZL23rocblas_trmm_lTx_kernelILi16ELb0E19rocblas_complex_numIdES1_KPKS1_KPS1_Ev13rocblas_fill_17rocblas_diagonal_iiT2_lPT3_llSB_llPT4_lli,@function
_ZL23rocblas_trmm_lTx_kernelILi16ELb0E19rocblas_complex_numIdES1_KPKS1_KPS1_Ev13rocblas_fill_17rocblas_diagonal_iiT2_lPT3_llSB_llPT4_lli: ; @_ZL23rocblas_trmm_lTx_kernelILi16ELb0E19rocblas_complex_numIdES1_KPKS1_KPS1_Ev13rocblas_fill_17rocblas_diagonal_iiT2_lPT3_llSB_llPT4_lli
; %bb.0:
	s_load_b32 s33, s[0:1], 0x70
	s_lshr_b32 s6, ttmp7, 16
	s_wait_kmcnt 0x0
	s_cmp_ge_u32 s6, s33
	s_cbranch_scc1 .LBB183_19
; %bb.1:
	s_clause 0x2
	s_load_b256 s[24:31], s[0:1], 0x0
	s_load_b512 s[8:23], s[0:1], 0x28
	s_load_b64 s[34:35], s[0:1], 0x68
	v_bfe_u32 v12, v0, 10, 10
	v_dual_mov_b32 v0, 0 :: v_dual_and_b32 v13, 0x3ff, v0
	v_mov_b32_e32 v1, 0x3ff00000
	s_mov_b32 s7, 0
	s_delay_alu instid0(VALU_DEP_3) | instskip(NEXT) | instid1(VALU_DEP_3)
	v_lshlrev_b32_e32 v2, 4, v12
	v_cmp_eq_u32_e32 vcc_lo, v12, v13
	v_cmp_lt_u32_e64 s0, v13, v12
	v_cmp_gt_u32_e64 s1, v13, v12
	v_lshl_add_u32 v15, v12, 8, 0x1000
	v_add_lshl_u32 v17, v2, v13, 4
	v_lshl_add_u32 v18, v13, 8, v2
	s_wait_kmcnt 0x0
	v_cmp_neq_f64_e64 s4, s[28:29], 0
	v_cmp_neq_f64_e64 s5, s[30:31], 0
	v_mad_co_u64_u32 v[6:7], null, s16, v12, 0
	v_mad_co_u64_u32 v[8:9], null, s22, v12, 0
	;; [unrolled: 1-line block ×3, first 2 shown]
	s_add_co_i32 s3, s27, -1
	v_dual_mov_b32 v4, v7 :: v_dual_add_nc_u32 v19, 0x1000, v17
	s_ashr_i32 s10, s3, 31
	v_dual_mov_b32 v5, v9 :: v_dual_lshlrev_b32 v14, 4, v13
	s_wait_alu 0xfffe
	s_lshr_b32 s10, s10, 28
	v_mad_co_u64_u32 v[9:10], null, s11, v12, v[3:4]
	s_wait_alu 0xfffe
	s_add_co_i32 s10, s3, s10
	v_cmp_gt_i32_e64 s2, s26, v12
	s_wait_alu 0xfffe
	s_and_b32 s11, s10, -16
	s_ashr_i32 s10, s10, 4
	v_cmp_gt_i32_e64 s3, s26, v13
	s_wait_alu 0xfffe
	s_sub_co_i32 s11, s27, s11
	v_mad_co_u64_u32 v[10:11], null, s17, v12, v[4:5]
	v_mad_co_u64_u32 v[4:5], null, s23, v12, v[5:6]
	v_dual_mov_b32 v3, v9 :: v_dual_lshlrev_b32 v16, 4, v13
	s_delay_alu instid0(VALU_DEP_3) | instskip(NEXT) | instid1(VALU_DEP_3)
	v_mov_b32_e32 v7, v10
	v_mov_b32_e32 v9, v4
	s_delay_alu instid0(VALU_DEP_3) | instskip(NEXT) | instid1(VALU_DEP_3)
	v_lshlrev_b64_e32 v[4:5], 4, v[2:3]
	v_lshlrev_b64_e32 v[6:7], 4, v[6:7]
	s_delay_alu instid0(VALU_DEP_3)
	v_lshlrev_b64_e32 v[8:9], 4, v[8:9]
	s_or_b32 s26, s4, s5
	s_cmp_ge_i32 ttmp9, s10
	s_wait_alu 0xfffe
	s_cselect_b32 s4, s11, 16
	s_lshl_b32 s10, ttmp9, 4
	v_cmp_gt_i32_e64 s4, s4, v12
	s_and_b32 s27, s2, s3
	s_wait_alu 0xfffe
	s_ashr_i32 s11, s10, 31
	s_wait_alu 0xfffe
	s_mul_u64 s[16:17], s[16:17], s[10:11]
	s_and_b32 s36, s3, s4
	s_cmp_eq_u32 s25, 0x84
	s_mul_u64 s[38:39], s[22:23], s[10:11]
	s_cselect_b32 s2, -1, 0
	s_delay_alu instid0(SALU_CYCLE_1)
	s_and_b32 s25, vcc_lo, s2
	s_cmp_lg_u32 s24, 0x7a
	s_cselect_b32 s22, -1, 0
	s_lshl_b64 s[2:3], s[12:13], 4
	s_lshl_b64 s[4:5], s[18:19], 4
	s_wait_alu 0xfffe
	s_lshl_b64 s[10:11], s[16:17], 4
	s_lshl_b64 s[12:13], s[34:35], 4
	;; [unrolled: 1-line block ×3, first 2 shown]
	s_branch .LBB183_4
.LBB183_2:                              ;   in Loop: Header=BB183_4 Depth=1
	s_or_b32 exec_lo, exec_lo, s18
.LBB183_3:                              ;   in Loop: Header=BB183_4 Depth=1
	s_add_co_i32 s6, s6, 0x10000
	s_delay_alu instid0(SALU_CYCLE_1)
	s_cmp_lt_u32 s6, s33
	s_cbranch_scc0 .LBB183_19
.LBB183_4:                              ; =>This Inner Loop Header: Depth=1
	s_and_not1_b32 vcc_lo, exec_lo, s26
	s_wait_alu 0xfffe
	s_cbranch_vccnz .LBB183_3
; %bb.5:                                ;   in Loop: Header=BB183_4 Depth=1
	s_lshl_b64 s[18:19], s[6:7], 3
	s_mov_b32 s40, s7
	s_add_nc_u64 s[34:35], s[8:9], s[18:19]
	s_add_nc_u64 s[38:39], s[14:15], s[18:19]
	;; [unrolled: 1-line block ×3, first 2 shown]
	s_clause 0x2
	global_load_b64 v[12:13], v0, s[34:35]
	global_load_b64 v[2:3], v0, s[38:39]
	;; [unrolled: 1-line block ×3, first 2 shown]
	s_mov_b32 s41, s7
	s_mov_b32 s42, s7
	;; [unrolled: 1-line block ×3, first 2 shown]
	s_wait_alu 0xfffe
	v_dual_mov_b32 v20, s40 :: v_dual_mov_b32 v21, s41
	v_dual_mov_b32 v22, s42 :: v_dual_mov_b32 v23, s43
	ds_store_b128 v17, v[20:23]
	ds_store_b128 v19, v[20:23]
	s_wait_loadcnt_dscnt 0x0
	s_barrier_signal -1
	s_barrier_wait -1
	global_inv scope:SCOPE_SE
	s_and_saveexec_b32 s18, s27
	s_cbranch_execnz .LBB183_11
; %bb.6:                                ;   in Loop: Header=BB183_4 Depth=1
	s_or_b32 exec_lo, exec_lo, s18
	s_and_saveexec_b32 s18, s36
	s_cbranch_execnz .LBB183_12
.LBB183_7:                              ;   in Loop: Header=BB183_4 Depth=1
	s_or_b32 exec_lo, exec_lo, s18
	s_and_saveexec_b32 s18, s25
.LBB183_8:                              ;   in Loop: Header=BB183_4 Depth=1
	v_dual_mov_b32 v2, v0 :: v_dual_mov_b32 v3, v0
	ds_store_b128 v17, v[0:3]
.LBB183_9:                              ;   in Loop: Header=BB183_4 Depth=1
	s_or_b32 exec_lo, exec_lo, s18
	s_delay_alu instid0(SALU_CYCLE_1)
	s_and_b32 vcc_lo, exec_lo, s22
	s_wait_loadcnt_dscnt 0x0
	s_barrier_signal -1
	s_barrier_wait -1
	global_inv scope:SCOPE_SE
	s_wait_alu 0xfffe
	s_cbranch_vccz .LBB183_13
; %bb.10:                               ;   in Loop: Header=BB183_4 Depth=1
	s_and_b32 s18, s0, exec_lo
	s_cbranch_execz .LBB183_14
	s_branch .LBB183_15
.LBB183_11:                             ;   in Loop: Header=BB183_4 Depth=1
	v_add_co_u32 v12, vcc_lo, v12, s2
	s_wait_alu 0xfffd
	v_add_co_ci_u32_e64 v13, null, s3, v13, vcc_lo
	s_delay_alu instid0(VALU_DEP_2) | instskip(SKIP_1) | instid1(VALU_DEP_2)
	v_add_co_u32 v12, vcc_lo, v12, v4
	s_wait_alu 0xfffd
	v_add_co_ci_u32_e64 v13, null, v13, v5, vcc_lo
	s_delay_alu instid0(VALU_DEP_2) | instskip(SKIP_1) | instid1(VALU_DEP_2)
	v_add_co_u32 v12, vcc_lo, v12, v16
	s_wait_alu 0xfffd
	v_add_co_ci_u32_e64 v13, null, 0, v13, vcc_lo
	flat_load_b128 v[20:23], v[12:13]
	s_wait_loadcnt_dscnt 0x0
	ds_store_2addr_b64 v18, v[20:21], v[22:23] offset1:1
	s_or_b32 exec_lo, exec_lo, s18
	s_and_saveexec_b32 s18, s36
	s_cbranch_execz .LBB183_7
.LBB183_12:                             ;   in Loop: Header=BB183_4 Depth=1
	v_add_co_u32 v2, vcc_lo, v2, s4
	s_wait_alu 0xfffd
	v_add_co_ci_u32_e64 v3, null, s5, v3, vcc_lo
	s_wait_alu 0xfffe
	s_delay_alu instid0(VALU_DEP_2) | instskip(SKIP_1) | instid1(VALU_DEP_2)
	v_add_co_u32 v2, vcc_lo, v2, s10
	s_wait_alu 0xfffd
	v_add_co_ci_u32_e64 v3, null, s11, v3, vcc_lo
	s_delay_alu instid0(VALU_DEP_2) | instskip(SKIP_1) | instid1(VALU_DEP_2)
	v_add_co_u32 v2, vcc_lo, v2, v6
	s_wait_alu 0xfffd
	v_add_co_ci_u32_e64 v3, null, v3, v7, vcc_lo
	;; [unrolled: 4-line block ×3, first 2 shown]
	flat_load_b128 v[20:23], v[2:3]
	s_wait_loadcnt_dscnt 0x0
	ds_store_2addr_b64 v19, v[20:21], v[22:23] offset1:1
	s_or_b32 exec_lo, exec_lo, s18
	s_and_saveexec_b32 s18, s25
	s_cbranch_execnz .LBB183_8
	s_branch .LBB183_9
.LBB183_13:                             ;   in Loop: Header=BB183_4 Depth=1
	s_mov_b32 s18, 0
.LBB183_14:                             ;   in Loop: Header=BB183_4 Depth=1
	s_delay_alu instid0(SALU_CYCLE_1) | instskip(SKIP_1) | instid1(SALU_CYCLE_1)
	s_and_not1_b32 s18, s18, exec_lo
	s_and_b32 s19, s1, exec_lo
	s_or_b32 s18, s18, s19
.LBB183_15:                             ;   in Loop: Header=BB183_4 Depth=1
	s_delay_alu instid0(SALU_CYCLE_1)
	s_and_saveexec_b32 s19, s18
; %bb.16:                               ;   in Loop: Header=BB183_4 Depth=1
	v_dual_mov_b32 v20, v0 :: v_dual_mov_b32 v21, v0
	v_dual_mov_b32 v22, v0 :: v_dual_mov_b32 v23, v0
	ds_store_b128 v17, v[20:23]
; %bb.17:                               ;   in Loop: Header=BB183_4 Depth=1
	s_or_b32 exec_lo, exec_lo, s19
	s_wait_loadcnt_dscnt 0x0
	s_barrier_signal -1
	s_barrier_wait -1
	global_inv scope:SCOPE_SE
	s_and_saveexec_b32 s18, s36
	s_cbranch_execz .LBB183_2
; %bb.18:                               ;   in Loop: Header=BB183_4 Depth=1
	ds_load_b128 v[20:23], v14
	ds_load_b128 v[24:27], v15
	ds_load_b128 v[28:31], v15 offset:16
	ds_load_b128 v[32:35], v14 offset:256
	;; [unrolled: 1-line block ×6, first 2 shown]
	s_wait_dscnt 0x6
	v_mul_f64_e32 v[2:3], v[24:25], v[22:23]
	v_mul_f64_e32 v[22:23], v[26:27], v[22:23]
	s_wait_dscnt 0x4
	v_mul_f64_e32 v[12:13], v[28:29], v[34:35]
	v_mul_f64_e32 v[34:35], v[30:31], v[34:35]
	;; [unrolled: 3-line block ×3, first 2 shown]
	v_fma_f64 v[2:3], v[26:27], v[20:21], v[2:3]
	v_mul_f64_e32 v[26:27], v[40:41], v[38:39]
	v_fma_f64 v[12:13], v[30:31], v[32:33], v[12:13]
	v_fma_f64 v[20:21], v[24:25], v[20:21], -v[22:23]
	v_mul_f64_e32 v[38:39], v[42:43], v[38:39]
	v_fma_f64 v[54:55], v[28:29], v[32:33], -v[34:35]
	v_fma_f64 v[46:47], v[46:47], v[48:49], v[52:53]
	v_add_f64_e32 v[2:3], 0, v[2:3]
	v_fma_f64 v[42:43], v[42:43], v[36:37], v[26:27]
	v_add_f64_e32 v[56:57], 0, v[20:21]
	ds_load_b128 v[20:23], v14 offset:1024
	ds_load_b128 v[24:27], v15 offset:64
	;; [unrolled: 1-line block ×4, first 2 shown]
	v_fma_f64 v[36:37], v[40:41], v[36:37], -v[38:39]
	s_wait_dscnt 0x0
	v_mul_f64_e32 v[52:53], v[28:29], v[34:35]
	v_mul_f64_e32 v[34:35], v[30:31], v[34:35]
	v_add_f64_e32 v[2:3], v[2:3], v[12:13]
	v_mul_f64_e32 v[12:13], v[24:25], v[22:23]
	v_mul_f64_e32 v[22:23], v[26:27], v[22:23]
	v_add_f64_e32 v[38:39], v[56:57], v[54:55]
	v_fma_f64 v[30:31], v[30:31], v[32:33], v[52:53]
	v_fma_f64 v[52:53], v[28:29], v[32:33], -v[34:35]
	v_add_f64_e32 v[2:3], v[2:3], v[42:43]
	v_fma_f64 v[12:13], v[26:27], v[20:21], v[12:13]
	v_fma_f64 v[26:27], v[44:45], v[48:49], -v[50:51]
	v_add_f64_e32 v[54:55], v[38:39], v[36:37]
	v_fma_f64 v[20:21], v[24:25], v[20:21], -v[22:23]
	v_add_f64_e32 v[2:3], v[2:3], v[46:47]
	ds_load_b128 v[36:39], v14 offset:1536
	ds_load_b128 v[40:43], v15 offset:96
	;; [unrolled: 1-line block ×4, first 2 shown]
	v_add_f64_e32 v[22:23], v[54:55], v[26:27]
	s_wait_dscnt 0x2
	v_mul_f64_e32 v[56:57], v[40:41], v[38:39]
	v_mul_f64_e32 v[38:39], v[42:43], v[38:39]
	v_add_f64_e32 v[2:3], v[2:3], v[12:13]
	s_wait_dscnt 0x0
	v_mul_f64_e32 v[12:13], v[44:45], v[50:51]
	v_mul_f64_e32 v[50:51], v[46:47], v[50:51]
	v_add_f64_e32 v[54:55], v[22:23], v[20:21]
	v_fma_f64 v[42:43], v[42:43], v[36:37], v[56:57]
	v_fma_f64 v[36:37], v[40:41], v[36:37], -v[38:39]
	v_add_f64_e32 v[2:3], v[2:3], v[30:31]
	ds_load_b128 v[20:23], v14 offset:2048
	ds_load_b128 v[24:27], v15 offset:128
	;; [unrolled: 1-line block ×4, first 2 shown]
	v_fma_f64 v[12:13], v[46:47], v[48:49], v[12:13]
	v_add_f64_e32 v[38:39], v[54:55], v[52:53]
	v_fma_f64 v[54:55], v[44:45], v[48:49], -v[50:51]
	s_wait_dscnt 0x2
	v_mul_f64_e32 v[56:57], v[24:25], v[22:23]
	v_mul_f64_e32 v[22:23], v[26:27], v[22:23]
	s_wait_dscnt 0x0
	v_mul_f64_e32 v[52:53], v[28:29], v[34:35]
	v_mul_f64_e32 v[34:35], v[30:31], v[34:35]
	v_add_f64_e32 v[2:3], v[2:3], v[42:43]
	v_fma_f64 v[26:27], v[26:27], v[20:21], v[56:57]
	v_add_f64_e32 v[56:57], v[38:39], v[36:37]
	ds_load_b128 v[36:39], v14 offset:2560
	ds_load_b128 v[40:43], v15 offset:160
	ds_load_b128 v[44:47], v15 offset:176
	ds_load_b128 v[48:51], v14 offset:2816
	v_fma_f64 v[30:31], v[30:31], v[32:33], v[52:53]
	v_fma_f64 v[20:21], v[24:25], v[20:21], -v[22:23]
	v_add_f64_e32 v[2:3], v[2:3], v[12:13]
	s_wait_dscnt 0x2
	v_mul_f64_e32 v[12:13], v[40:41], v[38:39]
	v_mul_f64_e32 v[38:39], v[42:43], v[38:39]
	s_wait_dscnt 0x0
	v_mul_f64_e32 v[52:53], v[44:45], v[50:51]
	v_mul_f64_e32 v[50:51], v[46:47], v[50:51]
	v_add_f64_e32 v[22:23], v[56:57], v[54:55]
	v_add_f64_e32 v[2:3], v[2:3], v[26:27]
	v_fma_f64 v[12:13], v[42:43], v[36:37], v[12:13]
	v_fma_f64 v[42:43], v[28:29], v[32:33], -v[34:35]
	v_fma_f64 v[46:47], v[46:47], v[48:49], v[52:53]
	v_fma_f64 v[36:37], v[40:41], v[36:37], -v[38:39]
	v_fma_f64 v[52:53], v[44:45], v[48:49], -v[50:51]
	v_add_f64_e32 v[54:55], v[22:23], v[20:21]
	v_add_f64_e32 v[2:3], v[2:3], v[30:31]
	ds_load_b128 v[20:23], v14 offset:3072
	ds_load_b128 v[24:27], v15 offset:192
	;; [unrolled: 1-line block ×4, first 2 shown]
	s_wait_dscnt 0x2
	v_mul_f64_e32 v[56:57], v[24:25], v[22:23]
	v_add_f64_e32 v[38:39], v[54:55], v[42:43]
	v_mul_f64_e32 v[22:23], v[26:27], v[22:23]
	v_add_f64_e32 v[2:3], v[2:3], v[12:13]
	s_wait_dscnt 0x0
	v_mul_f64_e32 v[12:13], v[28:29], v[34:35]
	v_mul_f64_e32 v[34:35], v[30:31], v[34:35]
	v_fma_f64 v[26:27], v[26:27], v[20:21], v[56:57]
	v_add_f64_e32 v[54:55], v[38:39], v[36:37]
	v_fma_f64 v[20:21], v[24:25], v[20:21], -v[22:23]
	v_add_f64_e32 v[2:3], v[2:3], v[46:47]
	ds_load_b128 v[36:39], v14 offset:3584
	ds_load_b128 v[40:43], v15 offset:224
	ds_load_b128 v[44:47], v15 offset:240
	ds_load_b128 v[48:51], v14 offset:3840
	v_fma_f64 v[12:13], v[30:31], v[32:33], v[12:13]
	v_fma_f64 v[28:29], v[28:29], v[32:33], -v[34:35]
	s_wait_dscnt 0x2
	v_mul_f64_e32 v[56:57], v[40:41], v[38:39]
	v_add_f64_e32 v[22:23], v[54:55], v[52:53]
	s_wait_dscnt 0x0
	v_mul_f64_e32 v[24:25], v[44:45], v[50:51]
	v_add_f64_e32 v[2:3], v[2:3], v[26:27]
	v_mul_f64_e32 v[26:27], v[42:43], v[38:39]
	v_fma_f64 v[30:31], v[42:43], v[36:37], v[56:57]
	v_add_f64_e32 v[20:21], v[22:23], v[20:21]
	v_fma_f64 v[22:23], v[46:47], v[48:49], v[24:25]
	v_add_f64_e32 v[2:3], v[2:3], v[12:13]
	v_mul_f64_e32 v[12:13], v[46:47], v[50:51]
	v_fma_f64 v[24:25], v[40:41], v[36:37], -v[26:27]
	v_add_f64_e32 v[20:21], v[20:21], v[28:29]
	s_delay_alu instid0(VALU_DEP_4) | instskip(NEXT) | instid1(VALU_DEP_4)
	v_add_f64_e32 v[2:3], v[2:3], v[30:31]
	v_fma_f64 v[12:13], v[44:45], v[48:49], -v[12:13]
	s_delay_alu instid0(VALU_DEP_3) | instskip(NEXT) | instid1(VALU_DEP_3)
	v_add_f64_e32 v[20:21], v[20:21], v[24:25]
	v_add_f64_e32 v[2:3], v[2:3], v[22:23]
	s_delay_alu instid0(VALU_DEP_2) | instskip(NEXT) | instid1(VALU_DEP_2)
	v_add_f64_e32 v[12:13], v[20:21], v[12:13]
	v_mul_f64_e32 v[20:21], s[28:29], v[2:3]
	v_mul_f64_e32 v[2:3], s[30:31], v[2:3]
	s_delay_alu instid0(VALU_DEP_2) | instskip(NEXT) | instid1(VALU_DEP_2)
	v_fma_f64 v[22:23], s[30:31], v[12:13], v[20:21]
	v_fma_f64 v[20:21], s[28:29], v[12:13], -v[2:3]
	v_add_co_u32 v2, vcc_lo, v10, s12
	s_wait_alu 0xfffd
	v_add_co_ci_u32_e64 v3, null, s13, v11, vcc_lo
	s_wait_alu 0xfffe
	s_delay_alu instid0(VALU_DEP_2) | instskip(SKIP_1) | instid1(VALU_DEP_2)
	v_add_co_u32 v2, vcc_lo, v2, s16
	s_wait_alu 0xfffd
	v_add_co_ci_u32_e64 v3, null, s17, v3, vcc_lo
	s_delay_alu instid0(VALU_DEP_2) | instskip(SKIP_1) | instid1(VALU_DEP_2)
	v_add_co_u32 v2, vcc_lo, v2, v8
	s_wait_alu 0xfffd
	v_add_co_ci_u32_e64 v3, null, v3, v9, vcc_lo
	;; [unrolled: 4-line block ×3, first 2 shown]
	flat_store_b128 v[2:3], v[20:23]
	s_branch .LBB183_2
.LBB183_19:
	s_endpgm
	.section	.rodata,"a",@progbits
	.p2align	6, 0x0
	.amdhsa_kernel _ZL23rocblas_trmm_lTx_kernelILi16ELb0E19rocblas_complex_numIdES1_KPKS1_KPS1_Ev13rocblas_fill_17rocblas_diagonal_iiT2_lPT3_llSB_llPT4_lli
		.amdhsa_group_segment_fixed_size 8192
		.amdhsa_private_segment_fixed_size 0
		.amdhsa_kernarg_size 116
		.amdhsa_user_sgpr_count 2
		.amdhsa_user_sgpr_dispatch_ptr 0
		.amdhsa_user_sgpr_queue_ptr 0
		.amdhsa_user_sgpr_kernarg_segment_ptr 1
		.amdhsa_user_sgpr_dispatch_id 0
		.amdhsa_user_sgpr_private_segment_size 0
		.amdhsa_wavefront_size32 1
		.amdhsa_uses_dynamic_stack 0
		.amdhsa_enable_private_segment 0
		.amdhsa_system_sgpr_workgroup_id_x 1
		.amdhsa_system_sgpr_workgroup_id_y 0
		.amdhsa_system_sgpr_workgroup_id_z 1
		.amdhsa_system_sgpr_workgroup_info 0
		.amdhsa_system_vgpr_workitem_id 1
		.amdhsa_next_free_vgpr 58
		.amdhsa_next_free_sgpr 44
		.amdhsa_reserve_vcc 1
		.amdhsa_float_round_mode_32 0
		.amdhsa_float_round_mode_16_64 0
		.amdhsa_float_denorm_mode_32 3
		.amdhsa_float_denorm_mode_16_64 3
		.amdhsa_fp16_overflow 0
		.amdhsa_workgroup_processor_mode 1
		.amdhsa_memory_ordered 1
		.amdhsa_forward_progress 1
		.amdhsa_inst_pref_size 16
		.amdhsa_round_robin_scheduling 0
		.amdhsa_exception_fp_ieee_invalid_op 0
		.amdhsa_exception_fp_denorm_src 0
		.amdhsa_exception_fp_ieee_div_zero 0
		.amdhsa_exception_fp_ieee_overflow 0
		.amdhsa_exception_fp_ieee_underflow 0
		.amdhsa_exception_fp_ieee_inexact 0
		.amdhsa_exception_int_div_zero 0
	.end_amdhsa_kernel
	.section	.text._ZL23rocblas_trmm_lTx_kernelILi16ELb0E19rocblas_complex_numIdES1_KPKS1_KPS1_Ev13rocblas_fill_17rocblas_diagonal_iiT2_lPT3_llSB_llPT4_lli,"axG",@progbits,_ZL23rocblas_trmm_lTx_kernelILi16ELb0E19rocblas_complex_numIdES1_KPKS1_KPS1_Ev13rocblas_fill_17rocblas_diagonal_iiT2_lPT3_llSB_llPT4_lli,comdat
.Lfunc_end183:
	.size	_ZL23rocblas_trmm_lTx_kernelILi16ELb0E19rocblas_complex_numIdES1_KPKS1_KPS1_Ev13rocblas_fill_17rocblas_diagonal_iiT2_lPT3_llSB_llPT4_lli, .Lfunc_end183-_ZL23rocblas_trmm_lTx_kernelILi16ELb0E19rocblas_complex_numIdES1_KPKS1_KPS1_Ev13rocblas_fill_17rocblas_diagonal_iiT2_lPT3_llSB_llPT4_lli
                                        ; -- End function
	.set _ZL23rocblas_trmm_lTx_kernelILi16ELb0E19rocblas_complex_numIdES1_KPKS1_KPS1_Ev13rocblas_fill_17rocblas_diagonal_iiT2_lPT3_llSB_llPT4_lli.num_vgpr, 58
	.set _ZL23rocblas_trmm_lTx_kernelILi16ELb0E19rocblas_complex_numIdES1_KPKS1_KPS1_Ev13rocblas_fill_17rocblas_diagonal_iiT2_lPT3_llSB_llPT4_lli.num_agpr, 0
	.set _ZL23rocblas_trmm_lTx_kernelILi16ELb0E19rocblas_complex_numIdES1_KPKS1_KPS1_Ev13rocblas_fill_17rocblas_diagonal_iiT2_lPT3_llSB_llPT4_lli.numbered_sgpr, 44
	.set _ZL23rocblas_trmm_lTx_kernelILi16ELb0E19rocblas_complex_numIdES1_KPKS1_KPS1_Ev13rocblas_fill_17rocblas_diagonal_iiT2_lPT3_llSB_llPT4_lli.num_named_barrier, 0
	.set _ZL23rocblas_trmm_lTx_kernelILi16ELb0E19rocblas_complex_numIdES1_KPKS1_KPS1_Ev13rocblas_fill_17rocblas_diagonal_iiT2_lPT3_llSB_llPT4_lli.private_seg_size, 0
	.set _ZL23rocblas_trmm_lTx_kernelILi16ELb0E19rocblas_complex_numIdES1_KPKS1_KPS1_Ev13rocblas_fill_17rocblas_diagonal_iiT2_lPT3_llSB_llPT4_lli.uses_vcc, 1
	.set _ZL23rocblas_trmm_lTx_kernelILi16ELb0E19rocblas_complex_numIdES1_KPKS1_KPS1_Ev13rocblas_fill_17rocblas_diagonal_iiT2_lPT3_llSB_llPT4_lli.uses_flat_scratch, 0
	.set _ZL23rocblas_trmm_lTx_kernelILi16ELb0E19rocblas_complex_numIdES1_KPKS1_KPS1_Ev13rocblas_fill_17rocblas_diagonal_iiT2_lPT3_llSB_llPT4_lli.has_dyn_sized_stack, 0
	.set _ZL23rocblas_trmm_lTx_kernelILi16ELb0E19rocblas_complex_numIdES1_KPKS1_KPS1_Ev13rocblas_fill_17rocblas_diagonal_iiT2_lPT3_llSB_llPT4_lli.has_recursion, 0
	.set _ZL23rocblas_trmm_lTx_kernelILi16ELb0E19rocblas_complex_numIdES1_KPKS1_KPS1_Ev13rocblas_fill_17rocblas_diagonal_iiT2_lPT3_llSB_llPT4_lli.has_indirect_call, 0
	.section	.AMDGPU.csdata,"",@progbits
; Kernel info:
; codeLenInByte = 2020
; TotalNumSgprs: 46
; NumVgprs: 58
; ScratchSize: 0
; MemoryBound: 0
; FloatMode: 240
; IeeeMode: 1
; LDSByteSize: 8192 bytes/workgroup (compile time only)
; SGPRBlocks: 0
; VGPRBlocks: 7
; NumSGPRsForWavesPerEU: 46
; NumVGPRsForWavesPerEU: 58
; Occupancy: 16
; WaveLimiterHint : 1
; COMPUTE_PGM_RSRC2:SCRATCH_EN: 0
; COMPUTE_PGM_RSRC2:USER_SGPR: 2
; COMPUTE_PGM_RSRC2:TRAP_HANDLER: 0
; COMPUTE_PGM_RSRC2:TGID_X_EN: 1
; COMPUTE_PGM_RSRC2:TGID_Y_EN: 0
; COMPUTE_PGM_RSRC2:TGID_Z_EN: 1
; COMPUTE_PGM_RSRC2:TIDIG_COMP_CNT: 1
	.section	.text._ZL23rocblas_trmm_lTx_kernelILi16ELb1E19rocblas_complex_numIdEPKS1_KS3_KPS1_Ev13rocblas_fill_17rocblas_diagonal_iiT2_lPT3_llSB_llPT4_lli,"axG",@progbits,_ZL23rocblas_trmm_lTx_kernelILi16ELb1E19rocblas_complex_numIdEPKS1_KS3_KPS1_Ev13rocblas_fill_17rocblas_diagonal_iiT2_lPT3_llSB_llPT4_lli,comdat
	.globl	_ZL23rocblas_trmm_lTx_kernelILi16ELb1E19rocblas_complex_numIdEPKS1_KS3_KPS1_Ev13rocblas_fill_17rocblas_diagonal_iiT2_lPT3_llSB_llPT4_lli ; -- Begin function _ZL23rocblas_trmm_lTx_kernelILi16ELb1E19rocblas_complex_numIdEPKS1_KS3_KPS1_Ev13rocblas_fill_17rocblas_diagonal_iiT2_lPT3_llSB_llPT4_lli
	.p2align	8
	.type	_ZL23rocblas_trmm_lTx_kernelILi16ELb1E19rocblas_complex_numIdEPKS1_KS3_KPS1_Ev13rocblas_fill_17rocblas_diagonal_iiT2_lPT3_llSB_llPT4_lli,@function
_ZL23rocblas_trmm_lTx_kernelILi16ELb1E19rocblas_complex_numIdEPKS1_KS3_KPS1_Ev13rocblas_fill_17rocblas_diagonal_iiT2_lPT3_llSB_llPT4_lli: ; @_ZL23rocblas_trmm_lTx_kernelILi16ELb1E19rocblas_complex_numIdEPKS1_KS3_KPS1_Ev13rocblas_fill_17rocblas_diagonal_iiT2_lPT3_llSB_llPT4_lli
; %bb.0:
	s_load_b32 s3, s[0:1], 0x68
	s_lshr_b32 s28, ttmp7, 16
	s_wait_kmcnt 0x0
	s_cmp_ge_u32 s28, s3
	s_cbranch_scc1 .LBB184_19
; %bb.1:
	s_clause 0x3
	s_load_b128 s[24:27], s[0:1], 0x0
	s_load_b512 s[4:19], s[0:1], 0x10
	s_load_b128 s[20:23], s[0:1], 0x50
	s_load_b64 s[30:31], s[0:1], 0x60
	v_bfe_u32 v10, v0, 10, 10
	v_and_b32_e32 v14, 0x3ff, v0
	v_mov_b32_e32 v0, 0
	s_mov_b32 s29, 0
	s_delay_alu instid0(VALU_DEP_3) | instskip(NEXT) | instid1(VALU_DEP_3)
	v_lshlrev_b32_e32 v11, 4, v10
	v_cmp_eq_u32_e32 vcc_lo, v10, v14
	v_lshlrev_b32_e32 v12, 8, v14
	v_lshl_add_u32 v21, v10, 8, 0x1000
	v_lshlrev_b32_e32 v20, 4, v14
	v_add_lshl_u32 v18, v11, v14, 4
	v_lshlrev_b32_e32 v23, 4, v14
	s_wait_kmcnt 0x0
	s_add_co_i32 s2, s27, -1
	v_mad_co_u64_u32 v[1:2], null, s10, v10, 0
	v_mad_co_u64_u32 v[3:4], null, s16, v10, 0
	v_cmp_gt_i32_e64 s0, s26, v10
	v_cmp_gt_i32_e64 s1, s26, v14
	s_ashr_i32 s26, s2, 31
	v_mad_co_u64_u32 v[5:6], null, s22, v10, 0
	s_wait_alu 0xfffe
	s_lshr_b32 s10, s26, 28
	v_mad_co_u64_u32 v[7:8], null, s11, v10, v[2:3]
	s_wait_alu 0xfffe
	s_add_co_i32 s2, s2, s10
	v_add_nc_u32_e32 v19, 0x1000, v18
	s_ashr_i32 s10, s2, 4
	s_and_b32 s2, s2, -16
	v_mad_co_u64_u32 v[8:9], null, s17, v10, v[4:5]
	s_sub_co_i32 s2, s27, s2
	s_wait_alu 0xfffe
	s_cmp_ge_i32 ttmp9, s10
	v_mov_b32_e32 v4, v6
	s_cselect_b32 s2, s2, 16
	s_and_b32 s26, s0, s1
	v_cmp_gt_i32_e64 s0, s2, v10
	v_mov_b32_e32 v2, v7
	v_mad_co_u64_u32 v[6:7], null, s23, v10, v[4:5]
	s_lshl_b32 s10, ttmp9, 4
	s_and_b32 s27, s1, s0
	s_wait_alu 0xfffe
	s_ashr_i32 s11, s10, 31
	v_mov_b32_e32 v4, v8
	s_cmp_eq_u32 s25, 0x84
	v_cmp_gt_u32_e64 s1, v14, v10
	s_cselect_b32 s0, -1, 0
	v_lshlrev_b64_e32 v[8:9], 4, v[1:2]
	s_and_b32 s25, vcc_lo, s0
	v_cmp_lt_u32_e64 s0, v14, v10
	v_dual_mov_b32 v1, 0x3ff00000 :: v_dual_add_nc_u32 v22, v11, v12
	v_lshlrev_b64_e32 v[10:11], 4, v[3:4]
	v_lshlrev_b64_e32 v[12:13], 4, v[5:6]
	s_wait_alu 0xfffe
	s_mul_u64 s[16:17], s[16:17], s[10:11]
	s_mul_u64 s[34:35], s[22:23], s[10:11]
	s_cmp_lg_u32 s24, 0x7a
	s_cselect_b32 s24, -1, 0
	s_lshl_b64 s[10:11], s[12:13], 4
	s_lshl_b64 s[12:13], s[18:19], 4
	s_wait_alu 0xfffe
	s_lshl_b64 s[16:17], s[16:17], 4
	s_lshl_b64 s[18:19], s[30:31], 4
	;; [unrolled: 1-line block ×3, first 2 shown]
	s_branch .LBB184_4
.LBB184_2:                              ;   in Loop: Header=BB184_4 Depth=1
	s_wait_alu 0xfffe
	s_or_b32 exec_lo, exec_lo, s2
.LBB184_3:                              ;   in Loop: Header=BB184_4 Depth=1
	s_add_co_i32 s28, s28, 0x10000
	s_delay_alu instid0(SALU_CYCLE_1)
	s_cmp_lt_u32 s28, s3
	s_cbranch_scc0 .LBB184_19
.LBB184_4:                              ; =>This Inner Loop Header: Depth=1
	s_mul_u64 s[30:31], s[6:7], s[28:29]
	s_delay_alu instid0(SALU_CYCLE_1) | instskip(NEXT) | instid1(SALU_CYCLE_1)
	s_lshl_b64 s[30:31], s[30:31], 4
	s_add_nc_u64 s[30:31], s[4:5], s[30:31]
	global_load_b128 v[4:7], v0, s[30:31]
	s_wait_loadcnt 0x0
	v_cmp_neq_f64_e32 vcc_lo, 0, v[4:5]
	v_cmp_neq_f64_e64 s2, 0, v[6:7]
	s_or_b32 s2, vcc_lo, s2
	s_wait_alu 0xfffe
	s_and_not1_b32 vcc_lo, exec_lo, s2
	s_wait_alu 0xfffe
	s_cbranch_vccnz .LBB184_3
; %bb.5:                                ;   in Loop: Header=BB184_4 Depth=1
	s_lshl_b64 s[30:31], s[28:29], 3
	s_mov_b32 s38, s29
	s_add_nc_u64 s[34:35], s[8:9], s[30:31]
	s_add_nc_u64 s[36:37], s[14:15], s[30:31]
	;; [unrolled: 1-line block ×3, first 2 shown]
	s_clause 0x2
	global_load_b64 v[16:17], v0, s[34:35]
	global_load_b64 v[2:3], v0, s[36:37]
	;; [unrolled: 1-line block ×3, first 2 shown]
	s_mov_b32 s36, s29
	s_mov_b32 s37, s29
	;; [unrolled: 1-line block ×3, first 2 shown]
	s_wait_alu 0xfffe
	v_dual_mov_b32 v24, s36 :: v_dual_mov_b32 v25, s37
	v_dual_mov_b32 v26, s38 :: v_dual_mov_b32 v27, s39
	ds_store_b128 v18, v[24:27]
	ds_store_b128 v19, v[24:27]
	s_wait_loadcnt_dscnt 0x0
	s_barrier_signal -1
	s_barrier_wait -1
	global_inv scope:SCOPE_SE
	s_and_saveexec_b32 s2, s26
	s_cbranch_execnz .LBB184_11
; %bb.6:                                ;   in Loop: Header=BB184_4 Depth=1
	s_wait_alu 0xfffe
	s_or_b32 exec_lo, exec_lo, s2
	s_and_saveexec_b32 s2, s27
	s_cbranch_execnz .LBB184_12
.LBB184_7:                              ;   in Loop: Header=BB184_4 Depth=1
	s_wait_alu 0xfffe
	s_or_b32 exec_lo, exec_lo, s2
	s_and_saveexec_b32 s2, s25
.LBB184_8:                              ;   in Loop: Header=BB184_4 Depth=1
	v_dual_mov_b32 v2, v0 :: v_dual_mov_b32 v3, v0
	ds_store_b128 v18, v[0:3]
.LBB184_9:                              ;   in Loop: Header=BB184_4 Depth=1
	s_wait_alu 0xfffe
	s_or_b32 exec_lo, exec_lo, s2
	s_delay_alu instid0(SALU_CYCLE_1)
	s_and_b32 vcc_lo, exec_lo, s24
	s_wait_loadcnt_dscnt 0x0
	s_barrier_signal -1
	s_barrier_wait -1
	global_inv scope:SCOPE_SE
	s_wait_alu 0xfffe
	s_cbranch_vccz .LBB184_13
; %bb.10:                               ;   in Loop: Header=BB184_4 Depth=1
	s_and_b32 s2, s0, exec_lo
	s_cbranch_execz .LBB184_14
	s_branch .LBB184_15
.LBB184_11:                             ;   in Loop: Header=BB184_4 Depth=1
	v_add_co_u32 v16, vcc_lo, v16, s10
	s_wait_alu 0xfffd
	v_add_co_ci_u32_e64 v17, null, s11, v17, vcc_lo
	s_delay_alu instid0(VALU_DEP_2) | instskip(SKIP_1) | instid1(VALU_DEP_2)
	v_add_co_u32 v16, vcc_lo, v16, v8
	s_wait_alu 0xfffd
	v_add_co_ci_u32_e64 v17, null, v17, v9, vcc_lo
	s_delay_alu instid0(VALU_DEP_2) | instskip(SKIP_1) | instid1(VALU_DEP_2)
	v_add_co_u32 v16, vcc_lo, v16, v23
	s_wait_alu 0xfffd
	v_add_co_ci_u32_e64 v17, null, 0, v17, vcc_lo
	flat_load_b128 v[24:27], v[16:17]
	s_wait_loadcnt_dscnt 0x0
	v_xor_b32_e32 v27, 0x80000000, v27
	ds_store_b128 v22, v[24:27]
	s_wait_alu 0xfffe
	s_or_b32 exec_lo, exec_lo, s2
	s_and_saveexec_b32 s2, s27
	s_cbranch_execz .LBB184_7
.LBB184_12:                             ;   in Loop: Header=BB184_4 Depth=1
	v_add_co_u32 v2, vcc_lo, v2, s12
	s_wait_alu 0xfffd
	v_add_co_ci_u32_e64 v3, null, s13, v3, vcc_lo
	s_delay_alu instid0(VALU_DEP_2) | instskip(SKIP_1) | instid1(VALU_DEP_2)
	v_add_co_u32 v2, vcc_lo, v2, s16
	s_wait_alu 0xfffd
	v_add_co_ci_u32_e64 v3, null, s17, v3, vcc_lo
	s_delay_alu instid0(VALU_DEP_2) | instskip(SKIP_1) | instid1(VALU_DEP_2)
	;; [unrolled: 4-line block ×3, first 2 shown]
	v_add_co_u32 v2, vcc_lo, v2, v23
	s_wait_alu 0xfffd
	v_add_co_ci_u32_e64 v3, null, 0, v3, vcc_lo
	flat_load_b128 v[24:27], v[2:3]
	s_wait_loadcnt_dscnt 0x0
	ds_store_2addr_b64 v19, v[24:25], v[26:27] offset1:1
	s_wait_alu 0xfffe
	s_or_b32 exec_lo, exec_lo, s2
	s_and_saveexec_b32 s2, s25
	s_cbranch_execnz .LBB184_8
	s_branch .LBB184_9
.LBB184_13:                             ;   in Loop: Header=BB184_4 Depth=1
	s_mov_b32 s2, 0
.LBB184_14:                             ;   in Loop: Header=BB184_4 Depth=1
	s_wait_alu 0xfffe
	s_and_not1_b32 s2, s2, exec_lo
	s_and_b32 s30, s1, exec_lo
	s_wait_alu 0xfffe
	s_or_b32 s2, s2, s30
.LBB184_15:                             ;   in Loop: Header=BB184_4 Depth=1
	s_wait_alu 0xfffe
	s_and_saveexec_b32 s30, s2
; %bb.16:                               ;   in Loop: Header=BB184_4 Depth=1
	v_dual_mov_b32 v24, v0 :: v_dual_mov_b32 v25, v0
	v_dual_mov_b32 v26, v0 :: v_dual_mov_b32 v27, v0
	ds_store_b128 v18, v[24:27]
; %bb.17:                               ;   in Loop: Header=BB184_4 Depth=1
	s_or_b32 exec_lo, exec_lo, s30
	s_wait_loadcnt_dscnt 0x0
	s_barrier_signal -1
	s_barrier_wait -1
	global_inv scope:SCOPE_SE
	s_and_saveexec_b32 s2, s27
	s_cbranch_execz .LBB184_2
; %bb.18:                               ;   in Loop: Header=BB184_4 Depth=1
	ds_load_b128 v[24:27], v20
	ds_load_b128 v[28:31], v21
	ds_load_b128 v[32:35], v21 offset:16
	ds_load_b128 v[36:39], v20 offset:256
	;; [unrolled: 1-line block ×6, first 2 shown]
	s_wait_dscnt 0x6
	v_mul_f64_e32 v[2:3], v[28:29], v[26:27]
	v_mul_f64_e32 v[26:27], v[30:31], v[26:27]
	s_wait_dscnt 0x4
	v_mul_f64_e32 v[16:17], v[32:33], v[38:39]
	v_mul_f64_e32 v[38:39], v[34:35], v[38:39]
	;; [unrolled: 3-line block ×3, first 2 shown]
	v_fma_f64 v[2:3], v[30:31], v[24:25], v[2:3]
	v_mul_f64_e32 v[30:31], v[44:45], v[42:43]
	v_fma_f64 v[16:17], v[34:35], v[36:37], v[16:17]
	v_fma_f64 v[24:25], v[28:29], v[24:25], -v[26:27]
	v_mul_f64_e32 v[42:43], v[46:47], v[42:43]
	v_fma_f64 v[58:59], v[32:33], v[36:37], -v[38:39]
	v_fma_f64 v[50:51], v[50:51], v[52:53], v[56:57]
	v_add_f64_e32 v[2:3], 0, v[2:3]
	v_fma_f64 v[46:47], v[46:47], v[40:41], v[30:31]
	v_add_f64_e32 v[60:61], 0, v[24:25]
	ds_load_b128 v[24:27], v20 offset:1024
	ds_load_b128 v[28:31], v21 offset:64
	ds_load_b128 v[32:35], v21 offset:80
	ds_load_b128 v[36:39], v20 offset:1280
	v_fma_f64 v[40:41], v[44:45], v[40:41], -v[42:43]
	s_wait_dscnt 0x0
	v_mul_f64_e32 v[56:57], v[32:33], v[38:39]
	v_mul_f64_e32 v[38:39], v[34:35], v[38:39]
	v_add_f64_e32 v[2:3], v[2:3], v[16:17]
	v_mul_f64_e32 v[16:17], v[28:29], v[26:27]
	v_mul_f64_e32 v[26:27], v[30:31], v[26:27]
	v_add_f64_e32 v[42:43], v[60:61], v[58:59]
	v_fma_f64 v[34:35], v[34:35], v[36:37], v[56:57]
	v_fma_f64 v[56:57], v[32:33], v[36:37], -v[38:39]
	v_add_f64_e32 v[2:3], v[2:3], v[46:47]
	v_fma_f64 v[16:17], v[30:31], v[24:25], v[16:17]
	v_fma_f64 v[30:31], v[48:49], v[52:53], -v[54:55]
	v_add_f64_e32 v[58:59], v[42:43], v[40:41]
	v_fma_f64 v[24:25], v[28:29], v[24:25], -v[26:27]
	v_add_f64_e32 v[2:3], v[2:3], v[50:51]
	ds_load_b128 v[40:43], v20 offset:1536
	ds_load_b128 v[44:47], v21 offset:96
	;; [unrolled: 1-line block ×4, first 2 shown]
	v_add_f64_e32 v[26:27], v[58:59], v[30:31]
	s_wait_dscnt 0x2
	v_mul_f64_e32 v[60:61], v[44:45], v[42:43]
	v_mul_f64_e32 v[42:43], v[46:47], v[42:43]
	v_add_f64_e32 v[2:3], v[2:3], v[16:17]
	s_wait_dscnt 0x0
	v_mul_f64_e32 v[16:17], v[48:49], v[54:55]
	v_mul_f64_e32 v[54:55], v[50:51], v[54:55]
	v_add_f64_e32 v[58:59], v[26:27], v[24:25]
	v_fma_f64 v[46:47], v[46:47], v[40:41], v[60:61]
	v_fma_f64 v[40:41], v[44:45], v[40:41], -v[42:43]
	v_add_f64_e32 v[2:3], v[2:3], v[34:35]
	ds_load_b128 v[24:27], v20 offset:2048
	ds_load_b128 v[28:31], v21 offset:128
	ds_load_b128 v[32:35], v21 offset:144
	ds_load_b128 v[36:39], v20 offset:2304
	v_fma_f64 v[16:17], v[50:51], v[52:53], v[16:17]
	v_add_f64_e32 v[42:43], v[58:59], v[56:57]
	v_fma_f64 v[58:59], v[48:49], v[52:53], -v[54:55]
	s_wait_dscnt 0x2
	v_mul_f64_e32 v[60:61], v[28:29], v[26:27]
	v_mul_f64_e32 v[26:27], v[30:31], v[26:27]
	s_wait_dscnt 0x0
	v_mul_f64_e32 v[56:57], v[32:33], v[38:39]
	v_mul_f64_e32 v[38:39], v[34:35], v[38:39]
	v_add_f64_e32 v[2:3], v[2:3], v[46:47]
	v_fma_f64 v[30:31], v[30:31], v[24:25], v[60:61]
	v_add_f64_e32 v[60:61], v[42:43], v[40:41]
	ds_load_b128 v[40:43], v20 offset:2560
	ds_load_b128 v[44:47], v21 offset:160
	;; [unrolled: 1-line block ×4, first 2 shown]
	v_fma_f64 v[34:35], v[34:35], v[36:37], v[56:57]
	v_fma_f64 v[24:25], v[28:29], v[24:25], -v[26:27]
	v_add_f64_e32 v[2:3], v[2:3], v[16:17]
	s_wait_dscnt 0x2
	v_mul_f64_e32 v[16:17], v[44:45], v[42:43]
	v_mul_f64_e32 v[42:43], v[46:47], v[42:43]
	s_wait_dscnt 0x0
	v_mul_f64_e32 v[56:57], v[48:49], v[54:55]
	v_mul_f64_e32 v[54:55], v[50:51], v[54:55]
	v_add_f64_e32 v[26:27], v[60:61], v[58:59]
	v_add_f64_e32 v[2:3], v[2:3], v[30:31]
	v_fma_f64 v[16:17], v[46:47], v[40:41], v[16:17]
	v_fma_f64 v[46:47], v[32:33], v[36:37], -v[38:39]
	v_fma_f64 v[50:51], v[50:51], v[52:53], v[56:57]
	v_fma_f64 v[40:41], v[44:45], v[40:41], -v[42:43]
	v_fma_f64 v[56:57], v[48:49], v[52:53], -v[54:55]
	v_add_f64_e32 v[58:59], v[26:27], v[24:25]
	v_add_f64_e32 v[2:3], v[2:3], v[34:35]
	ds_load_b128 v[24:27], v20 offset:3072
	ds_load_b128 v[28:31], v21 offset:192
	;; [unrolled: 1-line block ×4, first 2 shown]
	s_wait_dscnt 0x2
	v_mul_f64_e32 v[60:61], v[28:29], v[26:27]
	v_add_f64_e32 v[42:43], v[58:59], v[46:47]
	v_mul_f64_e32 v[26:27], v[30:31], v[26:27]
	v_add_f64_e32 v[2:3], v[2:3], v[16:17]
	s_wait_dscnt 0x0
	v_mul_f64_e32 v[16:17], v[32:33], v[38:39]
	v_mul_f64_e32 v[38:39], v[34:35], v[38:39]
	v_fma_f64 v[30:31], v[30:31], v[24:25], v[60:61]
	v_add_f64_e32 v[58:59], v[42:43], v[40:41]
	v_fma_f64 v[24:25], v[28:29], v[24:25], -v[26:27]
	v_add_f64_e32 v[2:3], v[2:3], v[50:51]
	ds_load_b128 v[40:43], v20 offset:3584
	ds_load_b128 v[44:47], v21 offset:224
	;; [unrolled: 1-line block ×4, first 2 shown]
	v_fma_f64 v[16:17], v[34:35], v[36:37], v[16:17]
	v_fma_f64 v[32:33], v[32:33], v[36:37], -v[38:39]
	s_wait_dscnt 0x2
	v_mul_f64_e32 v[60:61], v[44:45], v[42:43]
	v_add_f64_e32 v[26:27], v[58:59], v[56:57]
	s_wait_dscnt 0x0
	v_mul_f64_e32 v[28:29], v[48:49], v[54:55]
	v_add_f64_e32 v[2:3], v[2:3], v[30:31]
	v_mul_f64_e32 v[30:31], v[46:47], v[42:43]
	v_fma_f64 v[34:35], v[46:47], v[40:41], v[60:61]
	v_add_f64_e32 v[24:25], v[26:27], v[24:25]
	v_fma_f64 v[26:27], v[50:51], v[52:53], v[28:29]
	v_add_f64_e32 v[2:3], v[2:3], v[16:17]
	v_mul_f64_e32 v[16:17], v[50:51], v[54:55]
	v_fma_f64 v[28:29], v[44:45], v[40:41], -v[30:31]
	v_add_f64_e32 v[24:25], v[24:25], v[32:33]
	s_delay_alu instid0(VALU_DEP_4) | instskip(NEXT) | instid1(VALU_DEP_4)
	v_add_f64_e32 v[2:3], v[2:3], v[34:35]
	v_fma_f64 v[16:17], v[48:49], v[52:53], -v[16:17]
	s_delay_alu instid0(VALU_DEP_3) | instskip(NEXT) | instid1(VALU_DEP_3)
	v_add_f64_e32 v[24:25], v[24:25], v[28:29]
	v_add_f64_e32 v[2:3], v[2:3], v[26:27]
	s_delay_alu instid0(VALU_DEP_2) | instskip(NEXT) | instid1(VALU_DEP_2)
	v_add_f64_e32 v[16:17], v[24:25], v[16:17]
	v_mul_f64_e32 v[24:25], v[4:5], v[2:3]
	v_mul_f64_e32 v[2:3], v[6:7], v[2:3]
	s_delay_alu instid0(VALU_DEP_2) | instskip(NEXT) | instid1(VALU_DEP_2)
	v_fma_f64 v[6:7], v[6:7], v[16:17], v[24:25]
	v_fma_f64 v[4:5], v[4:5], v[16:17], -v[2:3]
	v_add_co_u32 v2, vcc_lo, v14, s18
	s_wait_alu 0xfffd
	v_add_co_ci_u32_e64 v3, null, s19, v15, vcc_lo
	s_delay_alu instid0(VALU_DEP_2) | instskip(SKIP_1) | instid1(VALU_DEP_2)
	v_add_co_u32 v2, vcc_lo, v2, s22
	s_wait_alu 0xfffd
	v_add_co_ci_u32_e64 v3, null, s23, v3, vcc_lo
	s_delay_alu instid0(VALU_DEP_2) | instskip(SKIP_1) | instid1(VALU_DEP_2)
	;; [unrolled: 4-line block ×3, first 2 shown]
	v_add_co_u32 v2, vcc_lo, v2, v23
	s_wait_alu 0xfffd
	v_add_co_ci_u32_e64 v3, null, 0, v3, vcc_lo
	flat_store_b128 v[2:3], v[4:7]
	s_branch .LBB184_2
.LBB184_19:
	s_endpgm
	.section	.rodata,"a",@progbits
	.p2align	6, 0x0
	.amdhsa_kernel _ZL23rocblas_trmm_lTx_kernelILi16ELb1E19rocblas_complex_numIdEPKS1_KS3_KPS1_Ev13rocblas_fill_17rocblas_diagonal_iiT2_lPT3_llSB_llPT4_lli
		.amdhsa_group_segment_fixed_size 8192
		.amdhsa_private_segment_fixed_size 0
		.amdhsa_kernarg_size 108
		.amdhsa_user_sgpr_count 2
		.amdhsa_user_sgpr_dispatch_ptr 0
		.amdhsa_user_sgpr_queue_ptr 0
		.amdhsa_user_sgpr_kernarg_segment_ptr 1
		.amdhsa_user_sgpr_dispatch_id 0
		.amdhsa_user_sgpr_private_segment_size 0
		.amdhsa_wavefront_size32 1
		.amdhsa_uses_dynamic_stack 0
		.amdhsa_enable_private_segment 0
		.amdhsa_system_sgpr_workgroup_id_x 1
		.amdhsa_system_sgpr_workgroup_id_y 0
		.amdhsa_system_sgpr_workgroup_id_z 1
		.amdhsa_system_sgpr_workgroup_info 0
		.amdhsa_system_vgpr_workitem_id 1
		.amdhsa_next_free_vgpr 62
		.amdhsa_next_free_sgpr 40
		.amdhsa_reserve_vcc 1
		.amdhsa_float_round_mode_32 0
		.amdhsa_float_round_mode_16_64 0
		.amdhsa_float_denorm_mode_32 3
		.amdhsa_float_denorm_mode_16_64 3
		.amdhsa_fp16_overflow 0
		.amdhsa_workgroup_processor_mode 1
		.amdhsa_memory_ordered 1
		.amdhsa_forward_progress 1
		.amdhsa_inst_pref_size 17
		.amdhsa_round_robin_scheduling 0
		.amdhsa_exception_fp_ieee_invalid_op 0
		.amdhsa_exception_fp_denorm_src 0
		.amdhsa_exception_fp_ieee_div_zero 0
		.amdhsa_exception_fp_ieee_overflow 0
		.amdhsa_exception_fp_ieee_underflow 0
		.amdhsa_exception_fp_ieee_inexact 0
		.amdhsa_exception_int_div_zero 0
	.end_amdhsa_kernel
	.section	.text._ZL23rocblas_trmm_lTx_kernelILi16ELb1E19rocblas_complex_numIdEPKS1_KS3_KPS1_Ev13rocblas_fill_17rocblas_diagonal_iiT2_lPT3_llSB_llPT4_lli,"axG",@progbits,_ZL23rocblas_trmm_lTx_kernelILi16ELb1E19rocblas_complex_numIdEPKS1_KS3_KPS1_Ev13rocblas_fill_17rocblas_diagonal_iiT2_lPT3_llSB_llPT4_lli,comdat
.Lfunc_end184:
	.size	_ZL23rocblas_trmm_lTx_kernelILi16ELb1E19rocblas_complex_numIdEPKS1_KS3_KPS1_Ev13rocblas_fill_17rocblas_diagonal_iiT2_lPT3_llSB_llPT4_lli, .Lfunc_end184-_ZL23rocblas_trmm_lTx_kernelILi16ELb1E19rocblas_complex_numIdEPKS1_KS3_KPS1_Ev13rocblas_fill_17rocblas_diagonal_iiT2_lPT3_llSB_llPT4_lli
                                        ; -- End function
	.set _ZL23rocblas_trmm_lTx_kernelILi16ELb1E19rocblas_complex_numIdEPKS1_KS3_KPS1_Ev13rocblas_fill_17rocblas_diagonal_iiT2_lPT3_llSB_llPT4_lli.num_vgpr, 62
	.set _ZL23rocblas_trmm_lTx_kernelILi16ELb1E19rocblas_complex_numIdEPKS1_KS3_KPS1_Ev13rocblas_fill_17rocblas_diagonal_iiT2_lPT3_llSB_llPT4_lli.num_agpr, 0
	.set _ZL23rocblas_trmm_lTx_kernelILi16ELb1E19rocblas_complex_numIdEPKS1_KS3_KPS1_Ev13rocblas_fill_17rocblas_diagonal_iiT2_lPT3_llSB_llPT4_lli.numbered_sgpr, 40
	.set _ZL23rocblas_trmm_lTx_kernelILi16ELb1E19rocblas_complex_numIdEPKS1_KS3_KPS1_Ev13rocblas_fill_17rocblas_diagonal_iiT2_lPT3_llSB_llPT4_lli.num_named_barrier, 0
	.set _ZL23rocblas_trmm_lTx_kernelILi16ELb1E19rocblas_complex_numIdEPKS1_KS3_KPS1_Ev13rocblas_fill_17rocblas_diagonal_iiT2_lPT3_llSB_llPT4_lli.private_seg_size, 0
	.set _ZL23rocblas_trmm_lTx_kernelILi16ELb1E19rocblas_complex_numIdEPKS1_KS3_KPS1_Ev13rocblas_fill_17rocblas_diagonal_iiT2_lPT3_llSB_llPT4_lli.uses_vcc, 1
	.set _ZL23rocblas_trmm_lTx_kernelILi16ELb1E19rocblas_complex_numIdEPKS1_KS3_KPS1_Ev13rocblas_fill_17rocblas_diagonal_iiT2_lPT3_llSB_llPT4_lli.uses_flat_scratch, 0
	.set _ZL23rocblas_trmm_lTx_kernelILi16ELb1E19rocblas_complex_numIdEPKS1_KS3_KPS1_Ev13rocblas_fill_17rocblas_diagonal_iiT2_lPT3_llSB_llPT4_lli.has_dyn_sized_stack, 0
	.set _ZL23rocblas_trmm_lTx_kernelILi16ELb1E19rocblas_complex_numIdEPKS1_KS3_KPS1_Ev13rocblas_fill_17rocblas_diagonal_iiT2_lPT3_llSB_llPT4_lli.has_recursion, 0
	.set _ZL23rocblas_trmm_lTx_kernelILi16ELb1E19rocblas_complex_numIdEPKS1_KS3_KPS1_Ev13rocblas_fill_17rocblas_diagonal_iiT2_lPT3_llSB_llPT4_lli.has_indirect_call, 0
	.section	.AMDGPU.csdata,"",@progbits
; Kernel info:
; codeLenInByte = 2056
; TotalNumSgprs: 42
; NumVgprs: 62
; ScratchSize: 0
; MemoryBound: 0
; FloatMode: 240
; IeeeMode: 1
; LDSByteSize: 8192 bytes/workgroup (compile time only)
; SGPRBlocks: 0
; VGPRBlocks: 7
; NumSGPRsForWavesPerEU: 42
; NumVGPRsForWavesPerEU: 62
; Occupancy: 16
; WaveLimiterHint : 1
; COMPUTE_PGM_RSRC2:SCRATCH_EN: 0
; COMPUTE_PGM_RSRC2:USER_SGPR: 2
; COMPUTE_PGM_RSRC2:TRAP_HANDLER: 0
; COMPUTE_PGM_RSRC2:TGID_X_EN: 1
; COMPUTE_PGM_RSRC2:TGID_Y_EN: 0
; COMPUTE_PGM_RSRC2:TGID_Z_EN: 1
; COMPUTE_PGM_RSRC2:TIDIG_COMP_CNT: 1
	.section	.text._ZL23rocblas_trmm_lTx_kernelILi16ELb1E19rocblas_complex_numIdES1_KPKS1_KPS1_Ev13rocblas_fill_17rocblas_diagonal_iiT2_lPT3_llSB_llPT4_lli,"axG",@progbits,_ZL23rocblas_trmm_lTx_kernelILi16ELb1E19rocblas_complex_numIdES1_KPKS1_KPS1_Ev13rocblas_fill_17rocblas_diagonal_iiT2_lPT3_llSB_llPT4_lli,comdat
	.globl	_ZL23rocblas_trmm_lTx_kernelILi16ELb1E19rocblas_complex_numIdES1_KPKS1_KPS1_Ev13rocblas_fill_17rocblas_diagonal_iiT2_lPT3_llSB_llPT4_lli ; -- Begin function _ZL23rocblas_trmm_lTx_kernelILi16ELb1E19rocblas_complex_numIdES1_KPKS1_KPS1_Ev13rocblas_fill_17rocblas_diagonal_iiT2_lPT3_llSB_llPT4_lli
	.p2align	8
	.type	_ZL23rocblas_trmm_lTx_kernelILi16ELb1E19rocblas_complex_numIdES1_KPKS1_KPS1_Ev13rocblas_fill_17rocblas_diagonal_iiT2_lPT3_llSB_llPT4_lli,@function
_ZL23rocblas_trmm_lTx_kernelILi16ELb1E19rocblas_complex_numIdES1_KPKS1_KPS1_Ev13rocblas_fill_17rocblas_diagonal_iiT2_lPT3_llSB_llPT4_lli: ; @_ZL23rocblas_trmm_lTx_kernelILi16ELb1E19rocblas_complex_numIdES1_KPKS1_KPS1_Ev13rocblas_fill_17rocblas_diagonal_iiT2_lPT3_llSB_llPT4_lli
; %bb.0:
	s_load_b32 s33, s[0:1], 0x70
	s_lshr_b32 s6, ttmp7, 16
	s_wait_kmcnt 0x0
	s_cmp_ge_u32 s6, s33
	s_cbranch_scc1 .LBB185_19
; %bb.1:
	s_clause 0x2
	s_load_b256 s[24:31], s[0:1], 0x0
	s_load_b512 s[8:23], s[0:1], 0x28
	s_load_b64 s[34:35], s[0:1], 0x68
	v_bfe_u32 v12, v0, 10, 10
	v_dual_mov_b32 v0, 0 :: v_dual_and_b32 v13, 0x3ff, v0
	v_mov_b32_e32 v1, 0x3ff00000
	s_mov_b32 s7, 0
	s_delay_alu instid0(VALU_DEP_3) | instskip(NEXT) | instid1(VALU_DEP_3)
	v_lshlrev_b32_e32 v2, 4, v12
	v_cmp_eq_u32_e32 vcc_lo, v12, v13
	v_cmp_lt_u32_e64 s0, v13, v12
	v_cmp_gt_u32_e64 s1, v13, v12
	v_lshl_add_u32 v15, v12, 8, 0x1000
	v_add_lshl_u32 v17, v2, v13, 4
	s_delay_alu instid0(VALU_DEP_1)
	v_add_nc_u32_e32 v19, 0x1000, v17
	s_wait_kmcnt 0x0
	v_cmp_neq_f64_e64 s4, s[28:29], 0
	v_cmp_neq_f64_e64 s5, s[30:31], 0
	v_mad_co_u64_u32 v[6:7], null, s16, v12, 0
	v_lshlrev_b32_e32 v3, 8, v13
	v_mad_co_u64_u32 v[8:9], null, s22, v12, 0
	s_add_co_i32 s3, s27, -1
	v_lshlrev_b32_e32 v14, 4, v13
	v_cmp_gt_i32_e64 s2, s26, v12
	v_mov_b32_e32 v4, v7
	v_add_nc_u32_e32 v18, v2, v3
	v_mad_co_u64_u32 v[2:3], null, s10, v12, 0
	s_ashr_i32 s10, s3, 31
	v_mov_b32_e32 v5, v9
	s_wait_alu 0xfffe
	s_lshr_b32 s10, s10, 28
	s_wait_alu 0xfffe
	s_add_co_i32 s10, s3, s10
	v_cmp_gt_i32_e64 s3, s26, v13
	v_mad_co_u64_u32 v[9:10], null, s11, v12, v[3:4]
	s_wait_alu 0xfffe
	s_and_b32 s11, s10, -16
	s_ashr_i32 s10, s10, 4
	s_wait_alu 0xfffe
	s_sub_co_i32 s11, s27, s11
	v_mad_co_u64_u32 v[10:11], null, s17, v12, v[4:5]
	v_mad_co_u64_u32 v[4:5], null, s23, v12, v[5:6]
	v_dual_mov_b32 v3, v9 :: v_dual_lshlrev_b32 v16, 4, v13
	s_delay_alu instid0(VALU_DEP_3) | instskip(NEXT) | instid1(VALU_DEP_3)
	v_mov_b32_e32 v7, v10
	v_mov_b32_e32 v9, v4
	s_delay_alu instid0(VALU_DEP_3) | instskip(NEXT) | instid1(VALU_DEP_3)
	v_lshlrev_b64_e32 v[4:5], 4, v[2:3]
	v_lshlrev_b64_e32 v[6:7], 4, v[6:7]
	s_or_b32 s26, s4, s5
	s_cmp_ge_i32 ttmp9, s10
	v_lshlrev_b64_e32 v[8:9], 4, v[8:9]
	s_wait_alu 0xfffe
	s_cselect_b32 s4, s11, 16
	s_lshl_b32 s10, ttmp9, 4
	v_cmp_gt_i32_e64 s4, s4, v12
	s_and_b32 s27, s2, s3
	s_wait_alu 0xfffe
	s_ashr_i32 s11, s10, 31
	s_wait_alu 0xfffe
	s_mul_u64 s[16:17], s[16:17], s[10:11]
	s_and_b32 s36, s3, s4
	s_cmp_eq_u32 s25, 0x84
	s_mul_u64 s[38:39], s[22:23], s[10:11]
	s_cselect_b32 s2, -1, 0
	s_delay_alu instid0(SALU_CYCLE_1)
	s_and_b32 s25, vcc_lo, s2
	s_cmp_lg_u32 s24, 0x7a
	s_cselect_b32 s22, -1, 0
	s_lshl_b64 s[2:3], s[12:13], 4
	s_lshl_b64 s[4:5], s[18:19], 4
	s_wait_alu 0xfffe
	s_lshl_b64 s[10:11], s[16:17], 4
	s_lshl_b64 s[12:13], s[34:35], 4
	;; [unrolled: 1-line block ×3, first 2 shown]
	s_branch .LBB185_4
.LBB185_2:                              ;   in Loop: Header=BB185_4 Depth=1
	s_or_b32 exec_lo, exec_lo, s18
.LBB185_3:                              ;   in Loop: Header=BB185_4 Depth=1
	s_add_co_i32 s6, s6, 0x10000
	s_delay_alu instid0(SALU_CYCLE_1)
	s_cmp_lt_u32 s6, s33
	s_cbranch_scc0 .LBB185_19
.LBB185_4:                              ; =>This Inner Loop Header: Depth=1
	s_and_not1_b32 vcc_lo, exec_lo, s26
	s_wait_alu 0xfffe
	s_cbranch_vccnz .LBB185_3
; %bb.5:                                ;   in Loop: Header=BB185_4 Depth=1
	s_lshl_b64 s[18:19], s[6:7], 3
	s_mov_b32 s40, s7
	s_add_nc_u64 s[34:35], s[8:9], s[18:19]
	s_add_nc_u64 s[38:39], s[14:15], s[18:19]
	;; [unrolled: 1-line block ×3, first 2 shown]
	s_clause 0x2
	global_load_b64 v[12:13], v0, s[34:35]
	global_load_b64 v[2:3], v0, s[38:39]
	;; [unrolled: 1-line block ×3, first 2 shown]
	s_mov_b32 s41, s7
	s_mov_b32 s42, s7
	;; [unrolled: 1-line block ×3, first 2 shown]
	s_wait_alu 0xfffe
	v_dual_mov_b32 v20, s40 :: v_dual_mov_b32 v21, s41
	v_dual_mov_b32 v22, s42 :: v_dual_mov_b32 v23, s43
	ds_store_b128 v17, v[20:23]
	ds_store_b128 v19, v[20:23]
	s_wait_loadcnt_dscnt 0x0
	s_barrier_signal -1
	s_barrier_wait -1
	global_inv scope:SCOPE_SE
	s_and_saveexec_b32 s18, s27
	s_cbranch_execnz .LBB185_11
; %bb.6:                                ;   in Loop: Header=BB185_4 Depth=1
	s_or_b32 exec_lo, exec_lo, s18
	s_and_saveexec_b32 s18, s36
	s_cbranch_execnz .LBB185_12
.LBB185_7:                              ;   in Loop: Header=BB185_4 Depth=1
	s_or_b32 exec_lo, exec_lo, s18
	s_and_saveexec_b32 s18, s25
.LBB185_8:                              ;   in Loop: Header=BB185_4 Depth=1
	v_dual_mov_b32 v2, v0 :: v_dual_mov_b32 v3, v0
	ds_store_b128 v17, v[0:3]
.LBB185_9:                              ;   in Loop: Header=BB185_4 Depth=1
	s_or_b32 exec_lo, exec_lo, s18
	s_delay_alu instid0(SALU_CYCLE_1)
	s_and_b32 vcc_lo, exec_lo, s22
	s_wait_loadcnt_dscnt 0x0
	s_barrier_signal -1
	s_barrier_wait -1
	global_inv scope:SCOPE_SE
	s_wait_alu 0xfffe
	s_cbranch_vccz .LBB185_13
; %bb.10:                               ;   in Loop: Header=BB185_4 Depth=1
	s_and_b32 s18, s0, exec_lo
	s_cbranch_execz .LBB185_14
	s_branch .LBB185_15
.LBB185_11:                             ;   in Loop: Header=BB185_4 Depth=1
	v_add_co_u32 v12, vcc_lo, v12, s2
	s_wait_alu 0xfffd
	v_add_co_ci_u32_e64 v13, null, s3, v13, vcc_lo
	s_delay_alu instid0(VALU_DEP_2) | instskip(SKIP_1) | instid1(VALU_DEP_2)
	v_add_co_u32 v12, vcc_lo, v12, v4
	s_wait_alu 0xfffd
	v_add_co_ci_u32_e64 v13, null, v13, v5, vcc_lo
	s_delay_alu instid0(VALU_DEP_2) | instskip(SKIP_1) | instid1(VALU_DEP_2)
	v_add_co_u32 v12, vcc_lo, v12, v16
	s_wait_alu 0xfffd
	v_add_co_ci_u32_e64 v13, null, 0, v13, vcc_lo
	flat_load_b128 v[20:23], v[12:13]
	s_wait_loadcnt_dscnt 0x0
	v_xor_b32_e32 v23, 0x80000000, v23
	ds_store_b128 v18, v[20:23]
	s_or_b32 exec_lo, exec_lo, s18
	s_and_saveexec_b32 s18, s36
	s_cbranch_execz .LBB185_7
.LBB185_12:                             ;   in Loop: Header=BB185_4 Depth=1
	v_add_co_u32 v2, vcc_lo, v2, s4
	s_wait_alu 0xfffd
	v_add_co_ci_u32_e64 v3, null, s5, v3, vcc_lo
	s_wait_alu 0xfffe
	s_delay_alu instid0(VALU_DEP_2) | instskip(SKIP_1) | instid1(VALU_DEP_2)
	v_add_co_u32 v2, vcc_lo, v2, s10
	s_wait_alu 0xfffd
	v_add_co_ci_u32_e64 v3, null, s11, v3, vcc_lo
	s_delay_alu instid0(VALU_DEP_2) | instskip(SKIP_1) | instid1(VALU_DEP_2)
	v_add_co_u32 v2, vcc_lo, v2, v6
	s_wait_alu 0xfffd
	v_add_co_ci_u32_e64 v3, null, v3, v7, vcc_lo
	;; [unrolled: 4-line block ×3, first 2 shown]
	flat_load_b128 v[20:23], v[2:3]
	s_wait_loadcnt_dscnt 0x0
	ds_store_2addr_b64 v19, v[20:21], v[22:23] offset1:1
	s_or_b32 exec_lo, exec_lo, s18
	s_and_saveexec_b32 s18, s25
	s_cbranch_execnz .LBB185_8
	s_branch .LBB185_9
.LBB185_13:                             ;   in Loop: Header=BB185_4 Depth=1
	s_mov_b32 s18, 0
.LBB185_14:                             ;   in Loop: Header=BB185_4 Depth=1
	s_delay_alu instid0(SALU_CYCLE_1) | instskip(SKIP_1) | instid1(SALU_CYCLE_1)
	s_and_not1_b32 s18, s18, exec_lo
	s_and_b32 s19, s1, exec_lo
	s_or_b32 s18, s18, s19
.LBB185_15:                             ;   in Loop: Header=BB185_4 Depth=1
	s_delay_alu instid0(SALU_CYCLE_1)
	s_and_saveexec_b32 s19, s18
; %bb.16:                               ;   in Loop: Header=BB185_4 Depth=1
	v_dual_mov_b32 v20, v0 :: v_dual_mov_b32 v21, v0
	v_dual_mov_b32 v22, v0 :: v_dual_mov_b32 v23, v0
	ds_store_b128 v17, v[20:23]
; %bb.17:                               ;   in Loop: Header=BB185_4 Depth=1
	s_or_b32 exec_lo, exec_lo, s19
	s_wait_loadcnt_dscnt 0x0
	s_barrier_signal -1
	s_barrier_wait -1
	global_inv scope:SCOPE_SE
	s_and_saveexec_b32 s18, s36
	s_cbranch_execz .LBB185_2
; %bb.18:                               ;   in Loop: Header=BB185_4 Depth=1
	ds_load_b128 v[20:23], v14
	ds_load_b128 v[24:27], v15
	ds_load_b128 v[28:31], v15 offset:16
	ds_load_b128 v[32:35], v14 offset:256
	;; [unrolled: 1-line block ×6, first 2 shown]
	s_wait_dscnt 0x6
	v_mul_f64_e32 v[2:3], v[24:25], v[22:23]
	v_mul_f64_e32 v[22:23], v[26:27], v[22:23]
	s_wait_dscnt 0x4
	v_mul_f64_e32 v[12:13], v[28:29], v[34:35]
	v_mul_f64_e32 v[34:35], v[30:31], v[34:35]
	;; [unrolled: 3-line block ×3, first 2 shown]
	v_fma_f64 v[2:3], v[26:27], v[20:21], v[2:3]
	v_mul_f64_e32 v[26:27], v[40:41], v[38:39]
	v_fma_f64 v[12:13], v[30:31], v[32:33], v[12:13]
	v_fma_f64 v[20:21], v[24:25], v[20:21], -v[22:23]
	v_mul_f64_e32 v[38:39], v[42:43], v[38:39]
	v_fma_f64 v[54:55], v[28:29], v[32:33], -v[34:35]
	v_fma_f64 v[46:47], v[46:47], v[48:49], v[52:53]
	v_add_f64_e32 v[2:3], 0, v[2:3]
	v_fma_f64 v[42:43], v[42:43], v[36:37], v[26:27]
	v_add_f64_e32 v[56:57], 0, v[20:21]
	ds_load_b128 v[20:23], v14 offset:1024
	ds_load_b128 v[24:27], v15 offset:64
	;; [unrolled: 1-line block ×4, first 2 shown]
	v_fma_f64 v[36:37], v[40:41], v[36:37], -v[38:39]
	s_wait_dscnt 0x0
	v_mul_f64_e32 v[52:53], v[28:29], v[34:35]
	v_mul_f64_e32 v[34:35], v[30:31], v[34:35]
	v_add_f64_e32 v[2:3], v[2:3], v[12:13]
	v_mul_f64_e32 v[12:13], v[24:25], v[22:23]
	v_mul_f64_e32 v[22:23], v[26:27], v[22:23]
	v_add_f64_e32 v[38:39], v[56:57], v[54:55]
	v_fma_f64 v[30:31], v[30:31], v[32:33], v[52:53]
	v_fma_f64 v[52:53], v[28:29], v[32:33], -v[34:35]
	v_add_f64_e32 v[2:3], v[2:3], v[42:43]
	v_fma_f64 v[12:13], v[26:27], v[20:21], v[12:13]
	v_fma_f64 v[26:27], v[44:45], v[48:49], -v[50:51]
	v_add_f64_e32 v[54:55], v[38:39], v[36:37]
	v_fma_f64 v[20:21], v[24:25], v[20:21], -v[22:23]
	v_add_f64_e32 v[2:3], v[2:3], v[46:47]
	ds_load_b128 v[36:39], v14 offset:1536
	ds_load_b128 v[40:43], v15 offset:96
	;; [unrolled: 1-line block ×4, first 2 shown]
	v_add_f64_e32 v[22:23], v[54:55], v[26:27]
	s_wait_dscnt 0x2
	v_mul_f64_e32 v[56:57], v[40:41], v[38:39]
	v_mul_f64_e32 v[38:39], v[42:43], v[38:39]
	v_add_f64_e32 v[2:3], v[2:3], v[12:13]
	s_wait_dscnt 0x0
	v_mul_f64_e32 v[12:13], v[44:45], v[50:51]
	v_mul_f64_e32 v[50:51], v[46:47], v[50:51]
	v_add_f64_e32 v[54:55], v[22:23], v[20:21]
	v_fma_f64 v[42:43], v[42:43], v[36:37], v[56:57]
	v_fma_f64 v[36:37], v[40:41], v[36:37], -v[38:39]
	v_add_f64_e32 v[2:3], v[2:3], v[30:31]
	ds_load_b128 v[20:23], v14 offset:2048
	ds_load_b128 v[24:27], v15 offset:128
	;; [unrolled: 1-line block ×4, first 2 shown]
	v_fma_f64 v[12:13], v[46:47], v[48:49], v[12:13]
	v_add_f64_e32 v[38:39], v[54:55], v[52:53]
	v_fma_f64 v[54:55], v[44:45], v[48:49], -v[50:51]
	s_wait_dscnt 0x2
	v_mul_f64_e32 v[56:57], v[24:25], v[22:23]
	v_mul_f64_e32 v[22:23], v[26:27], v[22:23]
	s_wait_dscnt 0x0
	v_mul_f64_e32 v[52:53], v[28:29], v[34:35]
	v_mul_f64_e32 v[34:35], v[30:31], v[34:35]
	v_add_f64_e32 v[2:3], v[2:3], v[42:43]
	v_fma_f64 v[26:27], v[26:27], v[20:21], v[56:57]
	v_add_f64_e32 v[56:57], v[38:39], v[36:37]
	ds_load_b128 v[36:39], v14 offset:2560
	ds_load_b128 v[40:43], v15 offset:160
	;; [unrolled: 1-line block ×4, first 2 shown]
	v_fma_f64 v[30:31], v[30:31], v[32:33], v[52:53]
	v_fma_f64 v[20:21], v[24:25], v[20:21], -v[22:23]
	v_add_f64_e32 v[2:3], v[2:3], v[12:13]
	s_wait_dscnt 0x2
	v_mul_f64_e32 v[12:13], v[40:41], v[38:39]
	v_mul_f64_e32 v[38:39], v[42:43], v[38:39]
	s_wait_dscnt 0x0
	v_mul_f64_e32 v[52:53], v[44:45], v[50:51]
	v_mul_f64_e32 v[50:51], v[46:47], v[50:51]
	v_add_f64_e32 v[22:23], v[56:57], v[54:55]
	v_add_f64_e32 v[2:3], v[2:3], v[26:27]
	v_fma_f64 v[12:13], v[42:43], v[36:37], v[12:13]
	v_fma_f64 v[42:43], v[28:29], v[32:33], -v[34:35]
	v_fma_f64 v[46:47], v[46:47], v[48:49], v[52:53]
	v_fma_f64 v[36:37], v[40:41], v[36:37], -v[38:39]
	v_fma_f64 v[52:53], v[44:45], v[48:49], -v[50:51]
	v_add_f64_e32 v[54:55], v[22:23], v[20:21]
	v_add_f64_e32 v[2:3], v[2:3], v[30:31]
	ds_load_b128 v[20:23], v14 offset:3072
	ds_load_b128 v[24:27], v15 offset:192
	;; [unrolled: 1-line block ×4, first 2 shown]
	s_wait_dscnt 0x2
	v_mul_f64_e32 v[56:57], v[24:25], v[22:23]
	v_add_f64_e32 v[38:39], v[54:55], v[42:43]
	v_mul_f64_e32 v[22:23], v[26:27], v[22:23]
	v_add_f64_e32 v[2:3], v[2:3], v[12:13]
	s_wait_dscnt 0x0
	v_mul_f64_e32 v[12:13], v[28:29], v[34:35]
	v_mul_f64_e32 v[34:35], v[30:31], v[34:35]
	v_fma_f64 v[26:27], v[26:27], v[20:21], v[56:57]
	v_add_f64_e32 v[54:55], v[38:39], v[36:37]
	v_fma_f64 v[20:21], v[24:25], v[20:21], -v[22:23]
	v_add_f64_e32 v[2:3], v[2:3], v[46:47]
	ds_load_b128 v[36:39], v14 offset:3584
	ds_load_b128 v[40:43], v15 offset:224
	;; [unrolled: 1-line block ×4, first 2 shown]
	v_fma_f64 v[12:13], v[30:31], v[32:33], v[12:13]
	v_fma_f64 v[28:29], v[28:29], v[32:33], -v[34:35]
	s_wait_dscnt 0x2
	v_mul_f64_e32 v[56:57], v[40:41], v[38:39]
	v_add_f64_e32 v[22:23], v[54:55], v[52:53]
	s_wait_dscnt 0x0
	v_mul_f64_e32 v[24:25], v[44:45], v[50:51]
	v_add_f64_e32 v[2:3], v[2:3], v[26:27]
	v_mul_f64_e32 v[26:27], v[42:43], v[38:39]
	v_fma_f64 v[30:31], v[42:43], v[36:37], v[56:57]
	v_add_f64_e32 v[20:21], v[22:23], v[20:21]
	v_fma_f64 v[22:23], v[46:47], v[48:49], v[24:25]
	v_add_f64_e32 v[2:3], v[2:3], v[12:13]
	v_mul_f64_e32 v[12:13], v[46:47], v[50:51]
	v_fma_f64 v[24:25], v[40:41], v[36:37], -v[26:27]
	v_add_f64_e32 v[20:21], v[20:21], v[28:29]
	s_delay_alu instid0(VALU_DEP_4) | instskip(NEXT) | instid1(VALU_DEP_4)
	v_add_f64_e32 v[2:3], v[2:3], v[30:31]
	v_fma_f64 v[12:13], v[44:45], v[48:49], -v[12:13]
	s_delay_alu instid0(VALU_DEP_3) | instskip(NEXT) | instid1(VALU_DEP_3)
	v_add_f64_e32 v[20:21], v[20:21], v[24:25]
	v_add_f64_e32 v[2:3], v[2:3], v[22:23]
	s_delay_alu instid0(VALU_DEP_2) | instskip(NEXT) | instid1(VALU_DEP_2)
	v_add_f64_e32 v[12:13], v[20:21], v[12:13]
	v_mul_f64_e32 v[20:21], s[28:29], v[2:3]
	v_mul_f64_e32 v[2:3], s[30:31], v[2:3]
	s_delay_alu instid0(VALU_DEP_2) | instskip(NEXT) | instid1(VALU_DEP_2)
	v_fma_f64 v[22:23], s[30:31], v[12:13], v[20:21]
	v_fma_f64 v[20:21], s[28:29], v[12:13], -v[2:3]
	v_add_co_u32 v2, vcc_lo, v10, s12
	s_wait_alu 0xfffd
	v_add_co_ci_u32_e64 v3, null, s13, v11, vcc_lo
	s_wait_alu 0xfffe
	s_delay_alu instid0(VALU_DEP_2) | instskip(SKIP_1) | instid1(VALU_DEP_2)
	v_add_co_u32 v2, vcc_lo, v2, s16
	s_wait_alu 0xfffd
	v_add_co_ci_u32_e64 v3, null, s17, v3, vcc_lo
	s_delay_alu instid0(VALU_DEP_2) | instskip(SKIP_1) | instid1(VALU_DEP_2)
	v_add_co_u32 v2, vcc_lo, v2, v8
	s_wait_alu 0xfffd
	v_add_co_ci_u32_e64 v3, null, v3, v9, vcc_lo
	;; [unrolled: 4-line block ×3, first 2 shown]
	flat_store_b128 v[2:3], v[20:23]
	s_branch .LBB185_2
.LBB185_19:
	s_endpgm
	.section	.rodata,"a",@progbits
	.p2align	6, 0x0
	.amdhsa_kernel _ZL23rocblas_trmm_lTx_kernelILi16ELb1E19rocblas_complex_numIdES1_KPKS1_KPS1_Ev13rocblas_fill_17rocblas_diagonal_iiT2_lPT3_llSB_llPT4_lli
		.amdhsa_group_segment_fixed_size 8192
		.amdhsa_private_segment_fixed_size 0
		.amdhsa_kernarg_size 116
		.amdhsa_user_sgpr_count 2
		.amdhsa_user_sgpr_dispatch_ptr 0
		.amdhsa_user_sgpr_queue_ptr 0
		.amdhsa_user_sgpr_kernarg_segment_ptr 1
		.amdhsa_user_sgpr_dispatch_id 0
		.amdhsa_user_sgpr_private_segment_size 0
		.amdhsa_wavefront_size32 1
		.amdhsa_uses_dynamic_stack 0
		.amdhsa_enable_private_segment 0
		.amdhsa_system_sgpr_workgroup_id_x 1
		.amdhsa_system_sgpr_workgroup_id_y 0
		.amdhsa_system_sgpr_workgroup_id_z 1
		.amdhsa_system_sgpr_workgroup_info 0
		.amdhsa_system_vgpr_workitem_id 1
		.amdhsa_next_free_vgpr 58
		.amdhsa_next_free_sgpr 44
		.amdhsa_reserve_vcc 1
		.amdhsa_float_round_mode_32 0
		.amdhsa_float_round_mode_16_64 0
		.amdhsa_float_denorm_mode_32 3
		.amdhsa_float_denorm_mode_16_64 3
		.amdhsa_fp16_overflow 0
		.amdhsa_workgroup_processor_mode 1
		.amdhsa_memory_ordered 1
		.amdhsa_forward_progress 1
		.amdhsa_inst_pref_size 16
		.amdhsa_round_robin_scheduling 0
		.amdhsa_exception_fp_ieee_invalid_op 0
		.amdhsa_exception_fp_denorm_src 0
		.amdhsa_exception_fp_ieee_div_zero 0
		.amdhsa_exception_fp_ieee_overflow 0
		.amdhsa_exception_fp_ieee_underflow 0
		.amdhsa_exception_fp_ieee_inexact 0
		.amdhsa_exception_int_div_zero 0
	.end_amdhsa_kernel
	.section	.text._ZL23rocblas_trmm_lTx_kernelILi16ELb1E19rocblas_complex_numIdES1_KPKS1_KPS1_Ev13rocblas_fill_17rocblas_diagonal_iiT2_lPT3_llSB_llPT4_lli,"axG",@progbits,_ZL23rocblas_trmm_lTx_kernelILi16ELb1E19rocblas_complex_numIdES1_KPKS1_KPS1_Ev13rocblas_fill_17rocblas_diagonal_iiT2_lPT3_llSB_llPT4_lli,comdat
.Lfunc_end185:
	.size	_ZL23rocblas_trmm_lTx_kernelILi16ELb1E19rocblas_complex_numIdES1_KPKS1_KPS1_Ev13rocblas_fill_17rocblas_diagonal_iiT2_lPT3_llSB_llPT4_lli, .Lfunc_end185-_ZL23rocblas_trmm_lTx_kernelILi16ELb1E19rocblas_complex_numIdES1_KPKS1_KPS1_Ev13rocblas_fill_17rocblas_diagonal_iiT2_lPT3_llSB_llPT4_lli
                                        ; -- End function
	.set _ZL23rocblas_trmm_lTx_kernelILi16ELb1E19rocblas_complex_numIdES1_KPKS1_KPS1_Ev13rocblas_fill_17rocblas_diagonal_iiT2_lPT3_llSB_llPT4_lli.num_vgpr, 58
	.set _ZL23rocblas_trmm_lTx_kernelILi16ELb1E19rocblas_complex_numIdES1_KPKS1_KPS1_Ev13rocblas_fill_17rocblas_diagonal_iiT2_lPT3_llSB_llPT4_lli.num_agpr, 0
	.set _ZL23rocblas_trmm_lTx_kernelILi16ELb1E19rocblas_complex_numIdES1_KPKS1_KPS1_Ev13rocblas_fill_17rocblas_diagonal_iiT2_lPT3_llSB_llPT4_lli.numbered_sgpr, 44
	.set _ZL23rocblas_trmm_lTx_kernelILi16ELb1E19rocblas_complex_numIdES1_KPKS1_KPS1_Ev13rocblas_fill_17rocblas_diagonal_iiT2_lPT3_llSB_llPT4_lli.num_named_barrier, 0
	.set _ZL23rocblas_trmm_lTx_kernelILi16ELb1E19rocblas_complex_numIdES1_KPKS1_KPS1_Ev13rocblas_fill_17rocblas_diagonal_iiT2_lPT3_llSB_llPT4_lli.private_seg_size, 0
	.set _ZL23rocblas_trmm_lTx_kernelILi16ELb1E19rocblas_complex_numIdES1_KPKS1_KPS1_Ev13rocblas_fill_17rocblas_diagonal_iiT2_lPT3_llSB_llPT4_lli.uses_vcc, 1
	.set _ZL23rocblas_trmm_lTx_kernelILi16ELb1E19rocblas_complex_numIdES1_KPKS1_KPS1_Ev13rocblas_fill_17rocblas_diagonal_iiT2_lPT3_llSB_llPT4_lli.uses_flat_scratch, 0
	.set _ZL23rocblas_trmm_lTx_kernelILi16ELb1E19rocblas_complex_numIdES1_KPKS1_KPS1_Ev13rocblas_fill_17rocblas_diagonal_iiT2_lPT3_llSB_llPT4_lli.has_dyn_sized_stack, 0
	.set _ZL23rocblas_trmm_lTx_kernelILi16ELb1E19rocblas_complex_numIdES1_KPKS1_KPS1_Ev13rocblas_fill_17rocblas_diagonal_iiT2_lPT3_llSB_llPT4_lli.has_recursion, 0
	.set _ZL23rocblas_trmm_lTx_kernelILi16ELb1E19rocblas_complex_numIdES1_KPKS1_KPS1_Ev13rocblas_fill_17rocblas_diagonal_iiT2_lPT3_llSB_llPT4_lli.has_indirect_call, 0
	.section	.AMDGPU.csdata,"",@progbits
; Kernel info:
; codeLenInByte = 2028
; TotalNumSgprs: 46
; NumVgprs: 58
; ScratchSize: 0
; MemoryBound: 0
; FloatMode: 240
; IeeeMode: 1
; LDSByteSize: 8192 bytes/workgroup (compile time only)
; SGPRBlocks: 0
; VGPRBlocks: 7
; NumSGPRsForWavesPerEU: 46
; NumVGPRsForWavesPerEU: 58
; Occupancy: 16
; WaveLimiterHint : 1
; COMPUTE_PGM_RSRC2:SCRATCH_EN: 0
; COMPUTE_PGM_RSRC2:USER_SGPR: 2
; COMPUTE_PGM_RSRC2:TRAP_HANDLER: 0
; COMPUTE_PGM_RSRC2:TGID_X_EN: 1
; COMPUTE_PGM_RSRC2:TGID_Y_EN: 0
; COMPUTE_PGM_RSRC2:TGID_Z_EN: 1
; COMPUTE_PGM_RSRC2:TIDIG_COMP_CNT: 1
	.section	.text._ZL23rocblas_trmm_rNx_kernelILi16E19rocblas_complex_numIdEPKS1_KS3_KPS1_Ev13rocblas_fill_17rocblas_diagonal_iiT1_lPT2_llSB_llPT3_lli,"axG",@progbits,_ZL23rocblas_trmm_rNx_kernelILi16E19rocblas_complex_numIdEPKS1_KS3_KPS1_Ev13rocblas_fill_17rocblas_diagonal_iiT1_lPT2_llSB_llPT3_lli,comdat
	.globl	_ZL23rocblas_trmm_rNx_kernelILi16E19rocblas_complex_numIdEPKS1_KS3_KPS1_Ev13rocblas_fill_17rocblas_diagonal_iiT1_lPT2_llSB_llPT3_lli ; -- Begin function _ZL23rocblas_trmm_rNx_kernelILi16E19rocblas_complex_numIdEPKS1_KS3_KPS1_Ev13rocblas_fill_17rocblas_diagonal_iiT1_lPT2_llSB_llPT3_lli
	.p2align	8
	.type	_ZL23rocblas_trmm_rNx_kernelILi16E19rocblas_complex_numIdEPKS1_KS3_KPS1_Ev13rocblas_fill_17rocblas_diagonal_iiT1_lPT2_llSB_llPT3_lli,@function
_ZL23rocblas_trmm_rNx_kernelILi16E19rocblas_complex_numIdEPKS1_KS3_KPS1_Ev13rocblas_fill_17rocblas_diagonal_iiT1_lPT2_llSB_llPT3_lli: ; @_ZL23rocblas_trmm_rNx_kernelILi16E19rocblas_complex_numIdEPKS1_KS3_KPS1_Ev13rocblas_fill_17rocblas_diagonal_iiT1_lPT2_llSB_llPT3_lli
; %bb.0:
	s_load_b32 s30, s[0:1], 0x68
	s_lshr_b32 s28, ttmp7, 16
	s_wait_kmcnt 0x0
	s_cmp_ge_u32 s28, s30
	s_cbranch_scc1 .LBB186_19
; %bb.1:
	s_clause 0x3
	s_load_b128 s[24:27], s[0:1], 0x0
	s_load_b512 s[4:19], s[0:1], 0x10
	s_load_b128 s[20:23], s[0:1], 0x50
	s_load_b64 s[2:3], s[0:1], 0x60
	v_bfe_u32 v11, v0, 10, 10
	v_and_b32_e32 v14, 0x3ff, v0
	s_mov_b32 s29, 0
	s_delay_alu instid0(VALU_DEP_2) | instskip(NEXT) | instid1(VALU_DEP_2)
	v_lshlrev_b32_e32 v0, 4, v11
	v_cmp_eq_u32_e32 vcc_lo, v11, v14
	v_lshl_add_u32 v18, v14, 4, 0x1000
	v_lshlrev_b32_e32 v20, 4, v14
	v_lshlrev_b32_e32 v19, 8, v11
	s_wait_kmcnt 0x0
	s_add_co_i32 s1, s26, -1
	v_mad_co_u64_u32 v[1:2], null, s10, v11, 0
	v_mad_co_u64_u32 v[3:4], null, s16, v11, 0
	s_ashr_i32 s10, s1, 31
	v_mad_co_u64_u32 v[5:6], null, s22, v11, 0
	s_wait_alu 0xfffe
	s_lshr_b32 s10, s10, 28
	v_cmp_gt_i32_e64 s0, s27, v11
	s_wait_alu 0xfffe
	s_add_co_i32 s10, s1, s10
	v_mad_co_u64_u32 v[7:8], null, s11, v11, v[2:3]
	s_wait_alu 0xfffe
	s_ashr_i32 s16, s10, 4
	s_and_b32 s10, s10, -16
	v_cmp_gt_i32_e64 s1, s27, v14
	s_wait_alu 0xfffe
	s_sub_co_i32 s10, s26, s10
	s_cmp_ge_i32 ttmp9, s16
	v_mad_co_u64_u32 v[8:9], null, s17, v11, v[4:5]
	v_mad_co_u64_u32 v[9:10], null, s23, v11, v[6:7]
	s_wait_alu 0xfffe
	s_cselect_b32 s10, s10, 16
	s_and_b32 s22, s0, s1
	s_wait_alu 0xfffe
	v_cmp_gt_i32_e64 s1, s10, v14
	v_mov_b32_e32 v2, v7
	s_lshl_b32 s16, ttmp9, 4
	v_mov_b32_e32 v4, v8
	s_wait_alu 0xfffe
	s_ashr_i32 s17, s16, 31
	s_and_b32 s26, s0, s1
	v_mov_b32_e32 v6, v9
	s_cmp_eq_u32 s25, 0x84
	v_lshlrev_b64_e32 v[8:9], 4, v[1:2]
	v_mov_b32_e32 v1, 0x3ff00000
	v_add_lshl_u32 v16, v0, v14, 4
	s_cselect_b32 s0, -1, 0
	v_cmp_gt_u32_e64 s1, v14, v11
	s_and_b32 s23, vcc_lo, s0
	v_cmp_lt_u32_e64 s0, v14, v11
	v_lshlrev_b64_e32 v[10:11], 4, v[3:4]
	v_lshlrev_b64_e32 v[12:13], 4, v[5:6]
	v_dual_mov_b32 v0, 0 :: v_dual_add_nc_u32 v17, 0x1000, v16
	s_cmp_lg_u32 s24, 0x79
	s_cselect_b32 s24, -1, 0
	s_lshl_b64 s[10:11], s[12:13], 4
	s_lshl_b64 s[12:13], s[18:19], 4
	s_wait_alu 0xfffe
	s_lshl_b64 s[16:17], s[16:17], 4
	s_lshl_b64 s[18:19], s[2:3], 4
	s_branch .LBB186_4
.LBB186_2:                              ;   in Loop: Header=BB186_4 Depth=1
	s_or_b32 exec_lo, exec_lo, s2
.LBB186_3:                              ;   in Loop: Header=BB186_4 Depth=1
	s_add_co_i32 s28, s28, 0x10000
	s_delay_alu instid0(SALU_CYCLE_1)
	s_cmp_lt_u32 s28, s30
	s_cbranch_scc0 .LBB186_19
.LBB186_4:                              ; =>This Inner Loop Header: Depth=1
	s_mul_u64 s[2:3], s[6:7], s[28:29]
	s_delay_alu instid0(SALU_CYCLE_1) | instskip(NEXT) | instid1(SALU_CYCLE_1)
	s_lshl_b64 s[2:3], s[2:3], 4
	s_add_nc_u64 s[2:3], s[4:5], s[2:3]
	global_load_b128 v[4:7], v0, s[2:3]
	s_wait_loadcnt 0x0
	v_cmp_neq_f64_e32 vcc_lo, 0, v[4:5]
	v_cmp_neq_f64_e64 s2, 0, v[6:7]
	s_or_b32 s2, vcc_lo, s2
	s_delay_alu instid0(SALU_CYCLE_1)
	s_and_not1_b32 vcc_lo, exec_lo, s2
	s_wait_alu 0xfffe
	s_cbranch_vccnz .LBB186_3
; %bb.5:                                ;   in Loop: Header=BB186_4 Depth=1
	s_lshl_b64 s[2:3], s[28:29], 3
	s_mov_b32 s38, s29
	s_add_nc_u64 s[34:35], s[14:15], s[2:3]
	s_add_nc_u64 s[36:37], s[20:21], s[2:3]
	s_clause 0x1
	global_load_b64 v[2:3], v0, s[34:35]
	global_load_b64 v[14:15], v0, s[36:37]
	s_mov_b32 s36, s29
	s_mov_b32 s37, s29
	s_mov_b32 s39, s29
	s_wait_alu 0xfffe
	v_dual_mov_b32 v21, s36 :: v_dual_mov_b32 v22, s37
	v_dual_mov_b32 v23, s38 :: v_dual_mov_b32 v24, s39
	ds_store_b128 v16, v[21:24]
	ds_store_b128 v17, v[21:24]
	s_and_saveexec_b32 s25, s22
	s_cbranch_execnz .LBB186_10
; %bb.6:                                ;   in Loop: Header=BB186_4 Depth=1
	s_or_b32 exec_lo, exec_lo, s25
	s_and_saveexec_b32 s2, s26
	s_cbranch_execnz .LBB186_11
.LBB186_7:                              ;   in Loop: Header=BB186_4 Depth=1
	s_or_b32 exec_lo, exec_lo, s2
	s_and_saveexec_b32 s2, s23
	s_cbranch_execnz .LBB186_12
.LBB186_8:                              ;   in Loop: Header=BB186_4 Depth=1
	s_or_b32 exec_lo, exec_lo, s2
	s_delay_alu instid0(SALU_CYCLE_1)
	s_and_b32 vcc_lo, exec_lo, s24
	s_wait_alu 0xfffe
	s_cbranch_vccz .LBB186_13
.LBB186_9:                              ;   in Loop: Header=BB186_4 Depth=1
	s_and_b32 s2, s0, exec_lo
	s_cbranch_execz .LBB186_14
	s_branch .LBB186_15
.LBB186_10:                             ;   in Loop: Header=BB186_4 Depth=1
	s_add_nc_u64 s[2:3], s[8:9], s[2:3]
	global_load_b64 v[21:22], v0, s[2:3]
	s_wait_loadcnt 0x0
	v_add_co_u32 v21, vcc_lo, v21, s10
	s_wait_alu 0xfffd
	v_add_co_ci_u32_e64 v22, null, s11, v22, vcc_lo
	s_delay_alu instid0(VALU_DEP_2) | instskip(SKIP_1) | instid1(VALU_DEP_2)
	v_add_co_u32 v21, vcc_lo, v21, v8
	s_wait_alu 0xfffd
	v_add_co_ci_u32_e64 v22, null, v22, v9, vcc_lo
	s_delay_alu instid0(VALU_DEP_2) | instskip(SKIP_1) | instid1(VALU_DEP_2)
	v_add_co_u32 v21, vcc_lo, v21, v20
	s_wait_alu 0xfffd
	v_add_co_ci_u32_e64 v22, null, 0, v22, vcc_lo
	flat_load_b128 v[21:24], v[21:22]
	s_wait_loadcnt_dscnt 0x0
	ds_store_2addr_b64 v16, v[21:22], v[23:24] offset1:1
	s_or_b32 exec_lo, exec_lo, s25
	s_and_saveexec_b32 s2, s26
	s_cbranch_execz .LBB186_7
.LBB186_11:                             ;   in Loop: Header=BB186_4 Depth=1
	s_wait_loadcnt 0x1
	v_add_co_u32 v2, vcc_lo, v2, s12
	s_wait_alu 0xfffd
	v_add_co_ci_u32_e64 v3, null, s13, v3, vcc_lo
	s_wait_alu 0xfffe
	s_delay_alu instid0(VALU_DEP_2) | instskip(SKIP_1) | instid1(VALU_DEP_2)
	v_add_co_u32 v2, vcc_lo, v2, s16
	s_wait_alu 0xfffd
	v_add_co_ci_u32_e64 v3, null, s17, v3, vcc_lo
	s_delay_alu instid0(VALU_DEP_2) | instskip(SKIP_1) | instid1(VALU_DEP_2)
	v_add_co_u32 v2, vcc_lo, v2, v10
	s_wait_alu 0xfffd
	v_add_co_ci_u32_e64 v3, null, v3, v11, vcc_lo
	;; [unrolled: 4-line block ×3, first 2 shown]
	flat_load_b128 v[21:24], v[2:3]
	s_wait_loadcnt_dscnt 0x0
	ds_store_2addr_b64 v17, v[21:22], v[23:24] offset1:1
	s_or_b32 exec_lo, exec_lo, s2
	s_and_saveexec_b32 s2, s23
	s_cbranch_execz .LBB186_8
.LBB186_12:                             ;   in Loop: Header=BB186_4 Depth=1
	s_wait_loadcnt 0x1
	v_dual_mov_b32 v2, v0 :: v_dual_mov_b32 v3, v0
	ds_store_b128 v16, v[0:3]
	s_or_b32 exec_lo, exec_lo, s2
	s_delay_alu instid0(SALU_CYCLE_1)
	s_and_b32 vcc_lo, exec_lo, s24
	s_wait_alu 0xfffe
	s_cbranch_vccnz .LBB186_9
.LBB186_13:                             ;   in Loop: Header=BB186_4 Depth=1
	s_mov_b32 s2, 0
.LBB186_14:                             ;   in Loop: Header=BB186_4 Depth=1
	s_delay_alu instid0(SALU_CYCLE_1) | instskip(SKIP_1) | instid1(SALU_CYCLE_1)
	s_and_not1_b32 s2, s2, exec_lo
	s_and_b32 s3, s1, exec_lo
	s_or_b32 s2, s2, s3
.LBB186_15:                             ;   in Loop: Header=BB186_4 Depth=1
	s_delay_alu instid0(SALU_CYCLE_1)
	s_and_saveexec_b32 s3, s2
; %bb.16:                               ;   in Loop: Header=BB186_4 Depth=1
	v_dual_mov_b32 v21, v0 :: v_dual_mov_b32 v22, v0
	v_dual_mov_b32 v23, v0 :: v_dual_mov_b32 v24, v0
	ds_store_b128 v16, v[21:24]
; %bb.17:                               ;   in Loop: Header=BB186_4 Depth=1
	s_or_b32 exec_lo, exec_lo, s3
	s_wait_loadcnt_dscnt 0x0
	s_barrier_signal -1
	s_barrier_wait -1
	global_inv scope:SCOPE_SE
	s_and_saveexec_b32 s2, s26
	s_cbranch_execz .LBB186_2
; %bb.18:                               ;   in Loop: Header=BB186_4 Depth=1
	ds_load_b128 v[21:24], v18
	ds_load_b128 v[25:28], v19
	ds_load_b128 v[29:32], v19 offset:16
	ds_load_b128 v[33:36], v18 offset:256
	;; [unrolled: 1-line block ×6, first 2 shown]
	s_wait_dscnt 0x6
	v_mul_f64_e32 v[2:3], v[25:26], v[23:24]
	v_mul_f64_e32 v[23:24], v[27:28], v[23:24]
	s_wait_dscnt 0x4
	v_mul_f64_e32 v[53:54], v[29:30], v[35:36]
	v_mul_f64_e32 v[35:36], v[31:32], v[35:36]
	s_delay_alu instid0(VALU_DEP_4) | instskip(SKIP_2) | instid1(VALU_DEP_4)
	v_fma_f64 v[2:3], v[27:28], v[21:22], v[2:3]
	s_wait_dscnt 0x2
	v_mul_f64_e32 v[27:28], v[41:42], v[39:40]
	v_fma_f64 v[31:32], v[31:32], v[33:34], v[53:54]
	v_fma_f64 v[21:22], v[25:26], v[21:22], -v[23:24]
	s_wait_dscnt 0x0
	v_mul_f64_e32 v[53:54], v[45:46], v[51:52]
	v_mul_f64_e32 v[39:40], v[43:44], v[39:40]
	v_fma_f64 v[55:56], v[29:30], v[33:34], -v[35:36]
	v_mul_f64_e32 v[51:52], v[47:48], v[51:52]
	v_add_f64_e32 v[2:3], 0, v[2:3]
	v_fma_f64 v[43:44], v[43:44], v[37:38], v[27:28]
	v_add_f64_e32 v[57:58], 0, v[21:22]
	v_fma_f64 v[47:48], v[47:48], v[49:50], v[53:54]
	v_fma_f64 v[37:38], v[41:42], v[37:38], -v[39:40]
	v_add_f64_e32 v[2:3], v[2:3], v[31:32]
	ds_load_b128 v[21:24], v18 offset:1024
	ds_load_b128 v[25:28], v19 offset:64
	ds_load_b128 v[29:32], v19 offset:80
	ds_load_b128 v[33:36], v18 offset:1280
	v_add_f64_e32 v[39:40], v[57:58], v[55:56]
	v_fma_f64 v[55:56], v[45:46], v[49:50], -v[51:52]
	s_wait_dscnt 0x2
	v_mul_f64_e32 v[59:60], v[25:26], v[23:24]
	v_mul_f64_e32 v[23:24], v[27:28], v[23:24]
	s_wait_dscnt 0x0
	v_mul_f64_e32 v[53:54], v[29:30], v[35:36]
	v_mul_f64_e32 v[35:36], v[31:32], v[35:36]
	v_add_f64_e32 v[2:3], v[2:3], v[43:44]
	v_add_f64_e32 v[57:58], v[39:40], v[37:38]
	v_fma_f64 v[27:28], v[27:28], v[21:22], v[59:60]
	v_fma_f64 v[21:22], v[25:26], v[21:22], -v[23:24]
	v_fma_f64 v[31:32], v[31:32], v[33:34], v[53:54]
	v_add_f64_e32 v[2:3], v[2:3], v[47:48]
	ds_load_b128 v[37:40], v18 offset:1536
	ds_load_b128 v[41:44], v19 offset:96
	ds_load_b128 v[45:48], v19 offset:112
	ds_load_b128 v[49:52], v18 offset:1792
	v_add_f64_e32 v[23:24], v[57:58], v[55:56]
	v_fma_f64 v[55:56], v[29:30], v[33:34], -v[35:36]
	s_wait_dscnt 0x2
	v_mul_f64_e32 v[59:60], v[41:42], v[39:40]
	v_mul_f64_e32 v[39:40], v[43:44], v[39:40]
	s_wait_dscnt 0x0
	v_mul_f64_e32 v[53:54], v[45:46], v[51:52]
	v_mul_f64_e32 v[51:52], v[47:48], v[51:52]
	v_add_f64_e32 v[2:3], v[2:3], v[27:28]
	v_add_f64_e32 v[57:58], v[23:24], v[21:22]
	v_fma_f64 v[43:44], v[43:44], v[37:38], v[59:60]
	v_fma_f64 v[37:38], v[41:42], v[37:38], -v[39:40]
	v_fma_f64 v[47:48], v[47:48], v[49:50], v[53:54]
	;; [unrolled: 18-line block ×5, first 2 shown]
	v_fma_f64 v[29:30], v[29:30], v[33:34], -v[35:36]
	v_add_f64_e32 v[2:3], v[2:3], v[47:48]
	ds_load_b128 v[37:40], v18 offset:3584
	ds_load_b128 v[41:44], v19 offset:224
	;; [unrolled: 1-line block ×4, first 2 shown]
	v_add_f64_e32 v[23:24], v[57:58], v[55:56]
	s_wait_dscnt 0x2
	v_mul_f64_e32 v[59:60], v[41:42], v[39:40]
	s_wait_dscnt 0x0
	v_mul_f64_e32 v[25:26], v[45:46], v[51:52]
	v_add_f64_e32 v[2:3], v[2:3], v[27:28]
	v_mul_f64_e32 v[27:28], v[43:44], v[39:40]
	v_add_f64_e32 v[21:22], v[23:24], v[21:22]
	v_mul_f64_e32 v[23:24], v[47:48], v[51:52]
	v_fma_f64 v[39:40], v[43:44], v[37:38], v[59:60]
	v_fma_f64 v[25:26], v[47:48], v[49:50], v[25:26]
	v_add_f64_e32 v[2:3], v[2:3], v[31:32]
	v_fma_f64 v[27:28], v[41:42], v[37:38], -v[27:28]
	v_add_f64_e32 v[21:22], v[21:22], v[29:30]
	v_fma_f64 v[23:24], v[45:46], v[49:50], -v[23:24]
	s_delay_alu instid0(VALU_DEP_4) | instskip(NEXT) | instid1(VALU_DEP_3)
	v_add_f64_e32 v[2:3], v[2:3], v[39:40]
	v_add_f64_e32 v[21:22], v[21:22], v[27:28]
	s_delay_alu instid0(VALU_DEP_2) | instskip(NEXT) | instid1(VALU_DEP_2)
	v_add_f64_e32 v[2:3], v[2:3], v[25:26]
	v_add_f64_e32 v[21:22], v[21:22], v[23:24]
	s_delay_alu instid0(VALU_DEP_2) | instskip(SKIP_1) | instid1(VALU_DEP_2)
	v_mul_f64_e32 v[23:24], v[4:5], v[2:3]
	v_mul_f64_e32 v[2:3], v[6:7], v[2:3]
	v_fma_f64 v[6:7], v[6:7], v[21:22], v[23:24]
	s_delay_alu instid0(VALU_DEP_2) | instskip(SKIP_4) | instid1(VALU_DEP_2)
	v_fma_f64 v[4:5], v[4:5], v[21:22], -v[2:3]
	v_add_co_u32 v2, vcc_lo, v14, s18
	s_wait_alu 0xfffd
	v_add_co_ci_u32_e64 v3, null, s19, v15, vcc_lo
	s_wait_alu 0xfffe
	v_add_co_u32 v2, vcc_lo, v2, s16
	s_wait_alu 0xfffd
	s_delay_alu instid0(VALU_DEP_2) | instskip(NEXT) | instid1(VALU_DEP_2)
	v_add_co_ci_u32_e64 v3, null, s17, v3, vcc_lo
	v_add_co_u32 v2, vcc_lo, v2, v12
	s_wait_alu 0xfffd
	s_delay_alu instid0(VALU_DEP_2) | instskip(NEXT) | instid1(VALU_DEP_2)
	v_add_co_ci_u32_e64 v3, null, v3, v13, vcc_lo
	v_add_co_u32 v2, vcc_lo, v2, v20
	s_wait_alu 0xfffd
	s_delay_alu instid0(VALU_DEP_2)
	v_add_co_ci_u32_e64 v3, null, 0, v3, vcc_lo
	flat_store_b128 v[2:3], v[4:7]
	s_branch .LBB186_2
.LBB186_19:
	s_endpgm
	.section	.rodata,"a",@progbits
	.p2align	6, 0x0
	.amdhsa_kernel _ZL23rocblas_trmm_rNx_kernelILi16E19rocblas_complex_numIdEPKS1_KS3_KPS1_Ev13rocblas_fill_17rocblas_diagonal_iiT1_lPT2_llSB_llPT3_lli
		.amdhsa_group_segment_fixed_size 8192
		.amdhsa_private_segment_fixed_size 0
		.amdhsa_kernarg_size 108
		.amdhsa_user_sgpr_count 2
		.amdhsa_user_sgpr_dispatch_ptr 0
		.amdhsa_user_sgpr_queue_ptr 0
		.amdhsa_user_sgpr_kernarg_segment_ptr 1
		.amdhsa_user_sgpr_dispatch_id 0
		.amdhsa_user_sgpr_private_segment_size 0
		.amdhsa_wavefront_size32 1
		.amdhsa_uses_dynamic_stack 0
		.amdhsa_enable_private_segment 0
		.amdhsa_system_sgpr_workgroup_id_x 1
		.amdhsa_system_sgpr_workgroup_id_y 0
		.amdhsa_system_sgpr_workgroup_id_z 1
		.amdhsa_system_sgpr_workgroup_info 0
		.amdhsa_system_vgpr_workitem_id 1
		.amdhsa_next_free_vgpr 61
		.amdhsa_next_free_sgpr 40
		.amdhsa_reserve_vcc 1
		.amdhsa_float_round_mode_32 0
		.amdhsa_float_round_mode_16_64 0
		.amdhsa_float_denorm_mode_32 3
		.amdhsa_float_denorm_mode_16_64 3
		.amdhsa_fp16_overflow 0
		.amdhsa_workgroup_processor_mode 1
		.amdhsa_memory_ordered 1
		.amdhsa_forward_progress 1
		.amdhsa_inst_pref_size 16
		.amdhsa_round_robin_scheduling 0
		.amdhsa_exception_fp_ieee_invalid_op 0
		.amdhsa_exception_fp_denorm_src 0
		.amdhsa_exception_fp_ieee_div_zero 0
		.amdhsa_exception_fp_ieee_overflow 0
		.amdhsa_exception_fp_ieee_underflow 0
		.amdhsa_exception_fp_ieee_inexact 0
		.amdhsa_exception_int_div_zero 0
	.end_amdhsa_kernel
	.section	.text._ZL23rocblas_trmm_rNx_kernelILi16E19rocblas_complex_numIdEPKS1_KS3_KPS1_Ev13rocblas_fill_17rocblas_diagonal_iiT1_lPT2_llSB_llPT3_lli,"axG",@progbits,_ZL23rocblas_trmm_rNx_kernelILi16E19rocblas_complex_numIdEPKS1_KS3_KPS1_Ev13rocblas_fill_17rocblas_diagonal_iiT1_lPT2_llSB_llPT3_lli,comdat
.Lfunc_end186:
	.size	_ZL23rocblas_trmm_rNx_kernelILi16E19rocblas_complex_numIdEPKS1_KS3_KPS1_Ev13rocblas_fill_17rocblas_diagonal_iiT1_lPT2_llSB_llPT3_lli, .Lfunc_end186-_ZL23rocblas_trmm_rNx_kernelILi16E19rocblas_complex_numIdEPKS1_KS3_KPS1_Ev13rocblas_fill_17rocblas_diagonal_iiT1_lPT2_llSB_llPT3_lli
                                        ; -- End function
	.set _ZL23rocblas_trmm_rNx_kernelILi16E19rocblas_complex_numIdEPKS1_KS3_KPS1_Ev13rocblas_fill_17rocblas_diagonal_iiT1_lPT2_llSB_llPT3_lli.num_vgpr, 61
	.set _ZL23rocblas_trmm_rNx_kernelILi16E19rocblas_complex_numIdEPKS1_KS3_KPS1_Ev13rocblas_fill_17rocblas_diagonal_iiT1_lPT2_llSB_llPT3_lli.num_agpr, 0
	.set _ZL23rocblas_trmm_rNx_kernelILi16E19rocblas_complex_numIdEPKS1_KS3_KPS1_Ev13rocblas_fill_17rocblas_diagonal_iiT1_lPT2_llSB_llPT3_lli.numbered_sgpr, 40
	.set _ZL23rocblas_trmm_rNx_kernelILi16E19rocblas_complex_numIdEPKS1_KS3_KPS1_Ev13rocblas_fill_17rocblas_diagonal_iiT1_lPT2_llSB_llPT3_lli.num_named_barrier, 0
	.set _ZL23rocblas_trmm_rNx_kernelILi16E19rocblas_complex_numIdEPKS1_KS3_KPS1_Ev13rocblas_fill_17rocblas_diagonal_iiT1_lPT2_llSB_llPT3_lli.private_seg_size, 0
	.set _ZL23rocblas_trmm_rNx_kernelILi16E19rocblas_complex_numIdEPKS1_KS3_KPS1_Ev13rocblas_fill_17rocblas_diagonal_iiT1_lPT2_llSB_llPT3_lli.uses_vcc, 1
	.set _ZL23rocblas_trmm_rNx_kernelILi16E19rocblas_complex_numIdEPKS1_KS3_KPS1_Ev13rocblas_fill_17rocblas_diagonal_iiT1_lPT2_llSB_llPT3_lli.uses_flat_scratch, 0
	.set _ZL23rocblas_trmm_rNx_kernelILi16E19rocblas_complex_numIdEPKS1_KS3_KPS1_Ev13rocblas_fill_17rocblas_diagonal_iiT1_lPT2_llSB_llPT3_lli.has_dyn_sized_stack, 0
	.set _ZL23rocblas_trmm_rNx_kernelILi16E19rocblas_complex_numIdEPKS1_KS3_KPS1_Ev13rocblas_fill_17rocblas_diagonal_iiT1_lPT2_llSB_llPT3_lli.has_recursion, 0
	.set _ZL23rocblas_trmm_rNx_kernelILi16E19rocblas_complex_numIdEPKS1_KS3_KPS1_Ev13rocblas_fill_17rocblas_diagonal_iiT1_lPT2_llSB_llPT3_lli.has_indirect_call, 0
	.section	.AMDGPU.csdata,"",@progbits
; Kernel info:
; codeLenInByte = 2012
; TotalNumSgprs: 42
; NumVgprs: 61
; ScratchSize: 0
; MemoryBound: 0
; FloatMode: 240
; IeeeMode: 1
; LDSByteSize: 8192 bytes/workgroup (compile time only)
; SGPRBlocks: 0
; VGPRBlocks: 7
; NumSGPRsForWavesPerEU: 42
; NumVGPRsForWavesPerEU: 61
; Occupancy: 16
; WaveLimiterHint : 1
; COMPUTE_PGM_RSRC2:SCRATCH_EN: 0
; COMPUTE_PGM_RSRC2:USER_SGPR: 2
; COMPUTE_PGM_RSRC2:TRAP_HANDLER: 0
; COMPUTE_PGM_RSRC2:TGID_X_EN: 1
; COMPUTE_PGM_RSRC2:TGID_Y_EN: 0
; COMPUTE_PGM_RSRC2:TGID_Z_EN: 1
; COMPUTE_PGM_RSRC2:TIDIG_COMP_CNT: 1
	.section	.text._ZL23rocblas_trmm_rNx_kernelILi16E19rocblas_complex_numIdES1_KPKS1_KPS1_Ev13rocblas_fill_17rocblas_diagonal_iiT1_lPT2_llSB_llPT3_lli,"axG",@progbits,_ZL23rocblas_trmm_rNx_kernelILi16E19rocblas_complex_numIdES1_KPKS1_KPS1_Ev13rocblas_fill_17rocblas_diagonal_iiT1_lPT2_llSB_llPT3_lli,comdat
	.globl	_ZL23rocblas_trmm_rNx_kernelILi16E19rocblas_complex_numIdES1_KPKS1_KPS1_Ev13rocblas_fill_17rocblas_diagonal_iiT1_lPT2_llSB_llPT3_lli ; -- Begin function _ZL23rocblas_trmm_rNx_kernelILi16E19rocblas_complex_numIdES1_KPKS1_KPS1_Ev13rocblas_fill_17rocblas_diagonal_iiT1_lPT2_llSB_llPT3_lli
	.p2align	8
	.type	_ZL23rocblas_trmm_rNx_kernelILi16E19rocblas_complex_numIdES1_KPKS1_KPS1_Ev13rocblas_fill_17rocblas_diagonal_iiT1_lPT2_llSB_llPT3_lli,@function
_ZL23rocblas_trmm_rNx_kernelILi16E19rocblas_complex_numIdES1_KPKS1_KPS1_Ev13rocblas_fill_17rocblas_diagonal_iiT1_lPT2_llSB_llPT3_lli: ; @_ZL23rocblas_trmm_rNx_kernelILi16E19rocblas_complex_numIdES1_KPKS1_KPS1_Ev13rocblas_fill_17rocblas_diagonal_iiT1_lPT2_llSB_llPT3_lli
; %bb.0:
	s_load_b32 s33, s[0:1], 0x70
	s_lshr_b32 s6, ttmp7, 16
	s_wait_kmcnt 0x0
	s_cmp_ge_u32 s6, s33
	s_cbranch_scc1 .LBB187_19
; %bb.1:
	s_clause 0x2
	s_load_b256 s[24:31], s[0:1], 0x0
	s_load_b512 s[8:23], s[0:1], 0x28
	s_load_b64 s[34:35], s[0:1], 0x68
	v_bfe_u32 v17, v0, 10, 10
	s_mov_b32 s7, 0
	s_delay_alu instid0(VALU_DEP_1)
	v_dual_mov_b32 v1, 0x3ff00000 :: v_dual_lshlrev_b32 v2, 4, v17
	s_wait_kmcnt 0x0
	v_cmp_neq_f64_e64 s4, s[28:29], 0
	v_cmp_neq_f64_e64 s5, s[30:31], 0
	v_mad_co_u64_u32 v[8:9], null, s22, v17, 0
	v_and_b32_e32 v18, 0x3ff, v0
	v_mad_co_u64_u32 v[6:7], null, s16, v17, 0
	s_add_co_i32 s36, s26, -1
	v_cmp_gt_i32_e64 s2, s27, v17
	v_dual_mov_b32 v0, 0 :: v_dual_mov_b32 v5, v9
	v_add_lshl_u32 v12, v2, v18, 4
	v_mad_co_u64_u32 v[2:3], null, s10, v17, 0
	s_ashr_i32 s10, s36, 31
	v_dual_mov_b32 v4, v7 :: v_dual_lshlrev_b32 v15, 4, v18
	s_wait_alu 0xfffe
	s_lshr_b32 s10, s10, 28
	v_cmp_gt_i32_e64 s3, s27, v18
	s_wait_alu 0xfffe
	s_add_co_i32 s36, s36, s10
	v_cmp_eq_u32_e32 vcc_lo, v17, v18
	s_and_b32 s10, s36, -16
	v_mad_co_u64_u32 v[9:10], null, s11, v17, v[3:4]
	s_ashr_i32 s11, s36, 4
	s_wait_alu 0xfffe
	s_sub_co_i32 s10, s26, s10
	v_mad_co_u64_u32 v[10:11], null, s17, v17, v[4:5]
	v_mad_co_u64_u32 v[4:5], null, s23, v17, v[5:6]
	v_lshlrev_b32_e32 v14, 8, v17
	v_dual_mov_b32 v3, v9 :: v_dual_add_nc_u32 v16, 0x1000, v12
	v_cmp_lt_u32_e64 s0, v18, v17
	v_mov_b32_e32 v7, v10
	v_cmp_gt_u32_e64 s1, v18, v17
	v_mov_b32_e32 v9, v4
	v_lshlrev_b64_e32 v[4:5], 4, v[2:3]
	v_lshl_add_u32 v13, v18, 4, 0x1000
	s_or_b32 s22, s4, s5
	s_cmp_ge_i32 ttmp9, s11
	v_lshlrev_b64_e32 v[6:7], 4, v[6:7]
	s_wait_alu 0xfffe
	s_cselect_b32 s4, s10, 16
	s_lshl_b32 s10, ttmp9, 4
	v_cmp_gt_i32_e64 s4, s4, v18
	s_and_b32 s23, s2, s3
	s_wait_alu 0xfffe
	s_ashr_i32 s11, s10, 31
	v_lshlrev_b64_e32 v[8:9], 4, v[8:9]
	s_and_b32 s26, s2, s4
	s_cmp_eq_u32 s25, 0x84
	s_cselect_b32 s2, -1, 0
	s_delay_alu instid0(SALU_CYCLE_1)
	s_and_b32 s25, vcc_lo, s2
	s_cmp_lg_u32 s24, 0x79
	s_cselect_b32 s24, -1, 0
	s_lshl_b64 s[2:3], s[12:13], 4
	s_lshl_b64 s[4:5], s[18:19], 4
	s_wait_alu 0xfffe
	s_lshl_b64 s[10:11], s[10:11], 4
	s_lshl_b64 s[12:13], s[34:35], 4
	s_branch .LBB187_4
.LBB187_2:                              ;   in Loop: Header=BB187_4 Depth=1
	s_wait_alu 0xfffe
	s_or_b32 exec_lo, exec_lo, s16
.LBB187_3:                              ;   in Loop: Header=BB187_4 Depth=1
	s_add_co_i32 s6, s6, 0x10000
	s_delay_alu instid0(SALU_CYCLE_1)
	s_cmp_lt_u32 s6, s33
	s_cbranch_scc0 .LBB187_19
.LBB187_4:                              ; =>This Inner Loop Header: Depth=1
	s_and_not1_b32 vcc_lo, exec_lo, s22
	s_wait_alu 0xfffe
	s_cbranch_vccnz .LBB187_3
; %bb.5:                                ;   in Loop: Header=BB187_4 Depth=1
	s_lshl_b64 s[16:17], s[6:7], 3
	s_mov_b32 s36, s7
	s_wait_alu 0xfffe
	s_add_nc_u64 s[18:19], s[14:15], s[16:17]
	s_add_nc_u64 s[34:35], s[20:21], s[16:17]
	s_clause 0x1
	global_load_b64 v[2:3], v0, s[18:19]
	global_load_b64 v[10:11], v0, s[34:35]
	s_mov_b32 s37, s7
	s_mov_b32 s38, s7
	s_mov_b32 s39, s7
	s_wait_alu 0xfffe
	v_dual_mov_b32 v17, s36 :: v_dual_mov_b32 v18, s37
	v_dual_mov_b32 v19, s38 :: v_dual_mov_b32 v20, s39
	ds_store_b128 v12, v[17:20]
	ds_store_b128 v16, v[17:20]
	s_and_saveexec_b32 s18, s23
	s_cbranch_execnz .LBB187_10
; %bb.6:                                ;   in Loop: Header=BB187_4 Depth=1
	s_or_b32 exec_lo, exec_lo, s18
	s_and_saveexec_b32 s16, s26
	s_cbranch_execnz .LBB187_11
.LBB187_7:                              ;   in Loop: Header=BB187_4 Depth=1
	s_wait_alu 0xfffe
	s_or_b32 exec_lo, exec_lo, s16
	s_and_saveexec_b32 s16, s25
	s_cbranch_execnz .LBB187_12
.LBB187_8:                              ;   in Loop: Header=BB187_4 Depth=1
	s_wait_alu 0xfffe
	s_or_b32 exec_lo, exec_lo, s16
	s_delay_alu instid0(SALU_CYCLE_1)
	s_and_b32 vcc_lo, exec_lo, s24
	s_wait_alu 0xfffe
	s_cbranch_vccz .LBB187_13
.LBB187_9:                              ;   in Loop: Header=BB187_4 Depth=1
	s_and_b32 s16, s0, exec_lo
	s_cbranch_execz .LBB187_14
	s_branch .LBB187_15
.LBB187_10:                             ;   in Loop: Header=BB187_4 Depth=1
	s_add_nc_u64 s[16:17], s[8:9], s[16:17]
	global_load_b64 v[17:18], v0, s[16:17]
	s_wait_loadcnt 0x0
	v_add_co_u32 v17, vcc_lo, v17, s2
	s_wait_alu 0xfffd
	v_add_co_ci_u32_e64 v18, null, s3, v18, vcc_lo
	s_delay_alu instid0(VALU_DEP_2) | instskip(SKIP_1) | instid1(VALU_DEP_2)
	v_add_co_u32 v17, vcc_lo, v17, v4
	s_wait_alu 0xfffd
	v_add_co_ci_u32_e64 v18, null, v18, v5, vcc_lo
	s_delay_alu instid0(VALU_DEP_2) | instskip(SKIP_1) | instid1(VALU_DEP_2)
	v_add_co_u32 v17, vcc_lo, v17, v15
	s_wait_alu 0xfffd
	v_add_co_ci_u32_e64 v18, null, 0, v18, vcc_lo
	flat_load_b128 v[17:20], v[17:18]
	s_wait_loadcnt_dscnt 0x0
	ds_store_2addr_b64 v12, v[17:18], v[19:20] offset1:1
	s_or_b32 exec_lo, exec_lo, s18
	s_and_saveexec_b32 s16, s26
	s_cbranch_execz .LBB187_7
.LBB187_11:                             ;   in Loop: Header=BB187_4 Depth=1
	s_wait_loadcnt 0x1
	v_add_co_u32 v2, vcc_lo, v2, s4
	s_wait_alu 0xfffd
	v_add_co_ci_u32_e64 v3, null, s5, v3, vcc_lo
	s_delay_alu instid0(VALU_DEP_2) | instskip(SKIP_1) | instid1(VALU_DEP_2)
	v_add_co_u32 v2, vcc_lo, v2, s10
	s_wait_alu 0xfffd
	v_add_co_ci_u32_e64 v3, null, s11, v3, vcc_lo
	s_delay_alu instid0(VALU_DEP_2) | instskip(SKIP_1) | instid1(VALU_DEP_2)
	;; [unrolled: 4-line block ×3, first 2 shown]
	v_add_co_u32 v2, vcc_lo, v2, v15
	s_wait_alu 0xfffd
	v_add_co_ci_u32_e64 v3, null, 0, v3, vcc_lo
	flat_load_b128 v[17:20], v[2:3]
	s_wait_loadcnt_dscnt 0x0
	ds_store_2addr_b64 v16, v[17:18], v[19:20] offset1:1
	s_wait_alu 0xfffe
	s_or_b32 exec_lo, exec_lo, s16
	s_and_saveexec_b32 s16, s25
	s_cbranch_execz .LBB187_8
.LBB187_12:                             ;   in Loop: Header=BB187_4 Depth=1
	s_wait_loadcnt 0x1
	v_dual_mov_b32 v2, v0 :: v_dual_mov_b32 v3, v0
	ds_store_b128 v12, v[0:3]
	s_wait_alu 0xfffe
	s_or_b32 exec_lo, exec_lo, s16
	s_delay_alu instid0(SALU_CYCLE_1)
	s_and_b32 vcc_lo, exec_lo, s24
	s_wait_alu 0xfffe
	s_cbranch_vccnz .LBB187_9
.LBB187_13:                             ;   in Loop: Header=BB187_4 Depth=1
	s_mov_b32 s16, 0
.LBB187_14:                             ;   in Loop: Header=BB187_4 Depth=1
	s_wait_alu 0xfffe
	s_and_not1_b32 s16, s16, exec_lo
	s_and_b32 s17, s1, exec_lo
	s_wait_alu 0xfffe
	s_or_b32 s16, s16, s17
.LBB187_15:                             ;   in Loop: Header=BB187_4 Depth=1
	s_wait_alu 0xfffe
	s_and_saveexec_b32 s17, s16
; %bb.16:                               ;   in Loop: Header=BB187_4 Depth=1
	v_dual_mov_b32 v17, v0 :: v_dual_mov_b32 v18, v0
	v_dual_mov_b32 v19, v0 :: v_dual_mov_b32 v20, v0
	ds_store_b128 v12, v[17:20]
; %bb.17:                               ;   in Loop: Header=BB187_4 Depth=1
	s_wait_alu 0xfffe
	s_or_b32 exec_lo, exec_lo, s17
	s_wait_loadcnt_dscnt 0x0
	s_barrier_signal -1
	s_barrier_wait -1
	global_inv scope:SCOPE_SE
	s_and_saveexec_b32 s16, s26
	s_cbranch_execz .LBB187_2
; %bb.18:                               ;   in Loop: Header=BB187_4 Depth=1
	ds_load_b128 v[17:20], v13
	ds_load_b128 v[21:24], v14
	ds_load_b128 v[25:28], v14 offset:16
	ds_load_b128 v[29:32], v13 offset:256
	;; [unrolled: 1-line block ×6, first 2 shown]
	s_wait_dscnt 0x6
	v_mul_f64_e32 v[2:3], v[21:22], v[19:20]
	v_mul_f64_e32 v[19:20], v[23:24], v[19:20]
	s_wait_dscnt 0x4
	v_mul_f64_e32 v[49:50], v[25:26], v[31:32]
	v_mul_f64_e32 v[31:32], v[27:28], v[31:32]
	s_delay_alu instid0(VALU_DEP_4) | instskip(SKIP_2) | instid1(VALU_DEP_4)
	v_fma_f64 v[2:3], v[23:24], v[17:18], v[2:3]
	s_wait_dscnt 0x2
	v_mul_f64_e32 v[23:24], v[37:38], v[35:36]
	v_fma_f64 v[27:28], v[27:28], v[29:30], v[49:50]
	v_fma_f64 v[17:18], v[21:22], v[17:18], -v[19:20]
	s_wait_dscnt 0x0
	v_mul_f64_e32 v[49:50], v[41:42], v[47:48]
	v_mul_f64_e32 v[35:36], v[39:40], v[35:36]
	v_fma_f64 v[51:52], v[25:26], v[29:30], -v[31:32]
	v_mul_f64_e32 v[47:48], v[43:44], v[47:48]
	v_add_f64_e32 v[2:3], 0, v[2:3]
	v_fma_f64 v[39:40], v[39:40], v[33:34], v[23:24]
	v_add_f64_e32 v[53:54], 0, v[17:18]
	v_fma_f64 v[43:44], v[43:44], v[45:46], v[49:50]
	v_fma_f64 v[33:34], v[37:38], v[33:34], -v[35:36]
	v_add_f64_e32 v[2:3], v[2:3], v[27:28]
	ds_load_b128 v[17:20], v13 offset:1024
	ds_load_b128 v[21:24], v14 offset:64
	ds_load_b128 v[25:28], v14 offset:80
	ds_load_b128 v[29:32], v13 offset:1280
	v_add_f64_e32 v[35:36], v[53:54], v[51:52]
	v_fma_f64 v[51:52], v[41:42], v[45:46], -v[47:48]
	s_wait_dscnt 0x2
	v_mul_f64_e32 v[55:56], v[21:22], v[19:20]
	v_mul_f64_e32 v[19:20], v[23:24], v[19:20]
	s_wait_dscnt 0x0
	v_mul_f64_e32 v[49:50], v[25:26], v[31:32]
	v_mul_f64_e32 v[31:32], v[27:28], v[31:32]
	v_add_f64_e32 v[2:3], v[2:3], v[39:40]
	v_add_f64_e32 v[53:54], v[35:36], v[33:34]
	v_fma_f64 v[23:24], v[23:24], v[17:18], v[55:56]
	v_fma_f64 v[17:18], v[21:22], v[17:18], -v[19:20]
	v_fma_f64 v[27:28], v[27:28], v[29:30], v[49:50]
	v_add_f64_e32 v[2:3], v[2:3], v[43:44]
	ds_load_b128 v[33:36], v13 offset:1536
	ds_load_b128 v[37:40], v14 offset:96
	ds_load_b128 v[41:44], v14 offset:112
	ds_load_b128 v[45:48], v13 offset:1792
	v_add_f64_e32 v[19:20], v[53:54], v[51:52]
	v_fma_f64 v[51:52], v[25:26], v[29:30], -v[31:32]
	s_wait_dscnt 0x2
	v_mul_f64_e32 v[55:56], v[37:38], v[35:36]
	v_mul_f64_e32 v[35:36], v[39:40], v[35:36]
	s_wait_dscnt 0x0
	v_mul_f64_e32 v[49:50], v[41:42], v[47:48]
	v_mul_f64_e32 v[47:48], v[43:44], v[47:48]
	v_add_f64_e32 v[2:3], v[2:3], v[23:24]
	v_add_f64_e32 v[53:54], v[19:20], v[17:18]
	v_fma_f64 v[39:40], v[39:40], v[33:34], v[55:56]
	v_fma_f64 v[33:34], v[37:38], v[33:34], -v[35:36]
	v_fma_f64 v[43:44], v[43:44], v[45:46], v[49:50]
	;; [unrolled: 18-line block ×5, first 2 shown]
	v_fma_f64 v[25:26], v[25:26], v[29:30], -v[31:32]
	v_add_f64_e32 v[2:3], v[2:3], v[43:44]
	ds_load_b128 v[33:36], v13 offset:3584
	ds_load_b128 v[37:40], v14 offset:224
	;; [unrolled: 1-line block ×4, first 2 shown]
	v_add_f64_e32 v[19:20], v[53:54], v[51:52]
	s_wait_dscnt 0x2
	v_mul_f64_e32 v[55:56], v[37:38], v[35:36]
	s_wait_dscnt 0x0
	v_mul_f64_e32 v[21:22], v[41:42], v[47:48]
	v_add_f64_e32 v[2:3], v[2:3], v[23:24]
	v_mul_f64_e32 v[23:24], v[39:40], v[35:36]
	v_add_f64_e32 v[17:18], v[19:20], v[17:18]
	v_mul_f64_e32 v[19:20], v[43:44], v[47:48]
	v_fma_f64 v[35:36], v[39:40], v[33:34], v[55:56]
	v_fma_f64 v[21:22], v[43:44], v[45:46], v[21:22]
	v_add_f64_e32 v[2:3], v[2:3], v[27:28]
	v_fma_f64 v[23:24], v[37:38], v[33:34], -v[23:24]
	v_add_f64_e32 v[17:18], v[17:18], v[25:26]
	v_fma_f64 v[19:20], v[41:42], v[45:46], -v[19:20]
	s_delay_alu instid0(VALU_DEP_4) | instskip(NEXT) | instid1(VALU_DEP_3)
	v_add_f64_e32 v[2:3], v[2:3], v[35:36]
	v_add_f64_e32 v[17:18], v[17:18], v[23:24]
	s_delay_alu instid0(VALU_DEP_2) | instskip(NEXT) | instid1(VALU_DEP_2)
	v_add_f64_e32 v[2:3], v[2:3], v[21:22]
	v_add_f64_e32 v[17:18], v[17:18], v[19:20]
	s_delay_alu instid0(VALU_DEP_2) | instskip(SKIP_1) | instid1(VALU_DEP_2)
	v_mul_f64_e32 v[19:20], s[28:29], v[2:3]
	v_mul_f64_e32 v[2:3], s[30:31], v[2:3]
	v_fma_f64 v[19:20], s[30:31], v[17:18], v[19:20]
	s_delay_alu instid0(VALU_DEP_2) | instskip(SKIP_3) | instid1(VALU_DEP_2)
	v_fma_f64 v[17:18], s[28:29], v[17:18], -v[2:3]
	v_add_co_u32 v2, vcc_lo, v10, s12
	s_wait_alu 0xfffd
	v_add_co_ci_u32_e64 v3, null, s13, v11, vcc_lo
	v_add_co_u32 v2, vcc_lo, v2, s10
	s_wait_alu 0xfffd
	s_delay_alu instid0(VALU_DEP_2) | instskip(NEXT) | instid1(VALU_DEP_2)
	v_add_co_ci_u32_e64 v3, null, s11, v3, vcc_lo
	v_add_co_u32 v2, vcc_lo, v2, v8
	s_wait_alu 0xfffd
	s_delay_alu instid0(VALU_DEP_2) | instskip(NEXT) | instid1(VALU_DEP_2)
	v_add_co_ci_u32_e64 v3, null, v3, v9, vcc_lo
	v_add_co_u32 v2, vcc_lo, v2, v15
	s_wait_alu 0xfffd
	s_delay_alu instid0(VALU_DEP_2)
	v_add_co_ci_u32_e64 v3, null, 0, v3, vcc_lo
	flat_store_b128 v[2:3], v[17:20]
	s_branch .LBB187_2
.LBB187_19:
	s_endpgm
	.section	.rodata,"a",@progbits
	.p2align	6, 0x0
	.amdhsa_kernel _ZL23rocblas_trmm_rNx_kernelILi16E19rocblas_complex_numIdES1_KPKS1_KPS1_Ev13rocblas_fill_17rocblas_diagonal_iiT1_lPT2_llSB_llPT3_lli
		.amdhsa_group_segment_fixed_size 8192
		.amdhsa_private_segment_fixed_size 0
		.amdhsa_kernarg_size 116
		.amdhsa_user_sgpr_count 2
		.amdhsa_user_sgpr_dispatch_ptr 0
		.amdhsa_user_sgpr_queue_ptr 0
		.amdhsa_user_sgpr_kernarg_segment_ptr 1
		.amdhsa_user_sgpr_dispatch_id 0
		.amdhsa_user_sgpr_private_segment_size 0
		.amdhsa_wavefront_size32 1
		.amdhsa_uses_dynamic_stack 0
		.amdhsa_enable_private_segment 0
		.amdhsa_system_sgpr_workgroup_id_x 1
		.amdhsa_system_sgpr_workgroup_id_y 0
		.amdhsa_system_sgpr_workgroup_id_z 1
		.amdhsa_system_sgpr_workgroup_info 0
		.amdhsa_system_vgpr_workitem_id 1
		.amdhsa_next_free_vgpr 57
		.amdhsa_next_free_sgpr 40
		.amdhsa_reserve_vcc 1
		.amdhsa_float_round_mode_32 0
		.amdhsa_float_round_mode_16_64 0
		.amdhsa_float_denorm_mode_32 3
		.amdhsa_float_denorm_mode_16_64 3
		.amdhsa_fp16_overflow 0
		.amdhsa_workgroup_processor_mode 1
		.amdhsa_memory_ordered 1
		.amdhsa_forward_progress 1
		.amdhsa_inst_pref_size 16
		.amdhsa_round_robin_scheduling 0
		.amdhsa_exception_fp_ieee_invalid_op 0
		.amdhsa_exception_fp_denorm_src 0
		.amdhsa_exception_fp_ieee_div_zero 0
		.amdhsa_exception_fp_ieee_overflow 0
		.amdhsa_exception_fp_ieee_underflow 0
		.amdhsa_exception_fp_ieee_inexact 0
		.amdhsa_exception_int_div_zero 0
	.end_amdhsa_kernel
	.section	.text._ZL23rocblas_trmm_rNx_kernelILi16E19rocblas_complex_numIdES1_KPKS1_KPS1_Ev13rocblas_fill_17rocblas_diagonal_iiT1_lPT2_llSB_llPT3_lli,"axG",@progbits,_ZL23rocblas_trmm_rNx_kernelILi16E19rocblas_complex_numIdES1_KPKS1_KPS1_Ev13rocblas_fill_17rocblas_diagonal_iiT1_lPT2_llSB_llPT3_lli,comdat
.Lfunc_end187:
	.size	_ZL23rocblas_trmm_rNx_kernelILi16E19rocblas_complex_numIdES1_KPKS1_KPS1_Ev13rocblas_fill_17rocblas_diagonal_iiT1_lPT2_llSB_llPT3_lli, .Lfunc_end187-_ZL23rocblas_trmm_rNx_kernelILi16E19rocblas_complex_numIdES1_KPKS1_KPS1_Ev13rocblas_fill_17rocblas_diagonal_iiT1_lPT2_llSB_llPT3_lli
                                        ; -- End function
	.set _ZL23rocblas_trmm_rNx_kernelILi16E19rocblas_complex_numIdES1_KPKS1_KPS1_Ev13rocblas_fill_17rocblas_diagonal_iiT1_lPT2_llSB_llPT3_lli.num_vgpr, 57
	.set _ZL23rocblas_trmm_rNx_kernelILi16E19rocblas_complex_numIdES1_KPKS1_KPS1_Ev13rocblas_fill_17rocblas_diagonal_iiT1_lPT2_llSB_llPT3_lli.num_agpr, 0
	.set _ZL23rocblas_trmm_rNx_kernelILi16E19rocblas_complex_numIdES1_KPKS1_KPS1_Ev13rocblas_fill_17rocblas_diagonal_iiT1_lPT2_llSB_llPT3_lli.numbered_sgpr, 40
	.set _ZL23rocblas_trmm_rNx_kernelILi16E19rocblas_complex_numIdES1_KPKS1_KPS1_Ev13rocblas_fill_17rocblas_diagonal_iiT1_lPT2_llSB_llPT3_lli.num_named_barrier, 0
	.set _ZL23rocblas_trmm_rNx_kernelILi16E19rocblas_complex_numIdES1_KPKS1_KPS1_Ev13rocblas_fill_17rocblas_diagonal_iiT1_lPT2_llSB_llPT3_lli.private_seg_size, 0
	.set _ZL23rocblas_trmm_rNx_kernelILi16E19rocblas_complex_numIdES1_KPKS1_KPS1_Ev13rocblas_fill_17rocblas_diagonal_iiT1_lPT2_llSB_llPT3_lli.uses_vcc, 1
	.set _ZL23rocblas_trmm_rNx_kernelILi16E19rocblas_complex_numIdES1_KPKS1_KPS1_Ev13rocblas_fill_17rocblas_diagonal_iiT1_lPT2_llSB_llPT3_lli.uses_flat_scratch, 0
	.set _ZL23rocblas_trmm_rNx_kernelILi16E19rocblas_complex_numIdES1_KPKS1_KPS1_Ev13rocblas_fill_17rocblas_diagonal_iiT1_lPT2_llSB_llPT3_lli.has_dyn_sized_stack, 0
	.set _ZL23rocblas_trmm_rNx_kernelILi16E19rocblas_complex_numIdES1_KPKS1_KPS1_Ev13rocblas_fill_17rocblas_diagonal_iiT1_lPT2_llSB_llPT3_lli.has_recursion, 0
	.set _ZL23rocblas_trmm_rNx_kernelILi16E19rocblas_complex_numIdES1_KPKS1_KPS1_Ev13rocblas_fill_17rocblas_diagonal_iiT1_lPT2_llSB_llPT3_lli.has_indirect_call, 0
	.section	.AMDGPU.csdata,"",@progbits
; Kernel info:
; codeLenInByte = 2000
; TotalNumSgprs: 42
; NumVgprs: 57
; ScratchSize: 0
; MemoryBound: 0
; FloatMode: 240
; IeeeMode: 1
; LDSByteSize: 8192 bytes/workgroup (compile time only)
; SGPRBlocks: 0
; VGPRBlocks: 7
; NumSGPRsForWavesPerEU: 42
; NumVGPRsForWavesPerEU: 57
; Occupancy: 16
; WaveLimiterHint : 1
; COMPUTE_PGM_RSRC2:SCRATCH_EN: 0
; COMPUTE_PGM_RSRC2:USER_SGPR: 2
; COMPUTE_PGM_RSRC2:TRAP_HANDLER: 0
; COMPUTE_PGM_RSRC2:TGID_X_EN: 1
; COMPUTE_PGM_RSRC2:TGID_Y_EN: 0
; COMPUTE_PGM_RSRC2:TGID_Z_EN: 1
; COMPUTE_PGM_RSRC2:TIDIG_COMP_CNT: 1
	.section	.text._ZL23rocblas_trmm_rTx_kernelILi16ELb0E19rocblas_complex_numIdEPKS1_KS3_KPS1_Ev13rocblas_fill_17rocblas_diagonal_iiT2_lPT3_llSB_llPT4_lli,"axG",@progbits,_ZL23rocblas_trmm_rTx_kernelILi16ELb0E19rocblas_complex_numIdEPKS1_KS3_KPS1_Ev13rocblas_fill_17rocblas_diagonal_iiT2_lPT3_llSB_llPT4_lli,comdat
	.globl	_ZL23rocblas_trmm_rTx_kernelILi16ELb0E19rocblas_complex_numIdEPKS1_KS3_KPS1_Ev13rocblas_fill_17rocblas_diagonal_iiT2_lPT3_llSB_llPT4_lli ; -- Begin function _ZL23rocblas_trmm_rTx_kernelILi16ELb0E19rocblas_complex_numIdEPKS1_KS3_KPS1_Ev13rocblas_fill_17rocblas_diagonal_iiT2_lPT3_llSB_llPT4_lli
	.p2align	8
	.type	_ZL23rocblas_trmm_rTx_kernelILi16ELb0E19rocblas_complex_numIdEPKS1_KS3_KPS1_Ev13rocblas_fill_17rocblas_diagonal_iiT2_lPT3_llSB_llPT4_lli,@function
_ZL23rocblas_trmm_rTx_kernelILi16ELb0E19rocblas_complex_numIdEPKS1_KS3_KPS1_Ev13rocblas_fill_17rocblas_diagonal_iiT2_lPT3_llSB_llPT4_lli: ; @_ZL23rocblas_trmm_rTx_kernelILi16ELb0E19rocblas_complex_numIdEPKS1_KS3_KPS1_Ev13rocblas_fill_17rocblas_diagonal_iiT2_lPT3_llSB_llPT4_lli
; %bb.0:
	s_load_b32 s30, s[0:1], 0x68
	s_lshr_b32 s28, ttmp7, 16
	s_wait_kmcnt 0x0
	s_cmp_ge_u32 s28, s30
	s_cbranch_scc1 .LBB188_19
; %bb.1:
	s_clause 0x3
	s_load_b128 s[24:27], s[0:1], 0x0
	s_load_b512 s[4:19], s[0:1], 0x10
	s_load_b128 s[20:23], s[0:1], 0x50
	s_load_b64 s[2:3], s[0:1], 0x60
	v_bfe_u32 v11, v0, 10, 10
	v_and_b32_e32 v14, 0x3ff, v0
	v_mov_b32_e32 v0, 0
	s_mov_b32 s29, 0
	s_delay_alu instid0(VALU_DEP_3) | instskip(NEXT) | instid1(VALU_DEP_3)
	v_lshlrev_b32_e32 v16, 4, v11
	v_cmp_eq_u32_e32 vcc_lo, v11, v14
	v_lshl_add_u32 v19, v14, 4, 0x1000
	v_lshlrev_b32_e32 v20, 4, v14
	s_wait_kmcnt 0x0
	s_add_co_i32 s1, s26, -1
	v_mad_co_u64_u32 v[1:2], null, s10, v11, 0
	v_mad_co_u64_u32 v[3:4], null, s16, v11, 0
	s_ashr_i32 s10, s1, 31
	v_mad_co_u64_u32 v[5:6], null, s22, v11, 0
	s_wait_alu 0xfffe
	s_lshr_b32 s10, s10, 28
	v_cmp_gt_i32_e64 s0, s27, v11
	s_wait_alu 0xfffe
	s_add_co_i32 s10, s1, s10
	v_mad_co_u64_u32 v[7:8], null, s11, v11, v[2:3]
	s_wait_alu 0xfffe
	s_ashr_i32 s16, s10, 4
	s_and_b32 s10, s10, -16
	v_cmp_gt_i32_e64 s1, s27, v14
	s_wait_alu 0xfffe
	s_sub_co_i32 s10, s26, s10
	s_cmp_ge_i32 ttmp9, s16
	v_mad_co_u64_u32 v[8:9], null, s17, v11, v[4:5]
	v_mad_co_u64_u32 v[9:10], null, s23, v11, v[6:7]
	s_wait_alu 0xfffe
	s_cselect_b32 s10, s10, 16
	s_and_b32 s22, s0, s1
	s_wait_alu 0xfffe
	v_cmp_gt_i32_e64 s1, s10, v14
	v_mov_b32_e32 v2, v7
	s_lshl_b32 s16, ttmp9, 4
	v_mov_b32_e32 v4, v8
	s_wait_alu 0xfffe
	s_ashr_i32 s17, s16, 31
	s_and_b32 s26, s0, s1
	v_mov_b32_e32 v6, v9
	s_cmp_eq_u32 s25, 0x84
	v_lshlrev_b64_e32 v[8:9], 4, v[1:2]
	v_mov_b32_e32 v1, 0x3ff00000
	v_add_lshl_u32 v17, v16, v14, 4
	s_cselect_b32 s0, -1, 0
	v_cmp_gt_u32_e64 s1, v14, v11
	s_and_b32 s23, vcc_lo, s0
	v_cmp_lt_u32_e64 s0, v14, v11
	v_lshlrev_b64_e32 v[10:11], 4, v[3:4]
	v_lshlrev_b64_e32 v[12:13], 4, v[5:6]
	v_add_nc_u32_e32 v18, 0x1000, v17
	s_cmp_lg_u32 s24, 0x79
	s_cselect_b32 s24, -1, 0
	s_lshl_b64 s[10:11], s[12:13], 4
	s_lshl_b64 s[12:13], s[18:19], 4
	s_wait_alu 0xfffe
	s_lshl_b64 s[16:17], s[16:17], 4
	s_lshl_b64 s[18:19], s[2:3], 4
	s_branch .LBB188_4
.LBB188_2:                              ;   in Loop: Header=BB188_4 Depth=1
	s_or_b32 exec_lo, exec_lo, s2
.LBB188_3:                              ;   in Loop: Header=BB188_4 Depth=1
	s_add_co_i32 s28, s28, 0x10000
	s_delay_alu instid0(SALU_CYCLE_1)
	s_cmp_lt_u32 s28, s30
	s_cbranch_scc0 .LBB188_19
.LBB188_4:                              ; =>This Inner Loop Header: Depth=1
	s_mul_u64 s[2:3], s[6:7], s[28:29]
	s_delay_alu instid0(SALU_CYCLE_1) | instskip(NEXT) | instid1(SALU_CYCLE_1)
	s_lshl_b64 s[2:3], s[2:3], 4
	s_add_nc_u64 s[2:3], s[4:5], s[2:3]
	global_load_b128 v[4:7], v0, s[2:3]
	s_wait_loadcnt 0x0
	v_cmp_neq_f64_e32 vcc_lo, 0, v[4:5]
	v_cmp_neq_f64_e64 s2, 0, v[6:7]
	s_or_b32 s2, vcc_lo, s2
	s_delay_alu instid0(SALU_CYCLE_1)
	s_and_not1_b32 vcc_lo, exec_lo, s2
	s_wait_alu 0xfffe
	s_cbranch_vccnz .LBB188_3
; %bb.5:                                ;   in Loop: Header=BB188_4 Depth=1
	s_lshl_b64 s[2:3], s[28:29], 3
	s_mov_b32 s38, s29
	s_add_nc_u64 s[34:35], s[14:15], s[2:3]
	s_add_nc_u64 s[36:37], s[20:21], s[2:3]
	s_clause 0x1
	global_load_b64 v[2:3], v0, s[34:35]
	global_load_b64 v[14:15], v0, s[36:37]
	s_mov_b32 s36, s29
	s_mov_b32 s37, s29
	s_mov_b32 s39, s29
	s_wait_alu 0xfffe
	v_dual_mov_b32 v21, s36 :: v_dual_mov_b32 v22, s37
	v_dual_mov_b32 v23, s38 :: v_dual_mov_b32 v24, s39
	ds_store_b128 v17, v[21:24]
	ds_store_b128 v18, v[21:24]
	s_and_saveexec_b32 s25, s22
	s_cbranch_execnz .LBB188_10
; %bb.6:                                ;   in Loop: Header=BB188_4 Depth=1
	s_or_b32 exec_lo, exec_lo, s25
	s_and_saveexec_b32 s2, s26
	s_cbranch_execnz .LBB188_11
.LBB188_7:                              ;   in Loop: Header=BB188_4 Depth=1
	s_or_b32 exec_lo, exec_lo, s2
	s_and_saveexec_b32 s2, s23
	s_cbranch_execnz .LBB188_12
.LBB188_8:                              ;   in Loop: Header=BB188_4 Depth=1
	s_or_b32 exec_lo, exec_lo, s2
	s_delay_alu instid0(SALU_CYCLE_1)
	s_and_b32 vcc_lo, exec_lo, s24
	s_wait_alu 0xfffe
	s_cbranch_vccz .LBB188_13
.LBB188_9:                              ;   in Loop: Header=BB188_4 Depth=1
	s_and_b32 s2, s0, exec_lo
	s_cbranch_execz .LBB188_14
	s_branch .LBB188_15
.LBB188_10:                             ;   in Loop: Header=BB188_4 Depth=1
	s_add_nc_u64 s[2:3], s[8:9], s[2:3]
	global_load_b64 v[21:22], v0, s[2:3]
	s_wait_loadcnt 0x0
	v_add_co_u32 v21, vcc_lo, v21, s10
	s_wait_alu 0xfffd
	v_add_co_ci_u32_e64 v22, null, s11, v22, vcc_lo
	s_delay_alu instid0(VALU_DEP_2) | instskip(SKIP_1) | instid1(VALU_DEP_2)
	v_add_co_u32 v21, vcc_lo, v21, v8
	s_wait_alu 0xfffd
	v_add_co_ci_u32_e64 v22, null, v22, v9, vcc_lo
	s_delay_alu instid0(VALU_DEP_2) | instskip(SKIP_1) | instid1(VALU_DEP_2)
	v_add_co_u32 v21, vcc_lo, v21, v20
	s_wait_alu 0xfffd
	v_add_co_ci_u32_e64 v22, null, 0, v22, vcc_lo
	flat_load_b128 v[21:24], v[21:22]
	s_wait_loadcnt_dscnt 0x0
	ds_store_2addr_b64 v17, v[21:22], v[23:24] offset1:1
	s_or_b32 exec_lo, exec_lo, s25
	s_and_saveexec_b32 s2, s26
	s_cbranch_execz .LBB188_7
.LBB188_11:                             ;   in Loop: Header=BB188_4 Depth=1
	s_wait_loadcnt 0x1
	v_add_co_u32 v2, vcc_lo, v2, s12
	s_wait_alu 0xfffd
	v_add_co_ci_u32_e64 v3, null, s13, v3, vcc_lo
	s_wait_alu 0xfffe
	s_delay_alu instid0(VALU_DEP_2) | instskip(SKIP_1) | instid1(VALU_DEP_2)
	v_add_co_u32 v2, vcc_lo, v2, s16
	s_wait_alu 0xfffd
	v_add_co_ci_u32_e64 v3, null, s17, v3, vcc_lo
	s_delay_alu instid0(VALU_DEP_2) | instskip(SKIP_1) | instid1(VALU_DEP_2)
	v_add_co_u32 v2, vcc_lo, v2, v10
	s_wait_alu 0xfffd
	v_add_co_ci_u32_e64 v3, null, v3, v11, vcc_lo
	;; [unrolled: 4-line block ×3, first 2 shown]
	flat_load_b128 v[21:24], v[2:3]
	s_wait_loadcnt_dscnt 0x0
	ds_store_2addr_b64 v18, v[21:22], v[23:24] offset1:1
	s_or_b32 exec_lo, exec_lo, s2
	s_and_saveexec_b32 s2, s23
	s_cbranch_execz .LBB188_8
.LBB188_12:                             ;   in Loop: Header=BB188_4 Depth=1
	s_wait_loadcnt 0x1
	v_dual_mov_b32 v2, v0 :: v_dual_mov_b32 v3, v0
	ds_store_b128 v17, v[0:3]
	s_or_b32 exec_lo, exec_lo, s2
	s_delay_alu instid0(SALU_CYCLE_1)
	s_and_b32 vcc_lo, exec_lo, s24
	s_wait_alu 0xfffe
	s_cbranch_vccnz .LBB188_9
.LBB188_13:                             ;   in Loop: Header=BB188_4 Depth=1
	s_mov_b32 s2, 0
.LBB188_14:                             ;   in Loop: Header=BB188_4 Depth=1
	s_delay_alu instid0(SALU_CYCLE_1) | instskip(SKIP_1) | instid1(SALU_CYCLE_1)
	s_and_not1_b32 s2, s2, exec_lo
	s_and_b32 s3, s1, exec_lo
	s_or_b32 s2, s2, s3
.LBB188_15:                             ;   in Loop: Header=BB188_4 Depth=1
	s_delay_alu instid0(SALU_CYCLE_1)
	s_and_saveexec_b32 s3, s2
; %bb.16:                               ;   in Loop: Header=BB188_4 Depth=1
	v_dual_mov_b32 v21, v0 :: v_dual_mov_b32 v22, v0
	v_dual_mov_b32 v23, v0 :: v_dual_mov_b32 v24, v0
	ds_store_b128 v17, v[21:24]
; %bb.17:                               ;   in Loop: Header=BB188_4 Depth=1
	s_or_b32 exec_lo, exec_lo, s3
	s_wait_loadcnt_dscnt 0x0
	s_barrier_signal -1
	s_barrier_wait -1
	global_inv scope:SCOPE_SE
	s_and_saveexec_b32 s2, s26
	s_cbranch_execz .LBB188_2
; %bb.18:                               ;   in Loop: Header=BB188_4 Depth=1
	ds_load_b128 v[21:24], v19
	ds_load_b128 v[25:28], v16
	ds_load_b128 v[29:32], v16 offset:256
	ds_load_b128 v[33:36], v19 offset:256
	ds_load_b128 v[37:40], v19 offset:512
	ds_load_b128 v[41:44], v16 offset:512
	ds_load_b128 v[45:48], v16 offset:768
	ds_load_b128 v[49:52], v19 offset:768
	s_wait_dscnt 0x6
	v_mul_f64_e32 v[2:3], v[25:26], v[23:24]
	v_mul_f64_e32 v[23:24], v[27:28], v[23:24]
	s_wait_dscnt 0x4
	v_mul_f64_e32 v[53:54], v[29:30], v[35:36]
	v_mul_f64_e32 v[35:36], v[31:32], v[35:36]
	s_delay_alu instid0(VALU_DEP_4) | instskip(SKIP_2) | instid1(VALU_DEP_4)
	v_fma_f64 v[2:3], v[27:28], v[21:22], v[2:3]
	s_wait_dscnt 0x2
	v_mul_f64_e32 v[27:28], v[41:42], v[39:40]
	v_fma_f64 v[31:32], v[31:32], v[33:34], v[53:54]
	v_fma_f64 v[21:22], v[25:26], v[21:22], -v[23:24]
	s_wait_dscnt 0x0
	v_mul_f64_e32 v[53:54], v[45:46], v[51:52]
	v_mul_f64_e32 v[39:40], v[43:44], v[39:40]
	v_fma_f64 v[55:56], v[29:30], v[33:34], -v[35:36]
	v_mul_f64_e32 v[51:52], v[47:48], v[51:52]
	v_add_f64_e32 v[2:3], 0, v[2:3]
	v_fma_f64 v[43:44], v[43:44], v[37:38], v[27:28]
	v_add_f64_e32 v[57:58], 0, v[21:22]
	v_fma_f64 v[47:48], v[47:48], v[49:50], v[53:54]
	v_fma_f64 v[37:38], v[41:42], v[37:38], -v[39:40]
	v_add_f64_e32 v[2:3], v[2:3], v[31:32]
	ds_load_b128 v[21:24], v19 offset:1024
	ds_load_b128 v[25:28], v16 offset:1024
	ds_load_b128 v[29:32], v16 offset:1280
	ds_load_b128 v[33:36], v19 offset:1280
	v_add_f64_e32 v[39:40], v[57:58], v[55:56]
	v_fma_f64 v[55:56], v[45:46], v[49:50], -v[51:52]
	s_wait_dscnt 0x2
	v_mul_f64_e32 v[59:60], v[25:26], v[23:24]
	v_mul_f64_e32 v[23:24], v[27:28], v[23:24]
	s_wait_dscnt 0x0
	v_mul_f64_e32 v[53:54], v[29:30], v[35:36]
	v_mul_f64_e32 v[35:36], v[31:32], v[35:36]
	v_add_f64_e32 v[2:3], v[2:3], v[43:44]
	v_add_f64_e32 v[57:58], v[39:40], v[37:38]
	v_fma_f64 v[27:28], v[27:28], v[21:22], v[59:60]
	v_fma_f64 v[21:22], v[25:26], v[21:22], -v[23:24]
	v_fma_f64 v[31:32], v[31:32], v[33:34], v[53:54]
	v_add_f64_e32 v[2:3], v[2:3], v[47:48]
	ds_load_b128 v[37:40], v19 offset:1536
	ds_load_b128 v[41:44], v16 offset:1536
	ds_load_b128 v[45:48], v16 offset:1792
	ds_load_b128 v[49:52], v19 offset:1792
	v_add_f64_e32 v[23:24], v[57:58], v[55:56]
	v_fma_f64 v[55:56], v[29:30], v[33:34], -v[35:36]
	s_wait_dscnt 0x2
	v_mul_f64_e32 v[59:60], v[41:42], v[39:40]
	v_mul_f64_e32 v[39:40], v[43:44], v[39:40]
	s_wait_dscnt 0x0
	v_mul_f64_e32 v[53:54], v[45:46], v[51:52]
	v_mul_f64_e32 v[51:52], v[47:48], v[51:52]
	v_add_f64_e32 v[2:3], v[2:3], v[27:28]
	v_add_f64_e32 v[57:58], v[23:24], v[21:22]
	v_fma_f64 v[43:44], v[43:44], v[37:38], v[59:60]
	v_fma_f64 v[37:38], v[41:42], v[37:38], -v[39:40]
	v_fma_f64 v[47:48], v[47:48], v[49:50], v[53:54]
	;; [unrolled: 18-line block ×5, first 2 shown]
	v_fma_f64 v[29:30], v[29:30], v[33:34], -v[35:36]
	v_add_f64_e32 v[2:3], v[2:3], v[47:48]
	ds_load_b128 v[37:40], v19 offset:3584
	ds_load_b128 v[41:44], v16 offset:3584
	;; [unrolled: 1-line block ×4, first 2 shown]
	v_add_f64_e32 v[23:24], v[57:58], v[55:56]
	s_wait_dscnt 0x2
	v_mul_f64_e32 v[59:60], v[41:42], v[39:40]
	s_wait_dscnt 0x0
	v_mul_f64_e32 v[25:26], v[45:46], v[51:52]
	v_add_f64_e32 v[2:3], v[2:3], v[27:28]
	v_mul_f64_e32 v[27:28], v[43:44], v[39:40]
	v_add_f64_e32 v[21:22], v[23:24], v[21:22]
	v_mul_f64_e32 v[23:24], v[47:48], v[51:52]
	v_fma_f64 v[39:40], v[43:44], v[37:38], v[59:60]
	v_fma_f64 v[25:26], v[47:48], v[49:50], v[25:26]
	v_add_f64_e32 v[2:3], v[2:3], v[31:32]
	v_fma_f64 v[27:28], v[41:42], v[37:38], -v[27:28]
	v_add_f64_e32 v[21:22], v[21:22], v[29:30]
	v_fma_f64 v[23:24], v[45:46], v[49:50], -v[23:24]
	s_delay_alu instid0(VALU_DEP_4) | instskip(NEXT) | instid1(VALU_DEP_3)
	v_add_f64_e32 v[2:3], v[2:3], v[39:40]
	v_add_f64_e32 v[21:22], v[21:22], v[27:28]
	s_delay_alu instid0(VALU_DEP_2) | instskip(NEXT) | instid1(VALU_DEP_2)
	v_add_f64_e32 v[2:3], v[2:3], v[25:26]
	v_add_f64_e32 v[21:22], v[21:22], v[23:24]
	s_delay_alu instid0(VALU_DEP_2) | instskip(SKIP_1) | instid1(VALU_DEP_2)
	v_mul_f64_e32 v[23:24], v[4:5], v[2:3]
	v_mul_f64_e32 v[2:3], v[6:7], v[2:3]
	v_fma_f64 v[6:7], v[6:7], v[21:22], v[23:24]
	s_delay_alu instid0(VALU_DEP_2) | instskip(SKIP_4) | instid1(VALU_DEP_2)
	v_fma_f64 v[4:5], v[4:5], v[21:22], -v[2:3]
	v_add_co_u32 v2, vcc_lo, v14, s18
	s_wait_alu 0xfffd
	v_add_co_ci_u32_e64 v3, null, s19, v15, vcc_lo
	s_wait_alu 0xfffe
	v_add_co_u32 v2, vcc_lo, v2, s16
	s_wait_alu 0xfffd
	s_delay_alu instid0(VALU_DEP_2) | instskip(NEXT) | instid1(VALU_DEP_2)
	v_add_co_ci_u32_e64 v3, null, s17, v3, vcc_lo
	v_add_co_u32 v2, vcc_lo, v2, v12
	s_wait_alu 0xfffd
	s_delay_alu instid0(VALU_DEP_2) | instskip(NEXT) | instid1(VALU_DEP_2)
	v_add_co_ci_u32_e64 v3, null, v3, v13, vcc_lo
	v_add_co_u32 v2, vcc_lo, v2, v20
	s_wait_alu 0xfffd
	s_delay_alu instid0(VALU_DEP_2)
	v_add_co_ci_u32_e64 v3, null, 0, v3, vcc_lo
	flat_store_b128 v[2:3], v[4:7]
	s_branch .LBB188_2
.LBB188_19:
	s_endpgm
	.section	.rodata,"a",@progbits
	.p2align	6, 0x0
	.amdhsa_kernel _ZL23rocblas_trmm_rTx_kernelILi16ELb0E19rocblas_complex_numIdEPKS1_KS3_KPS1_Ev13rocblas_fill_17rocblas_diagonal_iiT2_lPT3_llSB_llPT4_lli
		.amdhsa_group_segment_fixed_size 8192
		.amdhsa_private_segment_fixed_size 0
		.amdhsa_kernarg_size 108
		.amdhsa_user_sgpr_count 2
		.amdhsa_user_sgpr_dispatch_ptr 0
		.amdhsa_user_sgpr_queue_ptr 0
		.amdhsa_user_sgpr_kernarg_segment_ptr 1
		.amdhsa_user_sgpr_dispatch_id 0
		.amdhsa_user_sgpr_private_segment_size 0
		.amdhsa_wavefront_size32 1
		.amdhsa_uses_dynamic_stack 0
		.amdhsa_enable_private_segment 0
		.amdhsa_system_sgpr_workgroup_id_x 1
		.amdhsa_system_sgpr_workgroup_id_y 0
		.amdhsa_system_sgpr_workgroup_id_z 1
		.amdhsa_system_sgpr_workgroup_info 0
		.amdhsa_system_vgpr_workitem_id 1
		.amdhsa_next_free_vgpr 61
		.amdhsa_next_free_sgpr 40
		.amdhsa_reserve_vcc 1
		.amdhsa_float_round_mode_32 0
		.amdhsa_float_round_mode_16_64 0
		.amdhsa_float_denorm_mode_32 3
		.amdhsa_float_denorm_mode_16_64 3
		.amdhsa_fp16_overflow 0
		.amdhsa_workgroup_processor_mode 1
		.amdhsa_memory_ordered 1
		.amdhsa_forward_progress 1
		.amdhsa_inst_pref_size 16
		.amdhsa_round_robin_scheduling 0
		.amdhsa_exception_fp_ieee_invalid_op 0
		.amdhsa_exception_fp_denorm_src 0
		.amdhsa_exception_fp_ieee_div_zero 0
		.amdhsa_exception_fp_ieee_overflow 0
		.amdhsa_exception_fp_ieee_underflow 0
		.amdhsa_exception_fp_ieee_inexact 0
		.amdhsa_exception_int_div_zero 0
	.end_amdhsa_kernel
	.section	.text._ZL23rocblas_trmm_rTx_kernelILi16ELb0E19rocblas_complex_numIdEPKS1_KS3_KPS1_Ev13rocblas_fill_17rocblas_diagonal_iiT2_lPT3_llSB_llPT4_lli,"axG",@progbits,_ZL23rocblas_trmm_rTx_kernelILi16ELb0E19rocblas_complex_numIdEPKS1_KS3_KPS1_Ev13rocblas_fill_17rocblas_diagonal_iiT2_lPT3_llSB_llPT4_lli,comdat
.Lfunc_end188:
	.size	_ZL23rocblas_trmm_rTx_kernelILi16ELb0E19rocblas_complex_numIdEPKS1_KS3_KPS1_Ev13rocblas_fill_17rocblas_diagonal_iiT2_lPT3_llSB_llPT4_lli, .Lfunc_end188-_ZL23rocblas_trmm_rTx_kernelILi16ELb0E19rocblas_complex_numIdEPKS1_KS3_KPS1_Ev13rocblas_fill_17rocblas_diagonal_iiT2_lPT3_llSB_llPT4_lli
                                        ; -- End function
	.set _ZL23rocblas_trmm_rTx_kernelILi16ELb0E19rocblas_complex_numIdEPKS1_KS3_KPS1_Ev13rocblas_fill_17rocblas_diagonal_iiT2_lPT3_llSB_llPT4_lli.num_vgpr, 61
	.set _ZL23rocblas_trmm_rTx_kernelILi16ELb0E19rocblas_complex_numIdEPKS1_KS3_KPS1_Ev13rocblas_fill_17rocblas_diagonal_iiT2_lPT3_llSB_llPT4_lli.num_agpr, 0
	.set _ZL23rocblas_trmm_rTx_kernelILi16ELb0E19rocblas_complex_numIdEPKS1_KS3_KPS1_Ev13rocblas_fill_17rocblas_diagonal_iiT2_lPT3_llSB_llPT4_lli.numbered_sgpr, 40
	.set _ZL23rocblas_trmm_rTx_kernelILi16ELb0E19rocblas_complex_numIdEPKS1_KS3_KPS1_Ev13rocblas_fill_17rocblas_diagonal_iiT2_lPT3_llSB_llPT4_lli.num_named_barrier, 0
	.set _ZL23rocblas_trmm_rTx_kernelILi16ELb0E19rocblas_complex_numIdEPKS1_KS3_KPS1_Ev13rocblas_fill_17rocblas_diagonal_iiT2_lPT3_llSB_llPT4_lli.private_seg_size, 0
	.set _ZL23rocblas_trmm_rTx_kernelILi16ELb0E19rocblas_complex_numIdEPKS1_KS3_KPS1_Ev13rocblas_fill_17rocblas_diagonal_iiT2_lPT3_llSB_llPT4_lli.uses_vcc, 1
	.set _ZL23rocblas_trmm_rTx_kernelILi16ELb0E19rocblas_complex_numIdEPKS1_KS3_KPS1_Ev13rocblas_fill_17rocblas_diagonal_iiT2_lPT3_llSB_llPT4_lli.uses_flat_scratch, 0
	.set _ZL23rocblas_trmm_rTx_kernelILi16ELb0E19rocblas_complex_numIdEPKS1_KS3_KPS1_Ev13rocblas_fill_17rocblas_diagonal_iiT2_lPT3_llSB_llPT4_lli.has_dyn_sized_stack, 0
	.set _ZL23rocblas_trmm_rTx_kernelILi16ELb0E19rocblas_complex_numIdEPKS1_KS3_KPS1_Ev13rocblas_fill_17rocblas_diagonal_iiT2_lPT3_llSB_llPT4_lli.has_recursion, 0
	.set _ZL23rocblas_trmm_rTx_kernelILi16ELb0E19rocblas_complex_numIdEPKS1_KS3_KPS1_Ev13rocblas_fill_17rocblas_diagonal_iiT2_lPT3_llSB_llPT4_lli.has_indirect_call, 0
	.section	.AMDGPU.csdata,"",@progbits
; Kernel info:
; codeLenInByte = 2008
; TotalNumSgprs: 42
; NumVgprs: 61
; ScratchSize: 0
; MemoryBound: 0
; FloatMode: 240
; IeeeMode: 1
; LDSByteSize: 8192 bytes/workgroup (compile time only)
; SGPRBlocks: 0
; VGPRBlocks: 7
; NumSGPRsForWavesPerEU: 42
; NumVGPRsForWavesPerEU: 61
; Occupancy: 16
; WaveLimiterHint : 1
; COMPUTE_PGM_RSRC2:SCRATCH_EN: 0
; COMPUTE_PGM_RSRC2:USER_SGPR: 2
; COMPUTE_PGM_RSRC2:TRAP_HANDLER: 0
; COMPUTE_PGM_RSRC2:TGID_X_EN: 1
; COMPUTE_PGM_RSRC2:TGID_Y_EN: 0
; COMPUTE_PGM_RSRC2:TGID_Z_EN: 1
; COMPUTE_PGM_RSRC2:TIDIG_COMP_CNT: 1
	.section	.text._ZL23rocblas_trmm_rTx_kernelILi16ELb0E19rocblas_complex_numIdES1_KPKS1_KPS1_Ev13rocblas_fill_17rocblas_diagonal_iiT2_lPT3_llSB_llPT4_lli,"axG",@progbits,_ZL23rocblas_trmm_rTx_kernelILi16ELb0E19rocblas_complex_numIdES1_KPKS1_KPS1_Ev13rocblas_fill_17rocblas_diagonal_iiT2_lPT3_llSB_llPT4_lli,comdat
	.globl	_ZL23rocblas_trmm_rTx_kernelILi16ELb0E19rocblas_complex_numIdES1_KPKS1_KPS1_Ev13rocblas_fill_17rocblas_diagonal_iiT2_lPT3_llSB_llPT4_lli ; -- Begin function _ZL23rocblas_trmm_rTx_kernelILi16ELb0E19rocblas_complex_numIdES1_KPKS1_KPS1_Ev13rocblas_fill_17rocblas_diagonal_iiT2_lPT3_llSB_llPT4_lli
	.p2align	8
	.type	_ZL23rocblas_trmm_rTx_kernelILi16ELb0E19rocblas_complex_numIdES1_KPKS1_KPS1_Ev13rocblas_fill_17rocblas_diagonal_iiT2_lPT3_llSB_llPT4_lli,@function
_ZL23rocblas_trmm_rTx_kernelILi16ELb0E19rocblas_complex_numIdES1_KPKS1_KPS1_Ev13rocblas_fill_17rocblas_diagonal_iiT2_lPT3_llSB_llPT4_lli: ; @_ZL23rocblas_trmm_rTx_kernelILi16ELb0E19rocblas_complex_numIdES1_KPKS1_KPS1_Ev13rocblas_fill_17rocblas_diagonal_iiT2_lPT3_llSB_llPT4_lli
; %bb.0:
	s_load_b32 s33, s[0:1], 0x70
	s_lshr_b32 s6, ttmp7, 16
	s_wait_kmcnt 0x0
	s_cmp_ge_u32 s6, s33
	s_cbranch_scc1 .LBB189_19
; %bb.1:
	s_clause 0x1
	s_load_b256 s[24:31], s[0:1], 0x0
	s_load_b512 s[8:23], s[0:1], 0x28
	v_bfe_u32 v17, v0, 10, 10
	s_load_b64 s[34:35], s[0:1], 0x68
	s_mov_b32 s7, 0
	s_delay_alu instid0(VALU_DEP_1)
	v_dual_mov_b32 v1, 0x3ff00000 :: v_dual_lshlrev_b32 v12, 4, v17
	s_wait_kmcnt 0x0
	v_cmp_neq_f64_e64 s4, s[28:29], 0
	v_cmp_neq_f64_e64 s5, s[30:31], 0
	v_mad_co_u64_u32 v[6:7], null, s16, v17, 0
	v_mad_co_u64_u32 v[8:9], null, s22, v17, 0
	s_add_co_i32 s36, s26, -1
	v_mad_co_u64_u32 v[2:3], null, s10, v17, 0
	s_ashr_i32 s10, s36, 31
	v_mov_b32_e32 v4, v7
	s_wait_alu 0xfffe
	s_lshr_b32 s10, s10, 28
	v_dual_mov_b32 v5, v9 :: v_dual_and_b32 v18, 0x3ff, v0
	s_wait_alu 0xfffe
	s_add_co_i32 s36, s36, s10
	v_mad_co_u64_u32 v[9:10], null, s11, v17, v[3:4]
	s_and_b32 s10, s36, -16
	s_ashr_i32 s11, s36, 4
	s_wait_alu 0xfffe
	s_sub_co_i32 s10, s26, s10
	v_mad_co_u64_u32 v[10:11], null, s17, v17, v[4:5]
	v_mad_co_u64_u32 v[4:5], null, s23, v17, v[5:6]
	v_add_lshl_u32 v13, v12, v18, 4
	v_cmp_gt_i32_e64 s2, s27, v17
	v_cmp_gt_i32_e64 s3, s27, v18
	v_mov_b32_e32 v3, v9
	s_delay_alu instid0(VALU_DEP_4) | instskip(SKIP_2) | instid1(VALU_DEP_4)
	v_dual_mov_b32 v7, v10 :: v_dual_add_nc_u32 v16, 0x1000, v13
	v_mov_b32_e32 v9, v4
	v_cmp_eq_u32_e32 vcc_lo, v17, v18
	v_lshlrev_b64_e32 v[4:5], 4, v[2:3]
	s_delay_alu instid0(VALU_DEP_4)
	v_lshlrev_b64_e32 v[6:7], 4, v[6:7]
	v_dual_mov_b32 v0, 0 :: v_dual_lshlrev_b32 v15, 4, v18
	v_lshlrev_b64_e32 v[8:9], 4, v[8:9]
	v_cmp_lt_u32_e64 s0, v18, v17
	v_cmp_gt_u32_e64 s1, v18, v17
	s_or_b32 s22, s4, s5
	s_cmp_ge_i32 ttmp9, s11
	v_lshl_add_u32 v14, v18, 4, 0x1000
	s_wait_alu 0xfffe
	s_cselect_b32 s4, s10, 16
	s_lshl_b32 s10, ttmp9, 4
	v_cmp_gt_i32_e64 s4, s4, v18
	s_and_b32 s23, s2, s3
	s_wait_alu 0xfffe
	s_ashr_i32 s11, s10, 31
	s_and_b32 s26, s2, s4
	s_cmp_eq_u32 s25, 0x84
	s_cselect_b32 s2, -1, 0
	s_delay_alu instid0(SALU_CYCLE_1)
	s_and_b32 s25, vcc_lo, s2
	s_cmp_lg_u32 s24, 0x79
	s_cselect_b32 s24, -1, 0
	s_lshl_b64 s[2:3], s[12:13], 4
	s_lshl_b64 s[4:5], s[18:19], 4
	s_wait_alu 0xfffe
	s_lshl_b64 s[10:11], s[10:11], 4
	s_lshl_b64 s[12:13], s[34:35], 4
	s_branch .LBB189_4
.LBB189_2:                              ;   in Loop: Header=BB189_4 Depth=1
	s_wait_alu 0xfffe
	s_or_b32 exec_lo, exec_lo, s16
.LBB189_3:                              ;   in Loop: Header=BB189_4 Depth=1
	s_add_co_i32 s6, s6, 0x10000
	s_delay_alu instid0(SALU_CYCLE_1)
	s_cmp_lt_u32 s6, s33
	s_cbranch_scc0 .LBB189_19
.LBB189_4:                              ; =>This Inner Loop Header: Depth=1
	s_and_not1_b32 vcc_lo, exec_lo, s22
	s_wait_alu 0xfffe
	s_cbranch_vccnz .LBB189_3
; %bb.5:                                ;   in Loop: Header=BB189_4 Depth=1
	s_lshl_b64 s[16:17], s[6:7], 3
	s_mov_b32 s36, s7
	s_wait_alu 0xfffe
	s_add_nc_u64 s[18:19], s[14:15], s[16:17]
	s_add_nc_u64 s[34:35], s[20:21], s[16:17]
	s_clause 0x1
	global_load_b64 v[2:3], v0, s[18:19]
	global_load_b64 v[10:11], v0, s[34:35]
	s_mov_b32 s37, s7
	s_mov_b32 s38, s7
	;; [unrolled: 1-line block ×3, first 2 shown]
	s_wait_alu 0xfffe
	v_dual_mov_b32 v17, s36 :: v_dual_mov_b32 v18, s37
	v_dual_mov_b32 v19, s38 :: v_dual_mov_b32 v20, s39
	ds_store_b128 v13, v[17:20]
	ds_store_b128 v16, v[17:20]
	s_and_saveexec_b32 s18, s23
	s_cbranch_execnz .LBB189_10
; %bb.6:                                ;   in Loop: Header=BB189_4 Depth=1
	s_or_b32 exec_lo, exec_lo, s18
	s_and_saveexec_b32 s16, s26
	s_cbranch_execnz .LBB189_11
.LBB189_7:                              ;   in Loop: Header=BB189_4 Depth=1
	s_wait_alu 0xfffe
	s_or_b32 exec_lo, exec_lo, s16
	s_and_saveexec_b32 s16, s25
	s_cbranch_execnz .LBB189_12
.LBB189_8:                              ;   in Loop: Header=BB189_4 Depth=1
	s_wait_alu 0xfffe
	s_or_b32 exec_lo, exec_lo, s16
	s_delay_alu instid0(SALU_CYCLE_1)
	s_and_b32 vcc_lo, exec_lo, s24
	s_wait_alu 0xfffe
	s_cbranch_vccz .LBB189_13
.LBB189_9:                              ;   in Loop: Header=BB189_4 Depth=1
	s_and_b32 s16, s0, exec_lo
	s_cbranch_execz .LBB189_14
	s_branch .LBB189_15
.LBB189_10:                             ;   in Loop: Header=BB189_4 Depth=1
	s_add_nc_u64 s[16:17], s[8:9], s[16:17]
	global_load_b64 v[17:18], v0, s[16:17]
	s_wait_loadcnt 0x0
	v_add_co_u32 v17, vcc_lo, v17, s2
	s_wait_alu 0xfffd
	v_add_co_ci_u32_e64 v18, null, s3, v18, vcc_lo
	s_delay_alu instid0(VALU_DEP_2) | instskip(SKIP_1) | instid1(VALU_DEP_2)
	v_add_co_u32 v17, vcc_lo, v17, v4
	s_wait_alu 0xfffd
	v_add_co_ci_u32_e64 v18, null, v18, v5, vcc_lo
	s_delay_alu instid0(VALU_DEP_2) | instskip(SKIP_1) | instid1(VALU_DEP_2)
	v_add_co_u32 v17, vcc_lo, v17, v15
	s_wait_alu 0xfffd
	v_add_co_ci_u32_e64 v18, null, 0, v18, vcc_lo
	flat_load_b128 v[17:20], v[17:18]
	s_wait_loadcnt_dscnt 0x0
	ds_store_2addr_b64 v13, v[17:18], v[19:20] offset1:1
	s_or_b32 exec_lo, exec_lo, s18
	s_and_saveexec_b32 s16, s26
	s_cbranch_execz .LBB189_7
.LBB189_11:                             ;   in Loop: Header=BB189_4 Depth=1
	s_wait_loadcnt 0x1
	v_add_co_u32 v2, vcc_lo, v2, s4
	s_wait_alu 0xfffd
	v_add_co_ci_u32_e64 v3, null, s5, v3, vcc_lo
	s_delay_alu instid0(VALU_DEP_2) | instskip(SKIP_1) | instid1(VALU_DEP_2)
	v_add_co_u32 v2, vcc_lo, v2, s10
	s_wait_alu 0xfffd
	v_add_co_ci_u32_e64 v3, null, s11, v3, vcc_lo
	s_delay_alu instid0(VALU_DEP_2) | instskip(SKIP_1) | instid1(VALU_DEP_2)
	;; [unrolled: 4-line block ×3, first 2 shown]
	v_add_co_u32 v2, vcc_lo, v2, v15
	s_wait_alu 0xfffd
	v_add_co_ci_u32_e64 v3, null, 0, v3, vcc_lo
	flat_load_b128 v[17:20], v[2:3]
	s_wait_loadcnt_dscnt 0x0
	ds_store_2addr_b64 v16, v[17:18], v[19:20] offset1:1
	s_wait_alu 0xfffe
	s_or_b32 exec_lo, exec_lo, s16
	s_and_saveexec_b32 s16, s25
	s_cbranch_execz .LBB189_8
.LBB189_12:                             ;   in Loop: Header=BB189_4 Depth=1
	s_wait_loadcnt 0x1
	v_dual_mov_b32 v2, v0 :: v_dual_mov_b32 v3, v0
	ds_store_b128 v13, v[0:3]
	s_wait_alu 0xfffe
	s_or_b32 exec_lo, exec_lo, s16
	s_delay_alu instid0(SALU_CYCLE_1)
	s_and_b32 vcc_lo, exec_lo, s24
	s_wait_alu 0xfffe
	s_cbranch_vccnz .LBB189_9
.LBB189_13:                             ;   in Loop: Header=BB189_4 Depth=1
	s_mov_b32 s16, 0
.LBB189_14:                             ;   in Loop: Header=BB189_4 Depth=1
	s_wait_alu 0xfffe
	s_and_not1_b32 s16, s16, exec_lo
	s_and_b32 s17, s1, exec_lo
	s_wait_alu 0xfffe
	s_or_b32 s16, s16, s17
.LBB189_15:                             ;   in Loop: Header=BB189_4 Depth=1
	s_wait_alu 0xfffe
	s_and_saveexec_b32 s17, s16
; %bb.16:                               ;   in Loop: Header=BB189_4 Depth=1
	v_dual_mov_b32 v17, v0 :: v_dual_mov_b32 v18, v0
	v_dual_mov_b32 v19, v0 :: v_dual_mov_b32 v20, v0
	ds_store_b128 v13, v[17:20]
; %bb.17:                               ;   in Loop: Header=BB189_4 Depth=1
	s_wait_alu 0xfffe
	s_or_b32 exec_lo, exec_lo, s17
	s_wait_loadcnt_dscnt 0x0
	s_barrier_signal -1
	s_barrier_wait -1
	global_inv scope:SCOPE_SE
	s_and_saveexec_b32 s16, s26
	s_cbranch_execz .LBB189_2
; %bb.18:                               ;   in Loop: Header=BB189_4 Depth=1
	ds_load_b128 v[17:20], v14
	ds_load_b128 v[21:24], v12
	ds_load_b128 v[25:28], v12 offset:256
	ds_load_b128 v[29:32], v14 offset:256
	;; [unrolled: 1-line block ×6, first 2 shown]
	s_wait_dscnt 0x6
	v_mul_f64_e32 v[2:3], v[21:22], v[19:20]
	v_mul_f64_e32 v[19:20], v[23:24], v[19:20]
	s_wait_dscnt 0x4
	v_mul_f64_e32 v[49:50], v[25:26], v[31:32]
	v_mul_f64_e32 v[31:32], v[27:28], v[31:32]
	s_delay_alu instid0(VALU_DEP_4) | instskip(SKIP_2) | instid1(VALU_DEP_4)
	v_fma_f64 v[2:3], v[23:24], v[17:18], v[2:3]
	s_wait_dscnt 0x2
	v_mul_f64_e32 v[23:24], v[37:38], v[35:36]
	v_fma_f64 v[27:28], v[27:28], v[29:30], v[49:50]
	v_fma_f64 v[17:18], v[21:22], v[17:18], -v[19:20]
	s_wait_dscnt 0x0
	v_mul_f64_e32 v[49:50], v[41:42], v[47:48]
	v_mul_f64_e32 v[35:36], v[39:40], v[35:36]
	v_fma_f64 v[51:52], v[25:26], v[29:30], -v[31:32]
	v_mul_f64_e32 v[47:48], v[43:44], v[47:48]
	v_add_f64_e32 v[2:3], 0, v[2:3]
	v_fma_f64 v[39:40], v[39:40], v[33:34], v[23:24]
	v_add_f64_e32 v[53:54], 0, v[17:18]
	v_fma_f64 v[43:44], v[43:44], v[45:46], v[49:50]
	v_fma_f64 v[33:34], v[37:38], v[33:34], -v[35:36]
	v_add_f64_e32 v[2:3], v[2:3], v[27:28]
	ds_load_b128 v[17:20], v14 offset:1024
	ds_load_b128 v[21:24], v12 offset:1024
	ds_load_b128 v[25:28], v12 offset:1280
	ds_load_b128 v[29:32], v14 offset:1280
	v_add_f64_e32 v[35:36], v[53:54], v[51:52]
	v_fma_f64 v[51:52], v[41:42], v[45:46], -v[47:48]
	s_wait_dscnt 0x2
	v_mul_f64_e32 v[55:56], v[21:22], v[19:20]
	v_mul_f64_e32 v[19:20], v[23:24], v[19:20]
	s_wait_dscnt 0x0
	v_mul_f64_e32 v[49:50], v[25:26], v[31:32]
	v_mul_f64_e32 v[31:32], v[27:28], v[31:32]
	v_add_f64_e32 v[2:3], v[2:3], v[39:40]
	v_add_f64_e32 v[53:54], v[35:36], v[33:34]
	v_fma_f64 v[23:24], v[23:24], v[17:18], v[55:56]
	v_fma_f64 v[17:18], v[21:22], v[17:18], -v[19:20]
	v_fma_f64 v[27:28], v[27:28], v[29:30], v[49:50]
	v_add_f64_e32 v[2:3], v[2:3], v[43:44]
	ds_load_b128 v[33:36], v14 offset:1536
	ds_load_b128 v[37:40], v12 offset:1536
	ds_load_b128 v[41:44], v12 offset:1792
	ds_load_b128 v[45:48], v14 offset:1792
	v_add_f64_e32 v[19:20], v[53:54], v[51:52]
	v_fma_f64 v[51:52], v[25:26], v[29:30], -v[31:32]
	s_wait_dscnt 0x2
	v_mul_f64_e32 v[55:56], v[37:38], v[35:36]
	v_mul_f64_e32 v[35:36], v[39:40], v[35:36]
	s_wait_dscnt 0x0
	v_mul_f64_e32 v[49:50], v[41:42], v[47:48]
	v_mul_f64_e32 v[47:48], v[43:44], v[47:48]
	v_add_f64_e32 v[2:3], v[2:3], v[23:24]
	v_add_f64_e32 v[53:54], v[19:20], v[17:18]
	v_fma_f64 v[39:40], v[39:40], v[33:34], v[55:56]
	v_fma_f64 v[33:34], v[37:38], v[33:34], -v[35:36]
	v_fma_f64 v[43:44], v[43:44], v[45:46], v[49:50]
	;; [unrolled: 18-line block ×5, first 2 shown]
	v_fma_f64 v[25:26], v[25:26], v[29:30], -v[31:32]
	v_add_f64_e32 v[2:3], v[2:3], v[43:44]
	ds_load_b128 v[33:36], v14 offset:3584
	ds_load_b128 v[37:40], v12 offset:3584
	;; [unrolled: 1-line block ×4, first 2 shown]
	v_add_f64_e32 v[19:20], v[53:54], v[51:52]
	s_wait_dscnt 0x2
	v_mul_f64_e32 v[55:56], v[37:38], v[35:36]
	s_wait_dscnt 0x0
	v_mul_f64_e32 v[21:22], v[41:42], v[47:48]
	v_add_f64_e32 v[2:3], v[2:3], v[23:24]
	v_mul_f64_e32 v[23:24], v[39:40], v[35:36]
	v_add_f64_e32 v[17:18], v[19:20], v[17:18]
	v_mul_f64_e32 v[19:20], v[43:44], v[47:48]
	v_fma_f64 v[35:36], v[39:40], v[33:34], v[55:56]
	v_fma_f64 v[21:22], v[43:44], v[45:46], v[21:22]
	v_add_f64_e32 v[2:3], v[2:3], v[27:28]
	v_fma_f64 v[23:24], v[37:38], v[33:34], -v[23:24]
	v_add_f64_e32 v[17:18], v[17:18], v[25:26]
	v_fma_f64 v[19:20], v[41:42], v[45:46], -v[19:20]
	s_delay_alu instid0(VALU_DEP_4) | instskip(NEXT) | instid1(VALU_DEP_3)
	v_add_f64_e32 v[2:3], v[2:3], v[35:36]
	v_add_f64_e32 v[17:18], v[17:18], v[23:24]
	s_delay_alu instid0(VALU_DEP_2) | instskip(NEXT) | instid1(VALU_DEP_2)
	v_add_f64_e32 v[2:3], v[2:3], v[21:22]
	v_add_f64_e32 v[17:18], v[17:18], v[19:20]
	s_delay_alu instid0(VALU_DEP_2) | instskip(SKIP_1) | instid1(VALU_DEP_2)
	v_mul_f64_e32 v[19:20], s[28:29], v[2:3]
	v_mul_f64_e32 v[2:3], s[30:31], v[2:3]
	v_fma_f64 v[19:20], s[30:31], v[17:18], v[19:20]
	s_delay_alu instid0(VALU_DEP_2) | instskip(SKIP_3) | instid1(VALU_DEP_2)
	v_fma_f64 v[17:18], s[28:29], v[17:18], -v[2:3]
	v_add_co_u32 v2, vcc_lo, v10, s12
	s_wait_alu 0xfffd
	v_add_co_ci_u32_e64 v3, null, s13, v11, vcc_lo
	v_add_co_u32 v2, vcc_lo, v2, s10
	s_wait_alu 0xfffd
	s_delay_alu instid0(VALU_DEP_2) | instskip(NEXT) | instid1(VALU_DEP_2)
	v_add_co_ci_u32_e64 v3, null, s11, v3, vcc_lo
	v_add_co_u32 v2, vcc_lo, v2, v8
	s_wait_alu 0xfffd
	s_delay_alu instid0(VALU_DEP_2) | instskip(NEXT) | instid1(VALU_DEP_2)
	v_add_co_ci_u32_e64 v3, null, v3, v9, vcc_lo
	v_add_co_u32 v2, vcc_lo, v2, v15
	s_wait_alu 0xfffd
	s_delay_alu instid0(VALU_DEP_2)
	v_add_co_ci_u32_e64 v3, null, 0, v3, vcc_lo
	flat_store_b128 v[2:3], v[17:20]
	s_branch .LBB189_2
.LBB189_19:
	s_endpgm
	.section	.rodata,"a",@progbits
	.p2align	6, 0x0
	.amdhsa_kernel _ZL23rocblas_trmm_rTx_kernelILi16ELb0E19rocblas_complex_numIdES1_KPKS1_KPS1_Ev13rocblas_fill_17rocblas_diagonal_iiT2_lPT3_llSB_llPT4_lli
		.amdhsa_group_segment_fixed_size 8192
		.amdhsa_private_segment_fixed_size 0
		.amdhsa_kernarg_size 116
		.amdhsa_user_sgpr_count 2
		.amdhsa_user_sgpr_dispatch_ptr 0
		.amdhsa_user_sgpr_queue_ptr 0
		.amdhsa_user_sgpr_kernarg_segment_ptr 1
		.amdhsa_user_sgpr_dispatch_id 0
		.amdhsa_user_sgpr_private_segment_size 0
		.amdhsa_wavefront_size32 1
		.amdhsa_uses_dynamic_stack 0
		.amdhsa_enable_private_segment 0
		.amdhsa_system_sgpr_workgroup_id_x 1
		.amdhsa_system_sgpr_workgroup_id_y 0
		.amdhsa_system_sgpr_workgroup_id_z 1
		.amdhsa_system_sgpr_workgroup_info 0
		.amdhsa_system_vgpr_workitem_id 1
		.amdhsa_next_free_vgpr 57
		.amdhsa_next_free_sgpr 40
		.amdhsa_reserve_vcc 1
		.amdhsa_float_round_mode_32 0
		.amdhsa_float_round_mode_16_64 0
		.amdhsa_float_denorm_mode_32 3
		.amdhsa_float_denorm_mode_16_64 3
		.amdhsa_fp16_overflow 0
		.amdhsa_workgroup_processor_mode 1
		.amdhsa_memory_ordered 1
		.amdhsa_forward_progress 1
		.amdhsa_inst_pref_size 16
		.amdhsa_round_robin_scheduling 0
		.amdhsa_exception_fp_ieee_invalid_op 0
		.amdhsa_exception_fp_denorm_src 0
		.amdhsa_exception_fp_ieee_div_zero 0
		.amdhsa_exception_fp_ieee_overflow 0
		.amdhsa_exception_fp_ieee_underflow 0
		.amdhsa_exception_fp_ieee_inexact 0
		.amdhsa_exception_int_div_zero 0
	.end_amdhsa_kernel
	.section	.text._ZL23rocblas_trmm_rTx_kernelILi16ELb0E19rocblas_complex_numIdES1_KPKS1_KPS1_Ev13rocblas_fill_17rocblas_diagonal_iiT2_lPT3_llSB_llPT4_lli,"axG",@progbits,_ZL23rocblas_trmm_rTx_kernelILi16ELb0E19rocblas_complex_numIdES1_KPKS1_KPS1_Ev13rocblas_fill_17rocblas_diagonal_iiT2_lPT3_llSB_llPT4_lli,comdat
.Lfunc_end189:
	.size	_ZL23rocblas_trmm_rTx_kernelILi16ELb0E19rocblas_complex_numIdES1_KPKS1_KPS1_Ev13rocblas_fill_17rocblas_diagonal_iiT2_lPT3_llSB_llPT4_lli, .Lfunc_end189-_ZL23rocblas_trmm_rTx_kernelILi16ELb0E19rocblas_complex_numIdES1_KPKS1_KPS1_Ev13rocblas_fill_17rocblas_diagonal_iiT2_lPT3_llSB_llPT4_lli
                                        ; -- End function
	.set _ZL23rocblas_trmm_rTx_kernelILi16ELb0E19rocblas_complex_numIdES1_KPKS1_KPS1_Ev13rocblas_fill_17rocblas_diagonal_iiT2_lPT3_llSB_llPT4_lli.num_vgpr, 57
	.set _ZL23rocblas_trmm_rTx_kernelILi16ELb0E19rocblas_complex_numIdES1_KPKS1_KPS1_Ev13rocblas_fill_17rocblas_diagonal_iiT2_lPT3_llSB_llPT4_lli.num_agpr, 0
	.set _ZL23rocblas_trmm_rTx_kernelILi16ELb0E19rocblas_complex_numIdES1_KPKS1_KPS1_Ev13rocblas_fill_17rocblas_diagonal_iiT2_lPT3_llSB_llPT4_lli.numbered_sgpr, 40
	.set _ZL23rocblas_trmm_rTx_kernelILi16ELb0E19rocblas_complex_numIdES1_KPKS1_KPS1_Ev13rocblas_fill_17rocblas_diagonal_iiT2_lPT3_llSB_llPT4_lli.num_named_barrier, 0
	.set _ZL23rocblas_trmm_rTx_kernelILi16ELb0E19rocblas_complex_numIdES1_KPKS1_KPS1_Ev13rocblas_fill_17rocblas_diagonal_iiT2_lPT3_llSB_llPT4_lli.private_seg_size, 0
	.set _ZL23rocblas_trmm_rTx_kernelILi16ELb0E19rocblas_complex_numIdES1_KPKS1_KPS1_Ev13rocblas_fill_17rocblas_diagonal_iiT2_lPT3_llSB_llPT4_lli.uses_vcc, 1
	.set _ZL23rocblas_trmm_rTx_kernelILi16ELb0E19rocblas_complex_numIdES1_KPKS1_KPS1_Ev13rocblas_fill_17rocblas_diagonal_iiT2_lPT3_llSB_llPT4_lli.uses_flat_scratch, 0
	.set _ZL23rocblas_trmm_rTx_kernelILi16ELb0E19rocblas_complex_numIdES1_KPKS1_KPS1_Ev13rocblas_fill_17rocblas_diagonal_iiT2_lPT3_llSB_llPT4_lli.has_dyn_sized_stack, 0
	.set _ZL23rocblas_trmm_rTx_kernelILi16ELb0E19rocblas_complex_numIdES1_KPKS1_KPS1_Ev13rocblas_fill_17rocblas_diagonal_iiT2_lPT3_llSB_llPT4_lli.has_recursion, 0
	.set _ZL23rocblas_trmm_rTx_kernelILi16ELb0E19rocblas_complex_numIdES1_KPKS1_KPS1_Ev13rocblas_fill_17rocblas_diagonal_iiT2_lPT3_llSB_llPT4_lli.has_indirect_call, 0
	.section	.AMDGPU.csdata,"",@progbits
; Kernel info:
; codeLenInByte = 2004
; TotalNumSgprs: 42
; NumVgprs: 57
; ScratchSize: 0
; MemoryBound: 0
; FloatMode: 240
; IeeeMode: 1
; LDSByteSize: 8192 bytes/workgroup (compile time only)
; SGPRBlocks: 0
; VGPRBlocks: 7
; NumSGPRsForWavesPerEU: 42
; NumVGPRsForWavesPerEU: 57
; Occupancy: 16
; WaveLimiterHint : 1
; COMPUTE_PGM_RSRC2:SCRATCH_EN: 0
; COMPUTE_PGM_RSRC2:USER_SGPR: 2
; COMPUTE_PGM_RSRC2:TRAP_HANDLER: 0
; COMPUTE_PGM_RSRC2:TGID_X_EN: 1
; COMPUTE_PGM_RSRC2:TGID_Y_EN: 0
; COMPUTE_PGM_RSRC2:TGID_Z_EN: 1
; COMPUTE_PGM_RSRC2:TIDIG_COMP_CNT: 1
	.section	.text._ZL23rocblas_trmm_rTx_kernelILi16ELb1E19rocblas_complex_numIdEPKS1_KS3_KPS1_Ev13rocblas_fill_17rocblas_diagonal_iiT2_lPT3_llSB_llPT4_lli,"axG",@progbits,_ZL23rocblas_trmm_rTx_kernelILi16ELb1E19rocblas_complex_numIdEPKS1_KS3_KPS1_Ev13rocblas_fill_17rocblas_diagonal_iiT2_lPT3_llSB_llPT4_lli,comdat
	.globl	_ZL23rocblas_trmm_rTx_kernelILi16ELb1E19rocblas_complex_numIdEPKS1_KS3_KPS1_Ev13rocblas_fill_17rocblas_diagonal_iiT2_lPT3_llSB_llPT4_lli ; -- Begin function _ZL23rocblas_trmm_rTx_kernelILi16ELb1E19rocblas_complex_numIdEPKS1_KS3_KPS1_Ev13rocblas_fill_17rocblas_diagonal_iiT2_lPT3_llSB_llPT4_lli
	.p2align	8
	.type	_ZL23rocblas_trmm_rTx_kernelILi16ELb1E19rocblas_complex_numIdEPKS1_KS3_KPS1_Ev13rocblas_fill_17rocblas_diagonal_iiT2_lPT3_llSB_llPT4_lli,@function
_ZL23rocblas_trmm_rTx_kernelILi16ELb1E19rocblas_complex_numIdEPKS1_KS3_KPS1_Ev13rocblas_fill_17rocblas_diagonal_iiT2_lPT3_llSB_llPT4_lli: ; @_ZL23rocblas_trmm_rTx_kernelILi16ELb1E19rocblas_complex_numIdEPKS1_KS3_KPS1_Ev13rocblas_fill_17rocblas_diagonal_iiT2_lPT3_llSB_llPT4_lli
; %bb.0:
	s_load_b32 s30, s[0:1], 0x68
	s_lshr_b32 s28, ttmp7, 16
	s_wait_kmcnt 0x0
	s_cmp_ge_u32 s28, s30
	s_cbranch_scc1 .LBB190_19
; %bb.1:
	s_clause 0x3
	s_load_b128 s[24:27], s[0:1], 0x0
	s_load_b512 s[4:19], s[0:1], 0x10
	s_load_b128 s[20:23], s[0:1], 0x50
	s_load_b64 s[2:3], s[0:1], 0x60
	v_bfe_u32 v11, v0, 10, 10
	v_and_b32_e32 v14, 0x3ff, v0
	v_mov_b32_e32 v0, 0
	s_mov_b32 s29, 0
	s_delay_alu instid0(VALU_DEP_3) | instskip(NEXT) | instid1(VALU_DEP_3)
	v_lshlrev_b32_e32 v16, 4, v11
	v_cmp_eq_u32_e32 vcc_lo, v11, v14
	v_lshl_add_u32 v19, v14, 4, 0x1000
	v_lshlrev_b32_e32 v20, 4, v14
	s_wait_kmcnt 0x0
	s_add_co_i32 s1, s26, -1
	v_mad_co_u64_u32 v[1:2], null, s10, v11, 0
	v_mad_co_u64_u32 v[3:4], null, s16, v11, 0
	s_ashr_i32 s10, s1, 31
	v_mad_co_u64_u32 v[5:6], null, s22, v11, 0
	s_wait_alu 0xfffe
	s_lshr_b32 s10, s10, 28
	v_cmp_gt_i32_e64 s0, s27, v11
	s_wait_alu 0xfffe
	s_add_co_i32 s10, s1, s10
	v_mad_co_u64_u32 v[7:8], null, s11, v11, v[2:3]
	s_wait_alu 0xfffe
	s_ashr_i32 s16, s10, 4
	s_and_b32 s10, s10, -16
	v_cmp_gt_i32_e64 s1, s27, v14
	s_wait_alu 0xfffe
	s_sub_co_i32 s10, s26, s10
	s_cmp_ge_i32 ttmp9, s16
	v_mad_co_u64_u32 v[8:9], null, s17, v11, v[4:5]
	v_mad_co_u64_u32 v[9:10], null, s23, v11, v[6:7]
	s_wait_alu 0xfffe
	s_cselect_b32 s10, s10, 16
	s_and_b32 s22, s0, s1
	s_wait_alu 0xfffe
	v_cmp_gt_i32_e64 s1, s10, v14
	v_mov_b32_e32 v2, v7
	s_lshl_b32 s16, ttmp9, 4
	v_mov_b32_e32 v4, v8
	s_wait_alu 0xfffe
	s_ashr_i32 s17, s16, 31
	s_and_b32 s26, s0, s1
	v_mov_b32_e32 v6, v9
	s_cmp_eq_u32 s25, 0x84
	v_lshlrev_b64_e32 v[8:9], 4, v[1:2]
	v_mov_b32_e32 v1, 0x3ff00000
	v_add_lshl_u32 v17, v16, v14, 4
	s_cselect_b32 s0, -1, 0
	v_cmp_gt_u32_e64 s1, v14, v11
	s_and_b32 s23, vcc_lo, s0
	v_cmp_lt_u32_e64 s0, v14, v11
	v_lshlrev_b64_e32 v[10:11], 4, v[3:4]
	v_lshlrev_b64_e32 v[12:13], 4, v[5:6]
	v_add_nc_u32_e32 v18, 0x1000, v17
	s_cmp_lg_u32 s24, 0x79
	s_cselect_b32 s24, -1, 0
	s_lshl_b64 s[10:11], s[12:13], 4
	s_lshl_b64 s[12:13], s[18:19], 4
	s_wait_alu 0xfffe
	s_lshl_b64 s[16:17], s[16:17], 4
	s_lshl_b64 s[18:19], s[2:3], 4
	s_branch .LBB190_4
.LBB190_2:                              ;   in Loop: Header=BB190_4 Depth=1
	s_or_b32 exec_lo, exec_lo, s2
.LBB190_3:                              ;   in Loop: Header=BB190_4 Depth=1
	s_add_co_i32 s28, s28, 0x10000
	s_delay_alu instid0(SALU_CYCLE_1)
	s_cmp_lt_u32 s28, s30
	s_cbranch_scc0 .LBB190_19
.LBB190_4:                              ; =>This Inner Loop Header: Depth=1
	s_mul_u64 s[2:3], s[6:7], s[28:29]
	s_delay_alu instid0(SALU_CYCLE_1) | instskip(NEXT) | instid1(SALU_CYCLE_1)
	s_lshl_b64 s[2:3], s[2:3], 4
	s_add_nc_u64 s[2:3], s[4:5], s[2:3]
	global_load_b128 v[4:7], v0, s[2:3]
	s_wait_loadcnt 0x0
	v_cmp_neq_f64_e32 vcc_lo, 0, v[4:5]
	v_cmp_neq_f64_e64 s2, 0, v[6:7]
	s_or_b32 s2, vcc_lo, s2
	s_delay_alu instid0(SALU_CYCLE_1)
	s_and_not1_b32 vcc_lo, exec_lo, s2
	s_wait_alu 0xfffe
	s_cbranch_vccnz .LBB190_3
; %bb.5:                                ;   in Loop: Header=BB190_4 Depth=1
	s_lshl_b64 s[2:3], s[28:29], 3
	s_mov_b32 s38, s29
	s_add_nc_u64 s[34:35], s[14:15], s[2:3]
	s_add_nc_u64 s[36:37], s[20:21], s[2:3]
	s_clause 0x1
	global_load_b64 v[2:3], v0, s[34:35]
	global_load_b64 v[14:15], v0, s[36:37]
	s_mov_b32 s36, s29
	s_mov_b32 s37, s29
	;; [unrolled: 1-line block ×3, first 2 shown]
	s_wait_alu 0xfffe
	v_dual_mov_b32 v21, s36 :: v_dual_mov_b32 v22, s37
	v_dual_mov_b32 v23, s38 :: v_dual_mov_b32 v24, s39
	ds_store_b128 v17, v[21:24]
	ds_store_b128 v18, v[21:24]
	s_and_saveexec_b32 s25, s22
	s_cbranch_execnz .LBB190_10
; %bb.6:                                ;   in Loop: Header=BB190_4 Depth=1
	s_or_b32 exec_lo, exec_lo, s25
	s_and_saveexec_b32 s2, s26
	s_cbranch_execnz .LBB190_11
.LBB190_7:                              ;   in Loop: Header=BB190_4 Depth=1
	s_or_b32 exec_lo, exec_lo, s2
	s_and_saveexec_b32 s2, s23
	s_cbranch_execnz .LBB190_12
.LBB190_8:                              ;   in Loop: Header=BB190_4 Depth=1
	s_or_b32 exec_lo, exec_lo, s2
	s_delay_alu instid0(SALU_CYCLE_1)
	s_and_b32 vcc_lo, exec_lo, s24
	s_wait_alu 0xfffe
	s_cbranch_vccz .LBB190_13
.LBB190_9:                              ;   in Loop: Header=BB190_4 Depth=1
	s_and_b32 s2, s0, exec_lo
	s_cbranch_execz .LBB190_14
	s_branch .LBB190_15
.LBB190_10:                             ;   in Loop: Header=BB190_4 Depth=1
	s_add_nc_u64 s[2:3], s[8:9], s[2:3]
	global_load_b64 v[21:22], v0, s[2:3]
	s_wait_loadcnt 0x0
	v_add_co_u32 v21, vcc_lo, v21, s10
	s_wait_alu 0xfffd
	v_add_co_ci_u32_e64 v22, null, s11, v22, vcc_lo
	s_delay_alu instid0(VALU_DEP_2) | instskip(SKIP_1) | instid1(VALU_DEP_2)
	v_add_co_u32 v21, vcc_lo, v21, v8
	s_wait_alu 0xfffd
	v_add_co_ci_u32_e64 v22, null, v22, v9, vcc_lo
	s_delay_alu instid0(VALU_DEP_2) | instskip(SKIP_1) | instid1(VALU_DEP_2)
	v_add_co_u32 v21, vcc_lo, v21, v20
	s_wait_alu 0xfffd
	v_add_co_ci_u32_e64 v22, null, 0, v22, vcc_lo
	flat_load_b128 v[21:24], v[21:22]
	s_wait_loadcnt_dscnt 0x0
	v_xor_b32_e32 v24, 0x80000000, v24
	ds_store_b128 v17, v[21:24]
	s_or_b32 exec_lo, exec_lo, s25
	s_and_saveexec_b32 s2, s26
	s_cbranch_execz .LBB190_7
.LBB190_11:                             ;   in Loop: Header=BB190_4 Depth=1
	s_wait_loadcnt 0x1
	v_add_co_u32 v2, vcc_lo, v2, s12
	s_wait_alu 0xfffd
	v_add_co_ci_u32_e64 v3, null, s13, v3, vcc_lo
	s_wait_alu 0xfffe
	s_delay_alu instid0(VALU_DEP_2) | instskip(SKIP_1) | instid1(VALU_DEP_2)
	v_add_co_u32 v2, vcc_lo, v2, s16
	s_wait_alu 0xfffd
	v_add_co_ci_u32_e64 v3, null, s17, v3, vcc_lo
	s_delay_alu instid0(VALU_DEP_2) | instskip(SKIP_1) | instid1(VALU_DEP_2)
	v_add_co_u32 v2, vcc_lo, v2, v10
	s_wait_alu 0xfffd
	v_add_co_ci_u32_e64 v3, null, v3, v11, vcc_lo
	;; [unrolled: 4-line block ×3, first 2 shown]
	flat_load_b128 v[21:24], v[2:3]
	s_wait_loadcnt_dscnt 0x0
	ds_store_2addr_b64 v18, v[21:22], v[23:24] offset1:1
	s_or_b32 exec_lo, exec_lo, s2
	s_and_saveexec_b32 s2, s23
	s_cbranch_execz .LBB190_8
.LBB190_12:                             ;   in Loop: Header=BB190_4 Depth=1
	s_wait_loadcnt 0x1
	v_dual_mov_b32 v2, v0 :: v_dual_mov_b32 v3, v0
	ds_store_b128 v17, v[0:3]
	s_or_b32 exec_lo, exec_lo, s2
	s_delay_alu instid0(SALU_CYCLE_1)
	s_and_b32 vcc_lo, exec_lo, s24
	s_wait_alu 0xfffe
	s_cbranch_vccnz .LBB190_9
.LBB190_13:                             ;   in Loop: Header=BB190_4 Depth=1
	s_mov_b32 s2, 0
.LBB190_14:                             ;   in Loop: Header=BB190_4 Depth=1
	s_delay_alu instid0(SALU_CYCLE_1) | instskip(SKIP_1) | instid1(SALU_CYCLE_1)
	s_and_not1_b32 s2, s2, exec_lo
	s_and_b32 s3, s1, exec_lo
	s_or_b32 s2, s2, s3
.LBB190_15:                             ;   in Loop: Header=BB190_4 Depth=1
	s_delay_alu instid0(SALU_CYCLE_1)
	s_and_saveexec_b32 s3, s2
; %bb.16:                               ;   in Loop: Header=BB190_4 Depth=1
	v_dual_mov_b32 v21, v0 :: v_dual_mov_b32 v22, v0
	v_dual_mov_b32 v23, v0 :: v_dual_mov_b32 v24, v0
	ds_store_b128 v17, v[21:24]
; %bb.17:                               ;   in Loop: Header=BB190_4 Depth=1
	s_or_b32 exec_lo, exec_lo, s3
	s_wait_loadcnt_dscnt 0x0
	s_barrier_signal -1
	s_barrier_wait -1
	global_inv scope:SCOPE_SE
	s_and_saveexec_b32 s2, s26
	s_cbranch_execz .LBB190_2
; %bb.18:                               ;   in Loop: Header=BB190_4 Depth=1
	ds_load_b128 v[21:24], v19
	ds_load_b128 v[25:28], v16
	ds_load_b128 v[29:32], v16 offset:256
	ds_load_b128 v[33:36], v19 offset:256
	;; [unrolled: 1-line block ×6, first 2 shown]
	s_wait_dscnt 0x6
	v_mul_f64_e32 v[2:3], v[25:26], v[23:24]
	v_mul_f64_e32 v[23:24], v[27:28], v[23:24]
	s_wait_dscnt 0x4
	v_mul_f64_e32 v[53:54], v[29:30], v[35:36]
	v_mul_f64_e32 v[35:36], v[31:32], v[35:36]
	s_delay_alu instid0(VALU_DEP_4) | instskip(SKIP_2) | instid1(VALU_DEP_4)
	v_fma_f64 v[2:3], v[27:28], v[21:22], v[2:3]
	s_wait_dscnt 0x2
	v_mul_f64_e32 v[27:28], v[41:42], v[39:40]
	v_fma_f64 v[31:32], v[31:32], v[33:34], v[53:54]
	v_fma_f64 v[21:22], v[25:26], v[21:22], -v[23:24]
	s_wait_dscnt 0x0
	v_mul_f64_e32 v[53:54], v[45:46], v[51:52]
	v_mul_f64_e32 v[39:40], v[43:44], v[39:40]
	v_fma_f64 v[55:56], v[29:30], v[33:34], -v[35:36]
	v_mul_f64_e32 v[51:52], v[47:48], v[51:52]
	v_add_f64_e32 v[2:3], 0, v[2:3]
	v_fma_f64 v[43:44], v[43:44], v[37:38], v[27:28]
	v_add_f64_e32 v[57:58], 0, v[21:22]
	v_fma_f64 v[47:48], v[47:48], v[49:50], v[53:54]
	v_fma_f64 v[37:38], v[41:42], v[37:38], -v[39:40]
	v_add_f64_e32 v[2:3], v[2:3], v[31:32]
	ds_load_b128 v[21:24], v19 offset:1024
	ds_load_b128 v[25:28], v16 offset:1024
	ds_load_b128 v[29:32], v16 offset:1280
	ds_load_b128 v[33:36], v19 offset:1280
	v_add_f64_e32 v[39:40], v[57:58], v[55:56]
	v_fma_f64 v[55:56], v[45:46], v[49:50], -v[51:52]
	s_wait_dscnt 0x2
	v_mul_f64_e32 v[59:60], v[25:26], v[23:24]
	v_mul_f64_e32 v[23:24], v[27:28], v[23:24]
	s_wait_dscnt 0x0
	v_mul_f64_e32 v[53:54], v[29:30], v[35:36]
	v_mul_f64_e32 v[35:36], v[31:32], v[35:36]
	v_add_f64_e32 v[2:3], v[2:3], v[43:44]
	v_add_f64_e32 v[57:58], v[39:40], v[37:38]
	v_fma_f64 v[27:28], v[27:28], v[21:22], v[59:60]
	v_fma_f64 v[21:22], v[25:26], v[21:22], -v[23:24]
	v_fma_f64 v[31:32], v[31:32], v[33:34], v[53:54]
	v_add_f64_e32 v[2:3], v[2:3], v[47:48]
	ds_load_b128 v[37:40], v19 offset:1536
	ds_load_b128 v[41:44], v16 offset:1536
	ds_load_b128 v[45:48], v16 offset:1792
	ds_load_b128 v[49:52], v19 offset:1792
	v_add_f64_e32 v[23:24], v[57:58], v[55:56]
	v_fma_f64 v[55:56], v[29:30], v[33:34], -v[35:36]
	s_wait_dscnt 0x2
	v_mul_f64_e32 v[59:60], v[41:42], v[39:40]
	v_mul_f64_e32 v[39:40], v[43:44], v[39:40]
	s_wait_dscnt 0x0
	v_mul_f64_e32 v[53:54], v[45:46], v[51:52]
	v_mul_f64_e32 v[51:52], v[47:48], v[51:52]
	v_add_f64_e32 v[2:3], v[2:3], v[27:28]
	v_add_f64_e32 v[57:58], v[23:24], v[21:22]
	v_fma_f64 v[43:44], v[43:44], v[37:38], v[59:60]
	v_fma_f64 v[37:38], v[41:42], v[37:38], -v[39:40]
	v_fma_f64 v[47:48], v[47:48], v[49:50], v[53:54]
	;; [unrolled: 18-line block ×5, first 2 shown]
	v_fma_f64 v[29:30], v[29:30], v[33:34], -v[35:36]
	v_add_f64_e32 v[2:3], v[2:3], v[47:48]
	ds_load_b128 v[37:40], v19 offset:3584
	ds_load_b128 v[41:44], v16 offset:3584
	;; [unrolled: 1-line block ×4, first 2 shown]
	v_add_f64_e32 v[23:24], v[57:58], v[55:56]
	s_wait_dscnt 0x2
	v_mul_f64_e32 v[59:60], v[41:42], v[39:40]
	s_wait_dscnt 0x0
	v_mul_f64_e32 v[25:26], v[45:46], v[51:52]
	v_add_f64_e32 v[2:3], v[2:3], v[27:28]
	v_mul_f64_e32 v[27:28], v[43:44], v[39:40]
	v_add_f64_e32 v[21:22], v[23:24], v[21:22]
	v_mul_f64_e32 v[23:24], v[47:48], v[51:52]
	v_fma_f64 v[39:40], v[43:44], v[37:38], v[59:60]
	v_fma_f64 v[25:26], v[47:48], v[49:50], v[25:26]
	v_add_f64_e32 v[2:3], v[2:3], v[31:32]
	v_fma_f64 v[27:28], v[41:42], v[37:38], -v[27:28]
	v_add_f64_e32 v[21:22], v[21:22], v[29:30]
	v_fma_f64 v[23:24], v[45:46], v[49:50], -v[23:24]
	s_delay_alu instid0(VALU_DEP_4) | instskip(NEXT) | instid1(VALU_DEP_3)
	v_add_f64_e32 v[2:3], v[2:3], v[39:40]
	v_add_f64_e32 v[21:22], v[21:22], v[27:28]
	s_delay_alu instid0(VALU_DEP_2) | instskip(NEXT) | instid1(VALU_DEP_2)
	v_add_f64_e32 v[2:3], v[2:3], v[25:26]
	v_add_f64_e32 v[21:22], v[21:22], v[23:24]
	s_delay_alu instid0(VALU_DEP_2) | instskip(SKIP_1) | instid1(VALU_DEP_2)
	v_mul_f64_e32 v[23:24], v[4:5], v[2:3]
	v_mul_f64_e32 v[2:3], v[6:7], v[2:3]
	v_fma_f64 v[6:7], v[6:7], v[21:22], v[23:24]
	s_delay_alu instid0(VALU_DEP_2) | instskip(SKIP_4) | instid1(VALU_DEP_2)
	v_fma_f64 v[4:5], v[4:5], v[21:22], -v[2:3]
	v_add_co_u32 v2, vcc_lo, v14, s18
	s_wait_alu 0xfffd
	v_add_co_ci_u32_e64 v3, null, s19, v15, vcc_lo
	s_wait_alu 0xfffe
	v_add_co_u32 v2, vcc_lo, v2, s16
	s_wait_alu 0xfffd
	s_delay_alu instid0(VALU_DEP_2) | instskip(NEXT) | instid1(VALU_DEP_2)
	v_add_co_ci_u32_e64 v3, null, s17, v3, vcc_lo
	v_add_co_u32 v2, vcc_lo, v2, v12
	s_wait_alu 0xfffd
	s_delay_alu instid0(VALU_DEP_2) | instskip(NEXT) | instid1(VALU_DEP_2)
	v_add_co_ci_u32_e64 v3, null, v3, v13, vcc_lo
	v_add_co_u32 v2, vcc_lo, v2, v20
	s_wait_alu 0xfffd
	s_delay_alu instid0(VALU_DEP_2)
	v_add_co_ci_u32_e64 v3, null, 0, v3, vcc_lo
	flat_store_b128 v[2:3], v[4:7]
	s_branch .LBB190_2
.LBB190_19:
	s_endpgm
	.section	.rodata,"a",@progbits
	.p2align	6, 0x0
	.amdhsa_kernel _ZL23rocblas_trmm_rTx_kernelILi16ELb1E19rocblas_complex_numIdEPKS1_KS3_KPS1_Ev13rocblas_fill_17rocblas_diagonal_iiT2_lPT3_llSB_llPT4_lli
		.amdhsa_group_segment_fixed_size 8192
		.amdhsa_private_segment_fixed_size 0
		.amdhsa_kernarg_size 108
		.amdhsa_user_sgpr_count 2
		.amdhsa_user_sgpr_dispatch_ptr 0
		.amdhsa_user_sgpr_queue_ptr 0
		.amdhsa_user_sgpr_kernarg_segment_ptr 1
		.amdhsa_user_sgpr_dispatch_id 0
		.amdhsa_user_sgpr_private_segment_size 0
		.amdhsa_wavefront_size32 1
		.amdhsa_uses_dynamic_stack 0
		.amdhsa_enable_private_segment 0
		.amdhsa_system_sgpr_workgroup_id_x 1
		.amdhsa_system_sgpr_workgroup_id_y 0
		.amdhsa_system_sgpr_workgroup_id_z 1
		.amdhsa_system_sgpr_workgroup_info 0
		.amdhsa_system_vgpr_workitem_id 1
		.amdhsa_next_free_vgpr 61
		.amdhsa_next_free_sgpr 40
		.amdhsa_reserve_vcc 1
		.amdhsa_float_round_mode_32 0
		.amdhsa_float_round_mode_16_64 0
		.amdhsa_float_denorm_mode_32 3
		.amdhsa_float_denorm_mode_16_64 3
		.amdhsa_fp16_overflow 0
		.amdhsa_workgroup_processor_mode 1
		.amdhsa_memory_ordered 1
		.amdhsa_forward_progress 1
		.amdhsa_inst_pref_size 16
		.amdhsa_round_robin_scheduling 0
		.amdhsa_exception_fp_ieee_invalid_op 0
		.amdhsa_exception_fp_denorm_src 0
		.amdhsa_exception_fp_ieee_div_zero 0
		.amdhsa_exception_fp_ieee_overflow 0
		.amdhsa_exception_fp_ieee_underflow 0
		.amdhsa_exception_fp_ieee_inexact 0
		.amdhsa_exception_int_div_zero 0
	.end_amdhsa_kernel
	.section	.text._ZL23rocblas_trmm_rTx_kernelILi16ELb1E19rocblas_complex_numIdEPKS1_KS3_KPS1_Ev13rocblas_fill_17rocblas_diagonal_iiT2_lPT3_llSB_llPT4_lli,"axG",@progbits,_ZL23rocblas_trmm_rTx_kernelILi16ELb1E19rocblas_complex_numIdEPKS1_KS3_KPS1_Ev13rocblas_fill_17rocblas_diagonal_iiT2_lPT3_llSB_llPT4_lli,comdat
.Lfunc_end190:
	.size	_ZL23rocblas_trmm_rTx_kernelILi16ELb1E19rocblas_complex_numIdEPKS1_KS3_KPS1_Ev13rocblas_fill_17rocblas_diagonal_iiT2_lPT3_llSB_llPT4_lli, .Lfunc_end190-_ZL23rocblas_trmm_rTx_kernelILi16ELb1E19rocblas_complex_numIdEPKS1_KS3_KPS1_Ev13rocblas_fill_17rocblas_diagonal_iiT2_lPT3_llSB_llPT4_lli
                                        ; -- End function
	.set _ZL23rocblas_trmm_rTx_kernelILi16ELb1E19rocblas_complex_numIdEPKS1_KS3_KPS1_Ev13rocblas_fill_17rocblas_diagonal_iiT2_lPT3_llSB_llPT4_lli.num_vgpr, 61
	.set _ZL23rocblas_trmm_rTx_kernelILi16ELb1E19rocblas_complex_numIdEPKS1_KS3_KPS1_Ev13rocblas_fill_17rocblas_diagonal_iiT2_lPT3_llSB_llPT4_lli.num_agpr, 0
	.set _ZL23rocblas_trmm_rTx_kernelILi16ELb1E19rocblas_complex_numIdEPKS1_KS3_KPS1_Ev13rocblas_fill_17rocblas_diagonal_iiT2_lPT3_llSB_llPT4_lli.numbered_sgpr, 40
	.set _ZL23rocblas_trmm_rTx_kernelILi16ELb1E19rocblas_complex_numIdEPKS1_KS3_KPS1_Ev13rocblas_fill_17rocblas_diagonal_iiT2_lPT3_llSB_llPT4_lli.num_named_barrier, 0
	.set _ZL23rocblas_trmm_rTx_kernelILi16ELb1E19rocblas_complex_numIdEPKS1_KS3_KPS1_Ev13rocblas_fill_17rocblas_diagonal_iiT2_lPT3_llSB_llPT4_lli.private_seg_size, 0
	.set _ZL23rocblas_trmm_rTx_kernelILi16ELb1E19rocblas_complex_numIdEPKS1_KS3_KPS1_Ev13rocblas_fill_17rocblas_diagonal_iiT2_lPT3_llSB_llPT4_lli.uses_vcc, 1
	.set _ZL23rocblas_trmm_rTx_kernelILi16ELb1E19rocblas_complex_numIdEPKS1_KS3_KPS1_Ev13rocblas_fill_17rocblas_diagonal_iiT2_lPT3_llSB_llPT4_lli.uses_flat_scratch, 0
	.set _ZL23rocblas_trmm_rTx_kernelILi16ELb1E19rocblas_complex_numIdEPKS1_KS3_KPS1_Ev13rocblas_fill_17rocblas_diagonal_iiT2_lPT3_llSB_llPT4_lli.has_dyn_sized_stack, 0
	.set _ZL23rocblas_trmm_rTx_kernelILi16ELb1E19rocblas_complex_numIdEPKS1_KS3_KPS1_Ev13rocblas_fill_17rocblas_diagonal_iiT2_lPT3_llSB_llPT4_lli.has_recursion, 0
	.set _ZL23rocblas_trmm_rTx_kernelILi16ELb1E19rocblas_complex_numIdEPKS1_KS3_KPS1_Ev13rocblas_fill_17rocblas_diagonal_iiT2_lPT3_llSB_llPT4_lli.has_indirect_call, 0
	.section	.AMDGPU.csdata,"",@progbits
; Kernel info:
; codeLenInByte = 2016
; TotalNumSgprs: 42
; NumVgprs: 61
; ScratchSize: 0
; MemoryBound: 0
; FloatMode: 240
; IeeeMode: 1
; LDSByteSize: 8192 bytes/workgroup (compile time only)
; SGPRBlocks: 0
; VGPRBlocks: 7
; NumSGPRsForWavesPerEU: 42
; NumVGPRsForWavesPerEU: 61
; Occupancy: 16
; WaveLimiterHint : 1
; COMPUTE_PGM_RSRC2:SCRATCH_EN: 0
; COMPUTE_PGM_RSRC2:USER_SGPR: 2
; COMPUTE_PGM_RSRC2:TRAP_HANDLER: 0
; COMPUTE_PGM_RSRC2:TGID_X_EN: 1
; COMPUTE_PGM_RSRC2:TGID_Y_EN: 0
; COMPUTE_PGM_RSRC2:TGID_Z_EN: 1
; COMPUTE_PGM_RSRC2:TIDIG_COMP_CNT: 1
	.section	.text._ZL23rocblas_trmm_rTx_kernelILi16ELb1E19rocblas_complex_numIdES1_KPKS1_KPS1_Ev13rocblas_fill_17rocblas_diagonal_iiT2_lPT3_llSB_llPT4_lli,"axG",@progbits,_ZL23rocblas_trmm_rTx_kernelILi16ELb1E19rocblas_complex_numIdES1_KPKS1_KPS1_Ev13rocblas_fill_17rocblas_diagonal_iiT2_lPT3_llSB_llPT4_lli,comdat
	.globl	_ZL23rocblas_trmm_rTx_kernelILi16ELb1E19rocblas_complex_numIdES1_KPKS1_KPS1_Ev13rocblas_fill_17rocblas_diagonal_iiT2_lPT3_llSB_llPT4_lli ; -- Begin function _ZL23rocblas_trmm_rTx_kernelILi16ELb1E19rocblas_complex_numIdES1_KPKS1_KPS1_Ev13rocblas_fill_17rocblas_diagonal_iiT2_lPT3_llSB_llPT4_lli
	.p2align	8
	.type	_ZL23rocblas_trmm_rTx_kernelILi16ELb1E19rocblas_complex_numIdES1_KPKS1_KPS1_Ev13rocblas_fill_17rocblas_diagonal_iiT2_lPT3_llSB_llPT4_lli,@function
_ZL23rocblas_trmm_rTx_kernelILi16ELb1E19rocblas_complex_numIdES1_KPKS1_KPS1_Ev13rocblas_fill_17rocblas_diagonal_iiT2_lPT3_llSB_llPT4_lli: ; @_ZL23rocblas_trmm_rTx_kernelILi16ELb1E19rocblas_complex_numIdES1_KPKS1_KPS1_Ev13rocblas_fill_17rocblas_diagonal_iiT2_lPT3_llSB_llPT4_lli
; %bb.0:
	s_load_b32 s33, s[0:1], 0x70
	s_lshr_b32 s6, ttmp7, 16
	s_wait_kmcnt 0x0
	s_cmp_ge_u32 s6, s33
	s_cbranch_scc1 .LBB191_19
; %bb.1:
	s_clause 0x1
	s_load_b256 s[24:31], s[0:1], 0x0
	s_load_b512 s[8:23], s[0:1], 0x28
	v_bfe_u32 v17, v0, 10, 10
	s_load_b64 s[34:35], s[0:1], 0x68
	s_mov_b32 s7, 0
	s_delay_alu instid0(VALU_DEP_1)
	v_dual_mov_b32 v1, 0x3ff00000 :: v_dual_lshlrev_b32 v12, 4, v17
	s_wait_kmcnt 0x0
	v_cmp_neq_f64_e64 s4, s[28:29], 0
	v_cmp_neq_f64_e64 s5, s[30:31], 0
	v_mad_co_u64_u32 v[6:7], null, s16, v17, 0
	v_mad_co_u64_u32 v[8:9], null, s22, v17, 0
	s_add_co_i32 s36, s26, -1
	v_mad_co_u64_u32 v[2:3], null, s10, v17, 0
	s_ashr_i32 s10, s36, 31
	v_mov_b32_e32 v4, v7
	s_wait_alu 0xfffe
	s_lshr_b32 s10, s10, 28
	v_dual_mov_b32 v5, v9 :: v_dual_and_b32 v18, 0x3ff, v0
	s_wait_alu 0xfffe
	s_add_co_i32 s36, s36, s10
	v_mad_co_u64_u32 v[9:10], null, s11, v17, v[3:4]
	s_and_b32 s10, s36, -16
	s_ashr_i32 s11, s36, 4
	s_wait_alu 0xfffe
	s_sub_co_i32 s10, s26, s10
	v_mad_co_u64_u32 v[10:11], null, s17, v17, v[4:5]
	v_mad_co_u64_u32 v[4:5], null, s23, v17, v[5:6]
	v_add_lshl_u32 v13, v12, v18, 4
	v_cmp_gt_i32_e64 s2, s27, v17
	v_cmp_gt_i32_e64 s3, s27, v18
	v_mov_b32_e32 v3, v9
	s_delay_alu instid0(VALU_DEP_4) | instskip(SKIP_2) | instid1(VALU_DEP_4)
	v_dual_mov_b32 v7, v10 :: v_dual_add_nc_u32 v16, 0x1000, v13
	v_mov_b32_e32 v9, v4
	v_cmp_eq_u32_e32 vcc_lo, v17, v18
	v_lshlrev_b64_e32 v[4:5], 4, v[2:3]
	s_delay_alu instid0(VALU_DEP_4)
	v_lshlrev_b64_e32 v[6:7], 4, v[6:7]
	v_dual_mov_b32 v0, 0 :: v_dual_lshlrev_b32 v15, 4, v18
	v_lshlrev_b64_e32 v[8:9], 4, v[8:9]
	v_cmp_lt_u32_e64 s0, v18, v17
	v_cmp_gt_u32_e64 s1, v18, v17
	s_or_b32 s22, s4, s5
	s_cmp_ge_i32 ttmp9, s11
	v_lshl_add_u32 v14, v18, 4, 0x1000
	s_wait_alu 0xfffe
	s_cselect_b32 s4, s10, 16
	s_lshl_b32 s10, ttmp9, 4
	v_cmp_gt_i32_e64 s4, s4, v18
	s_and_b32 s23, s2, s3
	s_wait_alu 0xfffe
	s_ashr_i32 s11, s10, 31
	s_and_b32 s26, s2, s4
	s_cmp_eq_u32 s25, 0x84
	s_cselect_b32 s2, -1, 0
	s_delay_alu instid0(SALU_CYCLE_1)
	s_and_b32 s25, vcc_lo, s2
	s_cmp_lg_u32 s24, 0x79
	s_cselect_b32 s24, -1, 0
	s_lshl_b64 s[2:3], s[12:13], 4
	s_lshl_b64 s[4:5], s[18:19], 4
	s_wait_alu 0xfffe
	s_lshl_b64 s[10:11], s[10:11], 4
	s_lshl_b64 s[12:13], s[34:35], 4
	s_branch .LBB191_4
.LBB191_2:                              ;   in Loop: Header=BB191_4 Depth=1
	s_wait_alu 0xfffe
	s_or_b32 exec_lo, exec_lo, s16
.LBB191_3:                              ;   in Loop: Header=BB191_4 Depth=1
	s_add_co_i32 s6, s6, 0x10000
	s_delay_alu instid0(SALU_CYCLE_1)
	s_cmp_lt_u32 s6, s33
	s_cbranch_scc0 .LBB191_19
.LBB191_4:                              ; =>This Inner Loop Header: Depth=1
	s_and_not1_b32 vcc_lo, exec_lo, s22
	s_wait_alu 0xfffe
	s_cbranch_vccnz .LBB191_3
; %bb.5:                                ;   in Loop: Header=BB191_4 Depth=1
	s_lshl_b64 s[16:17], s[6:7], 3
	s_mov_b32 s36, s7
	s_wait_alu 0xfffe
	s_add_nc_u64 s[18:19], s[14:15], s[16:17]
	s_add_nc_u64 s[34:35], s[20:21], s[16:17]
	s_clause 0x1
	global_load_b64 v[2:3], v0, s[18:19]
	global_load_b64 v[10:11], v0, s[34:35]
	s_mov_b32 s37, s7
	s_mov_b32 s38, s7
	;; [unrolled: 1-line block ×3, first 2 shown]
	s_wait_alu 0xfffe
	v_dual_mov_b32 v17, s36 :: v_dual_mov_b32 v18, s37
	v_dual_mov_b32 v19, s38 :: v_dual_mov_b32 v20, s39
	ds_store_b128 v13, v[17:20]
	ds_store_b128 v16, v[17:20]
	s_and_saveexec_b32 s18, s23
	s_cbranch_execnz .LBB191_10
; %bb.6:                                ;   in Loop: Header=BB191_4 Depth=1
	s_or_b32 exec_lo, exec_lo, s18
	s_and_saveexec_b32 s16, s26
	s_cbranch_execnz .LBB191_11
.LBB191_7:                              ;   in Loop: Header=BB191_4 Depth=1
	s_wait_alu 0xfffe
	s_or_b32 exec_lo, exec_lo, s16
	s_and_saveexec_b32 s16, s25
	s_cbranch_execnz .LBB191_12
.LBB191_8:                              ;   in Loop: Header=BB191_4 Depth=1
	s_wait_alu 0xfffe
	s_or_b32 exec_lo, exec_lo, s16
	s_delay_alu instid0(SALU_CYCLE_1)
	s_and_b32 vcc_lo, exec_lo, s24
	s_wait_alu 0xfffe
	s_cbranch_vccz .LBB191_13
.LBB191_9:                              ;   in Loop: Header=BB191_4 Depth=1
	s_and_b32 s16, s0, exec_lo
	s_cbranch_execz .LBB191_14
	s_branch .LBB191_15
.LBB191_10:                             ;   in Loop: Header=BB191_4 Depth=1
	s_add_nc_u64 s[16:17], s[8:9], s[16:17]
	global_load_b64 v[17:18], v0, s[16:17]
	s_wait_loadcnt 0x0
	v_add_co_u32 v17, vcc_lo, v17, s2
	s_wait_alu 0xfffd
	v_add_co_ci_u32_e64 v18, null, s3, v18, vcc_lo
	s_delay_alu instid0(VALU_DEP_2) | instskip(SKIP_1) | instid1(VALU_DEP_2)
	v_add_co_u32 v17, vcc_lo, v17, v4
	s_wait_alu 0xfffd
	v_add_co_ci_u32_e64 v18, null, v18, v5, vcc_lo
	s_delay_alu instid0(VALU_DEP_2) | instskip(SKIP_1) | instid1(VALU_DEP_2)
	v_add_co_u32 v17, vcc_lo, v17, v15
	s_wait_alu 0xfffd
	v_add_co_ci_u32_e64 v18, null, 0, v18, vcc_lo
	flat_load_b128 v[17:20], v[17:18]
	s_wait_loadcnt_dscnt 0x0
	v_xor_b32_e32 v20, 0x80000000, v20
	ds_store_b128 v13, v[17:20]
	s_or_b32 exec_lo, exec_lo, s18
	s_and_saveexec_b32 s16, s26
	s_cbranch_execz .LBB191_7
.LBB191_11:                             ;   in Loop: Header=BB191_4 Depth=1
	s_wait_loadcnt 0x1
	v_add_co_u32 v2, vcc_lo, v2, s4
	s_wait_alu 0xfffd
	v_add_co_ci_u32_e64 v3, null, s5, v3, vcc_lo
	s_delay_alu instid0(VALU_DEP_2) | instskip(SKIP_1) | instid1(VALU_DEP_2)
	v_add_co_u32 v2, vcc_lo, v2, s10
	s_wait_alu 0xfffd
	v_add_co_ci_u32_e64 v3, null, s11, v3, vcc_lo
	s_delay_alu instid0(VALU_DEP_2) | instskip(SKIP_1) | instid1(VALU_DEP_2)
	;; [unrolled: 4-line block ×3, first 2 shown]
	v_add_co_u32 v2, vcc_lo, v2, v15
	s_wait_alu 0xfffd
	v_add_co_ci_u32_e64 v3, null, 0, v3, vcc_lo
	flat_load_b128 v[17:20], v[2:3]
	s_wait_loadcnt_dscnt 0x0
	ds_store_2addr_b64 v16, v[17:18], v[19:20] offset1:1
	s_wait_alu 0xfffe
	s_or_b32 exec_lo, exec_lo, s16
	s_and_saveexec_b32 s16, s25
	s_cbranch_execz .LBB191_8
.LBB191_12:                             ;   in Loop: Header=BB191_4 Depth=1
	s_wait_loadcnt 0x1
	v_dual_mov_b32 v2, v0 :: v_dual_mov_b32 v3, v0
	ds_store_b128 v13, v[0:3]
	s_wait_alu 0xfffe
	s_or_b32 exec_lo, exec_lo, s16
	s_delay_alu instid0(SALU_CYCLE_1)
	s_and_b32 vcc_lo, exec_lo, s24
	s_wait_alu 0xfffe
	s_cbranch_vccnz .LBB191_9
.LBB191_13:                             ;   in Loop: Header=BB191_4 Depth=1
	s_mov_b32 s16, 0
.LBB191_14:                             ;   in Loop: Header=BB191_4 Depth=1
	s_wait_alu 0xfffe
	s_and_not1_b32 s16, s16, exec_lo
	s_and_b32 s17, s1, exec_lo
	s_wait_alu 0xfffe
	s_or_b32 s16, s16, s17
.LBB191_15:                             ;   in Loop: Header=BB191_4 Depth=1
	s_wait_alu 0xfffe
	s_and_saveexec_b32 s17, s16
; %bb.16:                               ;   in Loop: Header=BB191_4 Depth=1
	v_dual_mov_b32 v17, v0 :: v_dual_mov_b32 v18, v0
	v_dual_mov_b32 v19, v0 :: v_dual_mov_b32 v20, v0
	ds_store_b128 v13, v[17:20]
; %bb.17:                               ;   in Loop: Header=BB191_4 Depth=1
	s_wait_alu 0xfffe
	s_or_b32 exec_lo, exec_lo, s17
	s_wait_loadcnt_dscnt 0x0
	s_barrier_signal -1
	s_barrier_wait -1
	global_inv scope:SCOPE_SE
	s_and_saveexec_b32 s16, s26
	s_cbranch_execz .LBB191_2
; %bb.18:                               ;   in Loop: Header=BB191_4 Depth=1
	ds_load_b128 v[17:20], v14
	ds_load_b128 v[21:24], v12
	ds_load_b128 v[25:28], v12 offset:256
	ds_load_b128 v[29:32], v14 offset:256
	;; [unrolled: 1-line block ×6, first 2 shown]
	s_wait_dscnt 0x6
	v_mul_f64_e32 v[2:3], v[21:22], v[19:20]
	v_mul_f64_e32 v[19:20], v[23:24], v[19:20]
	s_wait_dscnt 0x4
	v_mul_f64_e32 v[49:50], v[25:26], v[31:32]
	v_mul_f64_e32 v[31:32], v[27:28], v[31:32]
	s_delay_alu instid0(VALU_DEP_4) | instskip(SKIP_2) | instid1(VALU_DEP_4)
	v_fma_f64 v[2:3], v[23:24], v[17:18], v[2:3]
	s_wait_dscnt 0x2
	v_mul_f64_e32 v[23:24], v[37:38], v[35:36]
	v_fma_f64 v[27:28], v[27:28], v[29:30], v[49:50]
	v_fma_f64 v[17:18], v[21:22], v[17:18], -v[19:20]
	s_wait_dscnt 0x0
	v_mul_f64_e32 v[49:50], v[41:42], v[47:48]
	v_mul_f64_e32 v[35:36], v[39:40], v[35:36]
	v_fma_f64 v[51:52], v[25:26], v[29:30], -v[31:32]
	v_mul_f64_e32 v[47:48], v[43:44], v[47:48]
	v_add_f64_e32 v[2:3], 0, v[2:3]
	v_fma_f64 v[39:40], v[39:40], v[33:34], v[23:24]
	v_add_f64_e32 v[53:54], 0, v[17:18]
	v_fma_f64 v[43:44], v[43:44], v[45:46], v[49:50]
	v_fma_f64 v[33:34], v[37:38], v[33:34], -v[35:36]
	v_add_f64_e32 v[2:3], v[2:3], v[27:28]
	ds_load_b128 v[17:20], v14 offset:1024
	ds_load_b128 v[21:24], v12 offset:1024
	ds_load_b128 v[25:28], v12 offset:1280
	ds_load_b128 v[29:32], v14 offset:1280
	v_add_f64_e32 v[35:36], v[53:54], v[51:52]
	v_fma_f64 v[51:52], v[41:42], v[45:46], -v[47:48]
	s_wait_dscnt 0x2
	v_mul_f64_e32 v[55:56], v[21:22], v[19:20]
	v_mul_f64_e32 v[19:20], v[23:24], v[19:20]
	s_wait_dscnt 0x0
	v_mul_f64_e32 v[49:50], v[25:26], v[31:32]
	v_mul_f64_e32 v[31:32], v[27:28], v[31:32]
	v_add_f64_e32 v[2:3], v[2:3], v[39:40]
	v_add_f64_e32 v[53:54], v[35:36], v[33:34]
	v_fma_f64 v[23:24], v[23:24], v[17:18], v[55:56]
	v_fma_f64 v[17:18], v[21:22], v[17:18], -v[19:20]
	v_fma_f64 v[27:28], v[27:28], v[29:30], v[49:50]
	v_add_f64_e32 v[2:3], v[2:3], v[43:44]
	ds_load_b128 v[33:36], v14 offset:1536
	ds_load_b128 v[37:40], v12 offset:1536
	ds_load_b128 v[41:44], v12 offset:1792
	ds_load_b128 v[45:48], v14 offset:1792
	v_add_f64_e32 v[19:20], v[53:54], v[51:52]
	v_fma_f64 v[51:52], v[25:26], v[29:30], -v[31:32]
	s_wait_dscnt 0x2
	v_mul_f64_e32 v[55:56], v[37:38], v[35:36]
	v_mul_f64_e32 v[35:36], v[39:40], v[35:36]
	s_wait_dscnt 0x0
	v_mul_f64_e32 v[49:50], v[41:42], v[47:48]
	v_mul_f64_e32 v[47:48], v[43:44], v[47:48]
	v_add_f64_e32 v[2:3], v[2:3], v[23:24]
	v_add_f64_e32 v[53:54], v[19:20], v[17:18]
	v_fma_f64 v[39:40], v[39:40], v[33:34], v[55:56]
	v_fma_f64 v[33:34], v[37:38], v[33:34], -v[35:36]
	v_fma_f64 v[43:44], v[43:44], v[45:46], v[49:50]
	v_add_f64_e32 v[2:3], v[2:3], v[27:28]
	ds_load_b128 v[17:20], v14 offset:2048
	ds_load_b128 v[21:24], v12 offset:2048
	ds_load_b128 v[25:28], v12 offset:2304
	ds_load_b128 v[29:32], v14 offset:2304
	v_add_f64_e32 v[35:36], v[53:54], v[51:52]
	v_fma_f64 v[51:52], v[41:42], v[45:46], -v[47:48]
	s_wait_dscnt 0x2
	v_mul_f64_e32 v[55:56], v[21:22], v[19:20]
	v_mul_f64_e32 v[19:20], v[23:24], v[19:20]
	s_wait_dscnt 0x0
	v_mul_f64_e32 v[49:50], v[25:26], v[31:32]
	v_mul_f64_e32 v[31:32], v[27:28], v[31:32]
	v_add_f64_e32 v[2:3], v[2:3], v[39:40]
	v_add_f64_e32 v[53:54], v[35:36], v[33:34]
	v_fma_f64 v[23:24], v[23:24], v[17:18], v[55:56]
	v_fma_f64 v[17:18], v[21:22], v[17:18], -v[19:20]
	v_fma_f64 v[27:28], v[27:28], v[29:30], v[49:50]
	v_add_f64_e32 v[2:3], v[2:3], v[43:44]
	ds_load_b128 v[33:36], v14 offset:2560
	ds_load_b128 v[37:40], v12 offset:2560
	ds_load_b128 v[41:44], v12 offset:2816
	ds_load_b128 v[45:48], v14 offset:2816
	v_add_f64_e32 v[19:20], v[53:54], v[51:52]
	v_fma_f64 v[51:52], v[25:26], v[29:30], -v[31:32]
	s_wait_dscnt 0x2
	v_mul_f64_e32 v[55:56], v[37:38], v[35:36]
	v_mul_f64_e32 v[35:36], v[39:40], v[35:36]
	s_wait_dscnt 0x0
	v_mul_f64_e32 v[49:50], v[41:42], v[47:48]
	v_mul_f64_e32 v[47:48], v[43:44], v[47:48]
	v_add_f64_e32 v[2:3], v[2:3], v[23:24]
	v_add_f64_e32 v[53:54], v[19:20], v[17:18]
	v_fma_f64 v[39:40], v[39:40], v[33:34], v[55:56]
	v_fma_f64 v[33:34], v[37:38], v[33:34], -v[35:36]
	v_fma_f64 v[43:44], v[43:44], v[45:46], v[49:50]
	v_add_f64_e32 v[2:3], v[2:3], v[27:28]
	ds_load_b128 v[17:20], v14 offset:3072
	ds_load_b128 v[21:24], v12 offset:3072
	ds_load_b128 v[25:28], v12 offset:3328
	ds_load_b128 v[29:32], v14 offset:3328
	v_add_f64_e32 v[35:36], v[53:54], v[51:52]
	v_fma_f64 v[51:52], v[41:42], v[45:46], -v[47:48]
	s_wait_dscnt 0x2
	v_mul_f64_e32 v[55:56], v[21:22], v[19:20]
	v_mul_f64_e32 v[19:20], v[23:24], v[19:20]
	s_wait_dscnt 0x0
	v_mul_f64_e32 v[49:50], v[25:26], v[31:32]
	v_mul_f64_e32 v[31:32], v[27:28], v[31:32]
	v_add_f64_e32 v[2:3], v[2:3], v[39:40]
	v_add_f64_e32 v[53:54], v[35:36], v[33:34]
	v_fma_f64 v[23:24], v[23:24], v[17:18], v[55:56]
	v_fma_f64 v[17:18], v[21:22], v[17:18], -v[19:20]
	v_fma_f64 v[27:28], v[27:28], v[29:30], v[49:50]
	v_fma_f64 v[25:26], v[25:26], v[29:30], -v[31:32]
	v_add_f64_e32 v[2:3], v[2:3], v[43:44]
	ds_load_b128 v[33:36], v14 offset:3584
	ds_load_b128 v[37:40], v12 offset:3584
	;; [unrolled: 1-line block ×4, first 2 shown]
	v_add_f64_e32 v[19:20], v[53:54], v[51:52]
	s_wait_dscnt 0x2
	v_mul_f64_e32 v[55:56], v[37:38], v[35:36]
	s_wait_dscnt 0x0
	v_mul_f64_e32 v[21:22], v[41:42], v[47:48]
	v_add_f64_e32 v[2:3], v[2:3], v[23:24]
	v_mul_f64_e32 v[23:24], v[39:40], v[35:36]
	v_add_f64_e32 v[17:18], v[19:20], v[17:18]
	v_mul_f64_e32 v[19:20], v[43:44], v[47:48]
	v_fma_f64 v[35:36], v[39:40], v[33:34], v[55:56]
	v_fma_f64 v[21:22], v[43:44], v[45:46], v[21:22]
	v_add_f64_e32 v[2:3], v[2:3], v[27:28]
	v_fma_f64 v[23:24], v[37:38], v[33:34], -v[23:24]
	v_add_f64_e32 v[17:18], v[17:18], v[25:26]
	v_fma_f64 v[19:20], v[41:42], v[45:46], -v[19:20]
	s_delay_alu instid0(VALU_DEP_4) | instskip(NEXT) | instid1(VALU_DEP_3)
	v_add_f64_e32 v[2:3], v[2:3], v[35:36]
	v_add_f64_e32 v[17:18], v[17:18], v[23:24]
	s_delay_alu instid0(VALU_DEP_2) | instskip(NEXT) | instid1(VALU_DEP_2)
	v_add_f64_e32 v[2:3], v[2:3], v[21:22]
	v_add_f64_e32 v[17:18], v[17:18], v[19:20]
	s_delay_alu instid0(VALU_DEP_2) | instskip(SKIP_1) | instid1(VALU_DEP_2)
	v_mul_f64_e32 v[19:20], s[28:29], v[2:3]
	v_mul_f64_e32 v[2:3], s[30:31], v[2:3]
	v_fma_f64 v[19:20], s[30:31], v[17:18], v[19:20]
	s_delay_alu instid0(VALU_DEP_2) | instskip(SKIP_3) | instid1(VALU_DEP_2)
	v_fma_f64 v[17:18], s[28:29], v[17:18], -v[2:3]
	v_add_co_u32 v2, vcc_lo, v10, s12
	s_wait_alu 0xfffd
	v_add_co_ci_u32_e64 v3, null, s13, v11, vcc_lo
	v_add_co_u32 v2, vcc_lo, v2, s10
	s_wait_alu 0xfffd
	s_delay_alu instid0(VALU_DEP_2) | instskip(NEXT) | instid1(VALU_DEP_2)
	v_add_co_ci_u32_e64 v3, null, s11, v3, vcc_lo
	v_add_co_u32 v2, vcc_lo, v2, v8
	s_wait_alu 0xfffd
	s_delay_alu instid0(VALU_DEP_2) | instskip(NEXT) | instid1(VALU_DEP_2)
	v_add_co_ci_u32_e64 v3, null, v3, v9, vcc_lo
	v_add_co_u32 v2, vcc_lo, v2, v15
	s_wait_alu 0xfffd
	s_delay_alu instid0(VALU_DEP_2)
	v_add_co_ci_u32_e64 v3, null, 0, v3, vcc_lo
	flat_store_b128 v[2:3], v[17:20]
	s_branch .LBB191_2
.LBB191_19:
	s_endpgm
	.section	.rodata,"a",@progbits
	.p2align	6, 0x0
	.amdhsa_kernel _ZL23rocblas_trmm_rTx_kernelILi16ELb1E19rocblas_complex_numIdES1_KPKS1_KPS1_Ev13rocblas_fill_17rocblas_diagonal_iiT2_lPT3_llSB_llPT4_lli
		.amdhsa_group_segment_fixed_size 8192
		.amdhsa_private_segment_fixed_size 0
		.amdhsa_kernarg_size 116
		.amdhsa_user_sgpr_count 2
		.amdhsa_user_sgpr_dispatch_ptr 0
		.amdhsa_user_sgpr_queue_ptr 0
		.amdhsa_user_sgpr_kernarg_segment_ptr 1
		.amdhsa_user_sgpr_dispatch_id 0
		.amdhsa_user_sgpr_private_segment_size 0
		.amdhsa_wavefront_size32 1
		.amdhsa_uses_dynamic_stack 0
		.amdhsa_enable_private_segment 0
		.amdhsa_system_sgpr_workgroup_id_x 1
		.amdhsa_system_sgpr_workgroup_id_y 0
		.amdhsa_system_sgpr_workgroup_id_z 1
		.amdhsa_system_sgpr_workgroup_info 0
		.amdhsa_system_vgpr_workitem_id 1
		.amdhsa_next_free_vgpr 57
		.amdhsa_next_free_sgpr 40
		.amdhsa_reserve_vcc 1
		.amdhsa_float_round_mode_32 0
		.amdhsa_float_round_mode_16_64 0
		.amdhsa_float_denorm_mode_32 3
		.amdhsa_float_denorm_mode_16_64 3
		.amdhsa_fp16_overflow 0
		.amdhsa_workgroup_processor_mode 1
		.amdhsa_memory_ordered 1
		.amdhsa_forward_progress 1
		.amdhsa_inst_pref_size 16
		.amdhsa_round_robin_scheduling 0
		.amdhsa_exception_fp_ieee_invalid_op 0
		.amdhsa_exception_fp_denorm_src 0
		.amdhsa_exception_fp_ieee_div_zero 0
		.amdhsa_exception_fp_ieee_overflow 0
		.amdhsa_exception_fp_ieee_underflow 0
		.amdhsa_exception_fp_ieee_inexact 0
		.amdhsa_exception_int_div_zero 0
	.end_amdhsa_kernel
	.section	.text._ZL23rocblas_trmm_rTx_kernelILi16ELb1E19rocblas_complex_numIdES1_KPKS1_KPS1_Ev13rocblas_fill_17rocblas_diagonal_iiT2_lPT3_llSB_llPT4_lli,"axG",@progbits,_ZL23rocblas_trmm_rTx_kernelILi16ELb1E19rocblas_complex_numIdES1_KPKS1_KPS1_Ev13rocblas_fill_17rocblas_diagonal_iiT2_lPT3_llSB_llPT4_lli,comdat
.Lfunc_end191:
	.size	_ZL23rocblas_trmm_rTx_kernelILi16ELb1E19rocblas_complex_numIdES1_KPKS1_KPS1_Ev13rocblas_fill_17rocblas_diagonal_iiT2_lPT3_llSB_llPT4_lli, .Lfunc_end191-_ZL23rocblas_trmm_rTx_kernelILi16ELb1E19rocblas_complex_numIdES1_KPKS1_KPS1_Ev13rocblas_fill_17rocblas_diagonal_iiT2_lPT3_llSB_llPT4_lli
                                        ; -- End function
	.set _ZL23rocblas_trmm_rTx_kernelILi16ELb1E19rocblas_complex_numIdES1_KPKS1_KPS1_Ev13rocblas_fill_17rocblas_diagonal_iiT2_lPT3_llSB_llPT4_lli.num_vgpr, 57
	.set _ZL23rocblas_trmm_rTx_kernelILi16ELb1E19rocblas_complex_numIdES1_KPKS1_KPS1_Ev13rocblas_fill_17rocblas_diagonal_iiT2_lPT3_llSB_llPT4_lli.num_agpr, 0
	.set _ZL23rocblas_trmm_rTx_kernelILi16ELb1E19rocblas_complex_numIdES1_KPKS1_KPS1_Ev13rocblas_fill_17rocblas_diagonal_iiT2_lPT3_llSB_llPT4_lli.numbered_sgpr, 40
	.set _ZL23rocblas_trmm_rTx_kernelILi16ELb1E19rocblas_complex_numIdES1_KPKS1_KPS1_Ev13rocblas_fill_17rocblas_diagonal_iiT2_lPT3_llSB_llPT4_lli.num_named_barrier, 0
	.set _ZL23rocblas_trmm_rTx_kernelILi16ELb1E19rocblas_complex_numIdES1_KPKS1_KPS1_Ev13rocblas_fill_17rocblas_diagonal_iiT2_lPT3_llSB_llPT4_lli.private_seg_size, 0
	.set _ZL23rocblas_trmm_rTx_kernelILi16ELb1E19rocblas_complex_numIdES1_KPKS1_KPS1_Ev13rocblas_fill_17rocblas_diagonal_iiT2_lPT3_llSB_llPT4_lli.uses_vcc, 1
	.set _ZL23rocblas_trmm_rTx_kernelILi16ELb1E19rocblas_complex_numIdES1_KPKS1_KPS1_Ev13rocblas_fill_17rocblas_diagonal_iiT2_lPT3_llSB_llPT4_lli.uses_flat_scratch, 0
	.set _ZL23rocblas_trmm_rTx_kernelILi16ELb1E19rocblas_complex_numIdES1_KPKS1_KPS1_Ev13rocblas_fill_17rocblas_diagonal_iiT2_lPT3_llSB_llPT4_lli.has_dyn_sized_stack, 0
	.set _ZL23rocblas_trmm_rTx_kernelILi16ELb1E19rocblas_complex_numIdES1_KPKS1_KPS1_Ev13rocblas_fill_17rocblas_diagonal_iiT2_lPT3_llSB_llPT4_lli.has_recursion, 0
	.set _ZL23rocblas_trmm_rTx_kernelILi16ELb1E19rocblas_complex_numIdES1_KPKS1_KPS1_Ev13rocblas_fill_17rocblas_diagonal_iiT2_lPT3_llSB_llPT4_lli.has_indirect_call, 0
	.section	.AMDGPU.csdata,"",@progbits
; Kernel info:
; codeLenInByte = 2012
; TotalNumSgprs: 42
; NumVgprs: 57
; ScratchSize: 0
; MemoryBound: 0
; FloatMode: 240
; IeeeMode: 1
; LDSByteSize: 8192 bytes/workgroup (compile time only)
; SGPRBlocks: 0
; VGPRBlocks: 7
; NumSGPRsForWavesPerEU: 42
; NumVGPRsForWavesPerEU: 57
; Occupancy: 16
; WaveLimiterHint : 1
; COMPUTE_PGM_RSRC2:SCRATCH_EN: 0
; COMPUTE_PGM_RSRC2:USER_SGPR: 2
; COMPUTE_PGM_RSRC2:TRAP_HANDLER: 0
; COMPUTE_PGM_RSRC2:TGID_X_EN: 1
; COMPUTE_PGM_RSRC2:TGID_Y_EN: 0
; COMPUTE_PGM_RSRC2:TGID_Z_EN: 1
; COMPUTE_PGM_RSRC2:TIDIG_COMP_CNT: 1
	.section	.text._ZL44rocblas_set_matrix_zero_if_alpha_zero_kernelILi16ELi16EPKfPKPfEviiT1_lT2_lli,"axG",@progbits,_ZL44rocblas_set_matrix_zero_if_alpha_zero_kernelILi16ELi16EPKfPKPfEviiT1_lT2_lli,comdat
	.globl	_ZL44rocblas_set_matrix_zero_if_alpha_zero_kernelILi16ELi16EPKfPKPfEviiT1_lT2_lli ; -- Begin function _ZL44rocblas_set_matrix_zero_if_alpha_zero_kernelILi16ELi16EPKfPKPfEviiT1_lT2_lli
	.p2align	8
	.type	_ZL44rocblas_set_matrix_zero_if_alpha_zero_kernelILi16ELi16EPKfPKPfEviiT1_lT2_lli,@function
_ZL44rocblas_set_matrix_zero_if_alpha_zero_kernelILi16ELi16EPKfPKPfEviiT1_lT2_lli: ; @_ZL44rocblas_set_matrix_zero_if_alpha_zero_kernelILi16ELi16EPKfPKPfEviiT1_lT2_lli
; %bb.0:
	s_load_b32 s20, s[0:1], 0x30
	s_lshr_b32 s12, ttmp7, 16
	s_wait_kmcnt 0x0
	s_cmp_ge_u32 s12, s20
	s_cbranch_scc1 .LBB192_6
; %bb.1:
	s_load_b256 s[4:11], s[0:1], 0x8
	v_bfe_u32 v1, v0, 10, 10
	s_and_b32 s2, ttmp7, 0xffff
	v_and_b32_e32 v0, 0x3ff, v0
	v_mov_b32_e32 v4, 0
	s_mov_b32 s13, 0
	v_lshl_add_u32 v1, s2, 4, v1
	s_clause 0x1
	s_load_b64 s[2:3], s[0:1], 0x0
	s_load_b64 s[16:17], s[0:1], 0x28
	s_wait_kmcnt 0x0
	v_mad_co_u64_u32 v[5:6], null, s10, v1, 0
	s_ashr_i32 s19, s2, 31
	s_lshl_b64 s[16:17], s[16:17], 2
	v_mov_b32_e32 v2, v6
	s_mov_b32 s18, s2
	s_ashr_i32 s15, s3, 31
	s_mov_b32 s14, s3
	s_delay_alu instid0(VALU_DEP_1) | instskip(SKIP_2) | instid1(VALU_DEP_2)
	v_mad_co_u64_u32 v[6:7], null, s11, v1, v[2:3]
	v_lshl_add_u32 v3, ttmp9, 4, v0
	v_mov_b32_e32 v2, v4
	v_lshlrev_b64_e32 v[7:8], 2, v[3:4]
	s_delay_alu instid0(VALU_DEP_4) | instskip(SKIP_1) | instid1(VALU_DEP_4)
	v_lshlrev_b64_e32 v[5:6], 2, v[5:6]
	v_cmp_gt_i64_e32 vcc_lo, s[18:19], v[3:4]
	v_cmp_gt_i64_e64 s2, s[14:15], v[1:2]
	s_delay_alu instid0(VALU_DEP_3) | instskip(SKIP_1) | instid1(VALU_DEP_4)
	v_add_co_u32 v0, s3, v5, s16
	s_wait_alu 0xf1ff
	v_add_co_ci_u32_e64 v3, null, s17, v6, s3
	s_add_nc_u64 s[16:17], s[0:1], 56
	v_add_co_u32 v0, s0, v0, v7
	s_wait_alu 0xf1ff
	v_add_co_ci_u32_e64 v3, null, v3, v8, s0
	s_and_b32 s1, s2, vcc_lo
	s_lshl_b64 s[2:3], s[10:11], 2
	s_branch .LBB192_3
.LBB192_2:                              ;   in Loop: Header=BB192_3 Depth=1
	s_or_b32 exec_lo, exec_lo, s21
	s_add_co_i32 s12, s12, 0x10000
	s_delay_alu instid0(SALU_CYCLE_1)
	s_cmp_lt_u32 s12, s20
	s_cbranch_scc0 .LBB192_6
.LBB192_3:                              ; =>This Loop Header: Depth=1
                                        ;     Child Loop BB192_5 Depth 2
	s_mul_u64 s[10:11], s[6:7], s[12:13]
	s_wait_alu 0xfffe
	s_lshl_b64 s[10:11], s[10:11], 2
	s_wait_alu 0xfffe
	s_add_nc_u64 s[10:11], s[4:5], s[10:11]
	global_load_b32 v5, v4, s[10:11]
	s_wait_loadcnt 0x0
	v_readfirstlane_b32 s0, v5
	s_cmp_eq_f32 s0, 0
	s_cselect_b32 s0, -1, 0
	s_wait_alu 0xfffe
	s_and_b32 s0, s0, s1
	s_wait_alu 0xfffe
	s_and_saveexec_b32 s21, s0
	s_cbranch_execz .LBB192_2
; %bb.4:                                ;   in Loop: Header=BB192_3 Depth=1
	s_lshl_b64 s[10:11], s[12:13], 3
	s_load_b32 s0, s[16:17], 0x4
	s_add_nc_u64 s[10:11], s[8:9], s[10:11]
	v_dual_mov_b32 v8, v2 :: v_dual_mov_b32 v7, v1
	s_load_b64 s[18:19], s[10:11], 0x0
	s_mov_b32 s11, s13
	s_wait_kmcnt 0x0
	s_lshl_b32 s10, s0, 4
	v_add_co_u32 v5, vcc_lo, s18, v0
	s_wait_alu 0xfffd
	v_add_co_ci_u32_e64 v6, null, s19, v3, vcc_lo
	s_wait_alu 0xfffe
	s_mul_u64 s[18:19], s[2:3], s[10:11]
	s_mov_b32 s11, 0
.LBB192_5:                              ;   Parent Loop BB192_3 Depth=1
                                        ; =>  This Inner Loop Header: Depth=2
	v_add_co_u32 v7, vcc_lo, v7, s10
	s_wait_alu 0xfffd
	v_add_co_ci_u32_e64 v8, null, 0, v8, vcc_lo
	flat_store_b32 v[5:6], v4
	s_wait_alu 0xfffe
	v_add_co_u32 v5, s0, v5, s18
	v_cmp_le_i64_e32 vcc_lo, s[14:15], v[7:8]
	s_wait_alu 0xf1ff
	v_add_co_ci_u32_e64 v6, null, s19, v6, s0
	s_or_b32 s11, vcc_lo, s11
	s_wait_alu 0xfffe
	s_and_not1_b32 exec_lo, exec_lo, s11
	s_cbranch_execnz .LBB192_5
	s_branch .LBB192_2
.LBB192_6:
	s_endpgm
	.section	.rodata,"a",@progbits
	.p2align	6, 0x0
	.amdhsa_kernel _ZL44rocblas_set_matrix_zero_if_alpha_zero_kernelILi16ELi16EPKfPKPfEviiT1_lT2_lli
		.amdhsa_group_segment_fixed_size 0
		.amdhsa_private_segment_fixed_size 0
		.amdhsa_kernarg_size 312
		.amdhsa_user_sgpr_count 2
		.amdhsa_user_sgpr_dispatch_ptr 0
		.amdhsa_user_sgpr_queue_ptr 0
		.amdhsa_user_sgpr_kernarg_segment_ptr 1
		.amdhsa_user_sgpr_dispatch_id 0
		.amdhsa_user_sgpr_private_segment_size 0
		.amdhsa_wavefront_size32 1
		.amdhsa_uses_dynamic_stack 0
		.amdhsa_enable_private_segment 0
		.amdhsa_system_sgpr_workgroup_id_x 1
		.amdhsa_system_sgpr_workgroup_id_y 1
		.amdhsa_system_sgpr_workgroup_id_z 1
		.amdhsa_system_sgpr_workgroup_info 0
		.amdhsa_system_vgpr_workitem_id 1
		.amdhsa_next_free_vgpr 9
		.amdhsa_next_free_sgpr 22
		.amdhsa_reserve_vcc 1
		.amdhsa_float_round_mode_32 0
		.amdhsa_float_round_mode_16_64 0
		.amdhsa_float_denorm_mode_32 3
		.amdhsa_float_denorm_mode_16_64 3
		.amdhsa_fp16_overflow 0
		.amdhsa_workgroup_processor_mode 1
		.amdhsa_memory_ordered 1
		.amdhsa_forward_progress 1
		.amdhsa_inst_pref_size 4
		.amdhsa_round_robin_scheduling 0
		.amdhsa_exception_fp_ieee_invalid_op 0
		.amdhsa_exception_fp_denorm_src 0
		.amdhsa_exception_fp_ieee_div_zero 0
		.amdhsa_exception_fp_ieee_overflow 0
		.amdhsa_exception_fp_ieee_underflow 0
		.amdhsa_exception_fp_ieee_inexact 0
		.amdhsa_exception_int_div_zero 0
	.end_amdhsa_kernel
	.section	.text._ZL44rocblas_set_matrix_zero_if_alpha_zero_kernelILi16ELi16EPKfPKPfEviiT1_lT2_lli,"axG",@progbits,_ZL44rocblas_set_matrix_zero_if_alpha_zero_kernelILi16ELi16EPKfPKPfEviiT1_lT2_lli,comdat
.Lfunc_end192:
	.size	_ZL44rocblas_set_matrix_zero_if_alpha_zero_kernelILi16ELi16EPKfPKPfEviiT1_lT2_lli, .Lfunc_end192-_ZL44rocblas_set_matrix_zero_if_alpha_zero_kernelILi16ELi16EPKfPKPfEviiT1_lT2_lli
                                        ; -- End function
	.set _ZL44rocblas_set_matrix_zero_if_alpha_zero_kernelILi16ELi16EPKfPKPfEviiT1_lT2_lli.num_vgpr, 9
	.set _ZL44rocblas_set_matrix_zero_if_alpha_zero_kernelILi16ELi16EPKfPKPfEviiT1_lT2_lli.num_agpr, 0
	.set _ZL44rocblas_set_matrix_zero_if_alpha_zero_kernelILi16ELi16EPKfPKPfEviiT1_lT2_lli.numbered_sgpr, 22
	.set _ZL44rocblas_set_matrix_zero_if_alpha_zero_kernelILi16ELi16EPKfPKPfEviiT1_lT2_lli.num_named_barrier, 0
	.set _ZL44rocblas_set_matrix_zero_if_alpha_zero_kernelILi16ELi16EPKfPKPfEviiT1_lT2_lli.private_seg_size, 0
	.set _ZL44rocblas_set_matrix_zero_if_alpha_zero_kernelILi16ELi16EPKfPKPfEviiT1_lT2_lli.uses_vcc, 1
	.set _ZL44rocblas_set_matrix_zero_if_alpha_zero_kernelILi16ELi16EPKfPKPfEviiT1_lT2_lli.uses_flat_scratch, 0
	.set _ZL44rocblas_set_matrix_zero_if_alpha_zero_kernelILi16ELi16EPKfPKPfEviiT1_lT2_lli.has_dyn_sized_stack, 0
	.set _ZL44rocblas_set_matrix_zero_if_alpha_zero_kernelILi16ELi16EPKfPKPfEviiT1_lT2_lli.has_recursion, 0
	.set _ZL44rocblas_set_matrix_zero_if_alpha_zero_kernelILi16ELi16EPKfPKPfEviiT1_lT2_lli.has_indirect_call, 0
	.section	.AMDGPU.csdata,"",@progbits
; Kernel info:
; codeLenInByte = 488
; TotalNumSgprs: 24
; NumVgprs: 9
; ScratchSize: 0
; MemoryBound: 0
; FloatMode: 240
; IeeeMode: 1
; LDSByteSize: 0 bytes/workgroup (compile time only)
; SGPRBlocks: 0
; VGPRBlocks: 1
; NumSGPRsForWavesPerEU: 24
; NumVGPRsForWavesPerEU: 9
; Occupancy: 16
; WaveLimiterHint : 0
; COMPUTE_PGM_RSRC2:SCRATCH_EN: 0
; COMPUTE_PGM_RSRC2:USER_SGPR: 2
; COMPUTE_PGM_RSRC2:TRAP_HANDLER: 0
; COMPUTE_PGM_RSRC2:TGID_X_EN: 1
; COMPUTE_PGM_RSRC2:TGID_Y_EN: 1
; COMPUTE_PGM_RSRC2:TGID_Z_EN: 1
; COMPUTE_PGM_RSRC2:TIDIG_COMP_CNT: 1
	.section	.text._ZL44rocblas_set_matrix_zero_if_alpha_zero_kernelILi16ELi16EfPKPfEviiT1_lT2_lli,"axG",@progbits,_ZL44rocblas_set_matrix_zero_if_alpha_zero_kernelILi16ELi16EfPKPfEviiT1_lT2_lli,comdat
	.globl	_ZL44rocblas_set_matrix_zero_if_alpha_zero_kernelILi16ELi16EfPKPfEviiT1_lT2_lli ; -- Begin function _ZL44rocblas_set_matrix_zero_if_alpha_zero_kernelILi16ELi16EfPKPfEviiT1_lT2_lli
	.p2align	8
	.type	_ZL44rocblas_set_matrix_zero_if_alpha_zero_kernelILi16ELi16EfPKPfEviiT1_lT2_lli,@function
_ZL44rocblas_set_matrix_zero_if_alpha_zero_kernelILi16ELi16EfPKPfEviiT1_lT2_lli: ; @_ZL44rocblas_set_matrix_zero_if_alpha_zero_kernelILi16ELi16EfPKPfEviiT1_lT2_lli
; %bb.0:
	s_load_b32 s16, s[0:1], 0x30
	s_lshr_b32 s12, ttmp7, 16
	s_wait_kmcnt 0x0
	s_cmp_ge_u32 s12, s16
	s_cbranch_scc1 .LBB193_6
; %bb.1:
	s_clause 0x1
	s_load_b96 s[8:10], s[0:1], 0x0
	s_load_b128 s[4:7], s[0:1], 0x18
	v_bfe_u32 v1, v0, 10, 10
	s_load_b64 s[18:19], s[0:1], 0x28
	v_and_b32_e32 v0, 0x3ff, v0
	v_mov_b32_e32 v4, 0
	s_mov_b32 s11, 0
	s_wait_kmcnt 0x0
	s_cmp_eq_f32 s10, 0
	s_mov_b32 s14, s9
	s_cselect_b32 s10, -1, 0
	s_and_b32 s2, ttmp7, 0xffff
	s_ashr_i32 s3, s8, 31
	v_lshl_add_u32 v1, s2, 4, v1
	s_mov_b32 s2, s8
	s_ashr_i32 s15, s9, 31
	s_lshl_b64 s[8:9], s[18:19], 2
	s_delay_alu instid0(VALU_DEP_1) | instskip(NEXT) | instid1(VALU_DEP_1)
	v_mad_co_u64_u32 v[5:6], null, s6, v1, 0
	v_mov_b32_e32 v2, v6
	s_delay_alu instid0(VALU_DEP_1) | instskip(SKIP_3) | instid1(VALU_DEP_2)
	v_mad_co_u64_u32 v[6:7], null, s7, v1, v[2:3]
	v_lshl_add_u32 v3, ttmp9, 4, v0
	v_mov_b32_e32 v2, v4
	s_lshl_b64 s[6:7], s[6:7], 2
	v_lshlrev_b64_e32 v[7:8], 2, v[3:4]
	s_delay_alu instid0(VALU_DEP_4) | instskip(SKIP_3) | instid1(VALU_DEP_3)
	v_lshlrev_b64_e32 v[5:6], 2, v[5:6]
	s_wait_alu 0xfffe
	v_cmp_gt_i64_e32 vcc_lo, s[2:3], v[3:4]
	v_cmp_gt_i64_e64 s2, s[14:15], v[1:2]
	v_add_co_u32 v0, s3, v5, s8
	s_wait_alu 0xf1ff
	v_add_co_ci_u32_e64 v3, null, s9, v6, s3
	s_and_b32 s8, s2, vcc_lo
	v_add_co_u32 v0, vcc_lo, v0, v7
	s_delay_alu instid0(VALU_DEP_1)
	v_add_co_ci_u32_e64 v3, null, v3, v8, vcc_lo
	s_add_nc_u64 s[2:3], s[0:1], 56
	s_wait_alu 0xfffe
	s_and_b32 s1, s8, s10
	s_branch .LBB193_3
.LBB193_2:                              ;   in Loop: Header=BB193_3 Depth=1
	s_or_b32 exec_lo, exec_lo, s17
	s_add_co_i32 s12, s12, 0x10000
	s_delay_alu instid0(SALU_CYCLE_1)
	s_cmp_lt_u32 s12, s16
	s_cbranch_scc0 .LBB193_6
.LBB193_3:                              ; =>This Loop Header: Depth=1
                                        ;     Child Loop BB193_5 Depth 2
	s_wait_alu 0xfffe
	s_and_saveexec_b32 s17, s1
	s_cbranch_execz .LBB193_2
; %bb.4:                                ;   in Loop: Header=BB193_3 Depth=1
	s_mov_b32 s13, s11
	s_load_b32 s0, s[2:3], 0x4
	s_lshl_b64 s[8:9], s[12:13], 3
	v_dual_mov_b32 v8, v2 :: v_dual_mov_b32 v7, v1
	s_wait_alu 0xfffe
	s_add_nc_u64 s[8:9], s[4:5], s[8:9]
	s_mov_b32 s13, 0
	s_load_b64 s[8:9], s[8:9], 0x0
	s_wait_kmcnt 0x0
	s_lshl_b32 s10, s0, 4
	v_add_co_u32 v5, vcc_lo, s8, v0
	s_wait_alu 0xfffd
	v_add_co_ci_u32_e64 v6, null, s9, v3, vcc_lo
	s_wait_alu 0xfffe
	s_mul_u64 s[8:9], s[6:7], s[10:11]
.LBB193_5:                              ;   Parent Loop BB193_3 Depth=1
                                        ; =>  This Inner Loop Header: Depth=2
	v_add_co_u32 v7, vcc_lo, v7, s10
	s_wait_alu 0xfffd
	v_add_co_ci_u32_e64 v8, null, 0, v8, vcc_lo
	flat_store_b32 v[5:6], v4
	s_wait_alu 0xfffe
	v_add_co_u32 v5, s0, v5, s8
	v_cmp_le_i64_e32 vcc_lo, s[14:15], v[7:8]
	s_wait_alu 0xf1ff
	v_add_co_ci_u32_e64 v6, null, s9, v6, s0
	s_or_b32 s13, vcc_lo, s13
	s_delay_alu instid0(SALU_CYCLE_1)
	s_and_not1_b32 exec_lo, exec_lo, s13
	s_cbranch_execnz .LBB193_5
	s_branch .LBB193_2
.LBB193_6:
	s_endpgm
	.section	.rodata,"a",@progbits
	.p2align	6, 0x0
	.amdhsa_kernel _ZL44rocblas_set_matrix_zero_if_alpha_zero_kernelILi16ELi16EfPKPfEviiT1_lT2_lli
		.amdhsa_group_segment_fixed_size 0
		.amdhsa_private_segment_fixed_size 0
		.amdhsa_kernarg_size 312
		.amdhsa_user_sgpr_count 2
		.amdhsa_user_sgpr_dispatch_ptr 0
		.amdhsa_user_sgpr_queue_ptr 0
		.amdhsa_user_sgpr_kernarg_segment_ptr 1
		.amdhsa_user_sgpr_dispatch_id 0
		.amdhsa_user_sgpr_private_segment_size 0
		.amdhsa_wavefront_size32 1
		.amdhsa_uses_dynamic_stack 0
		.amdhsa_enable_private_segment 0
		.amdhsa_system_sgpr_workgroup_id_x 1
		.amdhsa_system_sgpr_workgroup_id_y 1
		.amdhsa_system_sgpr_workgroup_id_z 1
		.amdhsa_system_sgpr_workgroup_info 0
		.amdhsa_system_vgpr_workitem_id 1
		.amdhsa_next_free_vgpr 9
		.amdhsa_next_free_sgpr 20
		.amdhsa_reserve_vcc 1
		.amdhsa_float_round_mode_32 0
		.amdhsa_float_round_mode_16_64 0
		.amdhsa_float_denorm_mode_32 3
		.amdhsa_float_denorm_mode_16_64 3
		.amdhsa_fp16_overflow 0
		.amdhsa_workgroup_processor_mode 1
		.amdhsa_memory_ordered 1
		.amdhsa_forward_progress 1
		.amdhsa_inst_pref_size 4
		.amdhsa_round_robin_scheduling 0
		.amdhsa_exception_fp_ieee_invalid_op 0
		.amdhsa_exception_fp_denorm_src 0
		.amdhsa_exception_fp_ieee_div_zero 0
		.amdhsa_exception_fp_ieee_overflow 0
		.amdhsa_exception_fp_ieee_underflow 0
		.amdhsa_exception_fp_ieee_inexact 0
		.amdhsa_exception_int_div_zero 0
	.end_amdhsa_kernel
	.section	.text._ZL44rocblas_set_matrix_zero_if_alpha_zero_kernelILi16ELi16EfPKPfEviiT1_lT2_lli,"axG",@progbits,_ZL44rocblas_set_matrix_zero_if_alpha_zero_kernelILi16ELi16EfPKPfEviiT1_lT2_lli,comdat
.Lfunc_end193:
	.size	_ZL44rocblas_set_matrix_zero_if_alpha_zero_kernelILi16ELi16EfPKPfEviiT1_lT2_lli, .Lfunc_end193-_ZL44rocblas_set_matrix_zero_if_alpha_zero_kernelILi16ELi16EfPKPfEviiT1_lT2_lli
                                        ; -- End function
	.set _ZL44rocblas_set_matrix_zero_if_alpha_zero_kernelILi16ELi16EfPKPfEviiT1_lT2_lli.num_vgpr, 9
	.set _ZL44rocblas_set_matrix_zero_if_alpha_zero_kernelILi16ELi16EfPKPfEviiT1_lT2_lli.num_agpr, 0
	.set _ZL44rocblas_set_matrix_zero_if_alpha_zero_kernelILi16ELi16EfPKPfEviiT1_lT2_lli.numbered_sgpr, 20
	.set _ZL44rocblas_set_matrix_zero_if_alpha_zero_kernelILi16ELi16EfPKPfEviiT1_lT2_lli.num_named_barrier, 0
	.set _ZL44rocblas_set_matrix_zero_if_alpha_zero_kernelILi16ELi16EfPKPfEviiT1_lT2_lli.private_seg_size, 0
	.set _ZL44rocblas_set_matrix_zero_if_alpha_zero_kernelILi16ELi16EfPKPfEviiT1_lT2_lli.uses_vcc, 1
	.set _ZL44rocblas_set_matrix_zero_if_alpha_zero_kernelILi16ELi16EfPKPfEviiT1_lT2_lli.uses_flat_scratch, 0
	.set _ZL44rocblas_set_matrix_zero_if_alpha_zero_kernelILi16ELi16EfPKPfEviiT1_lT2_lli.has_dyn_sized_stack, 0
	.set _ZL44rocblas_set_matrix_zero_if_alpha_zero_kernelILi16ELi16EfPKPfEviiT1_lT2_lli.has_recursion, 0
	.set _ZL44rocblas_set_matrix_zero_if_alpha_zero_kernelILi16ELi16EfPKPfEviiT1_lT2_lli.has_indirect_call, 0
	.section	.AMDGPU.csdata,"",@progbits
; Kernel info:
; codeLenInByte = 456
; TotalNumSgprs: 22
; NumVgprs: 9
; ScratchSize: 0
; MemoryBound: 0
; FloatMode: 240
; IeeeMode: 1
; LDSByteSize: 0 bytes/workgroup (compile time only)
; SGPRBlocks: 0
; VGPRBlocks: 1
; NumSGPRsForWavesPerEU: 22
; NumVGPRsForWavesPerEU: 9
; Occupancy: 16
; WaveLimiterHint : 0
; COMPUTE_PGM_RSRC2:SCRATCH_EN: 0
; COMPUTE_PGM_RSRC2:USER_SGPR: 2
; COMPUTE_PGM_RSRC2:TRAP_HANDLER: 0
; COMPUTE_PGM_RSRC2:TGID_X_EN: 1
; COMPUTE_PGM_RSRC2:TGID_Y_EN: 1
; COMPUTE_PGM_RSRC2:TGID_Z_EN: 1
; COMPUTE_PGM_RSRC2:TIDIG_COMP_CNT: 1
	.section	.text._ZL44rocblas_set_matrix_zero_if_alpha_zero_kernelILi16ELi16EPKfPfEviiT1_lT2_lli,"axG",@progbits,_ZL44rocblas_set_matrix_zero_if_alpha_zero_kernelILi16ELi16EPKfPfEviiT1_lT2_lli,comdat
	.globl	_ZL44rocblas_set_matrix_zero_if_alpha_zero_kernelILi16ELi16EPKfPfEviiT1_lT2_lli ; -- Begin function _ZL44rocblas_set_matrix_zero_if_alpha_zero_kernelILi16ELi16EPKfPfEviiT1_lT2_lli
	.p2align	8
	.type	_ZL44rocblas_set_matrix_zero_if_alpha_zero_kernelILi16ELi16EPKfPfEviiT1_lT2_lli,@function
_ZL44rocblas_set_matrix_zero_if_alpha_zero_kernelILi16ELi16EPKfPfEviiT1_lT2_lli: ; @_ZL44rocblas_set_matrix_zero_if_alpha_zero_kernelILi16ELi16EPKfPfEviiT1_lT2_lli
; %bb.0:
	s_load_b32 s20, s[0:1], 0x30
	s_lshr_b32 s12, ttmp7, 16
	s_wait_kmcnt 0x0
	s_cmp_ge_u32 s12, s20
	s_cbranch_scc1 .LBB194_6
; %bb.1:
	s_load_b256 s[4:11], s[0:1], 0x8
	v_bfe_u32 v1, v0, 10, 10
	s_and_b32 s2, ttmp7, 0xffff
	v_and_b32_e32 v0, 0x3ff, v0
	v_mov_b32_e32 v4, 0
	s_load_b64 s[18:19], s[0:1], 0x28
	v_lshl_add_u32 v1, s2, 4, v1
	s_load_b64 s[2:3], s[0:1], 0x0
	s_mov_b32 s13, 0
	s_wait_kmcnt 0x0
	s_delay_alu instid0(VALU_DEP_1)
	v_mad_co_u64_u32 v[5:6], null, s10, v1, 0
	s_ashr_i32 s17, s2, 31
	v_mov_b32_e32 v2, v6
	s_mov_b32 s16, s2
	s_ashr_i32 s15, s3, 31
	s_mov_b32 s14, s3
	s_delay_alu instid0(VALU_DEP_1) | instskip(SKIP_2) | instid1(VALU_DEP_2)
	v_mad_co_u64_u32 v[6:7], null, s11, v1, v[2:3]
	v_lshl_add_u32 v3, ttmp9, 4, v0
	v_mov_b32_e32 v2, v4
	v_lshlrev_b64_e32 v[7:8], 2, v[3:4]
	s_delay_alu instid0(VALU_DEP_4) | instskip(SKIP_1) | instid1(VALU_DEP_4)
	v_lshlrev_b64_e32 v[5:6], 2, v[5:6]
	v_cmp_gt_i64_e32 vcc_lo, s[16:17], v[3:4]
	v_cmp_gt_i64_e64 s2, s[14:15], v[1:2]
	s_add_nc_u64 s[16:17], s[0:1], 56
	v_add_co_u32 v0, s0, v5, v7
	s_wait_alu 0xf1ff
	v_add_co_ci_u32_e64 v3, null, v6, v8, s0
	s_and_b32 s1, s2, vcc_lo
	v_add_co_u32 v5, vcc_lo, s8, v0
	s_delay_alu instid0(VALU_DEP_1)
	v_add_co_ci_u32_e64 v6, null, s9, v3, vcc_lo
	s_lshl_b64 s[2:3], s[18:19], 2
	s_lshl_b64 s[8:9], s[10:11], 2
	s_branch .LBB194_3
.LBB194_2:                              ;   in Loop: Header=BB194_3 Depth=1
	s_or_b32 exec_lo, exec_lo, s21
	s_add_co_i32 s12, s12, 0x10000
	s_wait_alu 0xfffe
	s_cmp_lt_u32 s12, s20
	s_cbranch_scc0 .LBB194_6
.LBB194_3:                              ; =>This Loop Header: Depth=1
                                        ;     Child Loop BB194_5 Depth 2
	s_mul_u64 s[10:11], s[6:7], s[12:13]
	s_wait_alu 0xfffe
	s_lshl_b64 s[10:11], s[10:11], 2
	s_wait_alu 0xfffe
	s_add_nc_u64 s[10:11], s[4:5], s[10:11]
	global_load_b32 v0, v4, s[10:11]
	s_wait_loadcnt 0x0
	v_readfirstlane_b32 s0, v0
	s_cmp_eq_f32 s0, 0
	s_cselect_b32 s0, -1, 0
	s_wait_alu 0xfffe
	s_and_b32 s0, s0, s1
	s_wait_alu 0xfffe
	s_and_saveexec_b32 s21, s0
	s_cbranch_execz .LBB194_2
; %bb.4:                                ;   in Loop: Header=BB194_3 Depth=1
	s_load_b32 s0, s[16:17], 0x4
	v_mad_co_u64_u32 v[7:8], null, s2, s12, v[5:6]
	s_mov_b32 s11, s13
	v_mov_b32_e32 v0, v8
	s_delay_alu instid0(VALU_DEP_1)
	v_mad_co_u64_u32 v[8:9], null, s3, s12, v[0:1]
	v_dual_mov_b32 v10, v2 :: v_dual_mov_b32 v9, v1
	s_wait_kmcnt 0x0
	s_lshl_b32 s10, s0, 4
	s_wait_alu 0xfffe
	s_mul_u64 s[18:19], s[8:9], s[10:11]
	s_mov_b32 s11, 0
.LBB194_5:                              ;   Parent Loop BB194_3 Depth=1
                                        ; =>  This Inner Loop Header: Depth=2
	v_add_co_u32 v9, vcc_lo, v9, s10
	s_wait_alu 0xfffd
	v_add_co_ci_u32_e64 v10, null, 0, v10, vcc_lo
	global_store_b32 v[7:8], v4, off
	s_wait_alu 0xfffe
	v_add_co_u32 v7, s0, v7, s18
	v_cmp_le_i64_e32 vcc_lo, s[14:15], v[9:10]
	s_wait_alu 0xf1ff
	v_add_co_ci_u32_e64 v8, null, s19, v8, s0
	s_or_b32 s11, vcc_lo, s11
	s_wait_alu 0xfffe
	s_and_not1_b32 exec_lo, exec_lo, s11
	s_cbranch_execnz .LBB194_5
	s_branch .LBB194_2
.LBB194_6:
	s_endpgm
	.section	.rodata,"a",@progbits
	.p2align	6, 0x0
	.amdhsa_kernel _ZL44rocblas_set_matrix_zero_if_alpha_zero_kernelILi16ELi16EPKfPfEviiT1_lT2_lli
		.amdhsa_group_segment_fixed_size 0
		.amdhsa_private_segment_fixed_size 0
		.amdhsa_kernarg_size 312
		.amdhsa_user_sgpr_count 2
		.amdhsa_user_sgpr_dispatch_ptr 0
		.amdhsa_user_sgpr_queue_ptr 0
		.amdhsa_user_sgpr_kernarg_segment_ptr 1
		.amdhsa_user_sgpr_dispatch_id 0
		.amdhsa_user_sgpr_private_segment_size 0
		.amdhsa_wavefront_size32 1
		.amdhsa_uses_dynamic_stack 0
		.amdhsa_enable_private_segment 0
		.amdhsa_system_sgpr_workgroup_id_x 1
		.amdhsa_system_sgpr_workgroup_id_y 1
		.amdhsa_system_sgpr_workgroup_id_z 1
		.amdhsa_system_sgpr_workgroup_info 0
		.amdhsa_system_vgpr_workitem_id 1
		.amdhsa_next_free_vgpr 11
		.amdhsa_next_free_sgpr 22
		.amdhsa_reserve_vcc 1
		.amdhsa_float_round_mode_32 0
		.amdhsa_float_round_mode_16_64 0
		.amdhsa_float_denorm_mode_32 3
		.amdhsa_float_denorm_mode_16_64 3
		.amdhsa_fp16_overflow 0
		.amdhsa_workgroup_processor_mode 1
		.amdhsa_memory_ordered 1
		.amdhsa_forward_progress 1
		.amdhsa_inst_pref_size 4
		.amdhsa_round_robin_scheduling 0
		.amdhsa_exception_fp_ieee_invalid_op 0
		.amdhsa_exception_fp_denorm_src 0
		.amdhsa_exception_fp_ieee_div_zero 0
		.amdhsa_exception_fp_ieee_overflow 0
		.amdhsa_exception_fp_ieee_underflow 0
		.amdhsa_exception_fp_ieee_inexact 0
		.amdhsa_exception_int_div_zero 0
	.end_amdhsa_kernel
	.section	.text._ZL44rocblas_set_matrix_zero_if_alpha_zero_kernelILi16ELi16EPKfPfEviiT1_lT2_lli,"axG",@progbits,_ZL44rocblas_set_matrix_zero_if_alpha_zero_kernelILi16ELi16EPKfPfEviiT1_lT2_lli,comdat
.Lfunc_end194:
	.size	_ZL44rocblas_set_matrix_zero_if_alpha_zero_kernelILi16ELi16EPKfPfEviiT1_lT2_lli, .Lfunc_end194-_ZL44rocblas_set_matrix_zero_if_alpha_zero_kernelILi16ELi16EPKfPfEviiT1_lT2_lli
                                        ; -- End function
	.set _ZL44rocblas_set_matrix_zero_if_alpha_zero_kernelILi16ELi16EPKfPfEviiT1_lT2_lli.num_vgpr, 11
	.set _ZL44rocblas_set_matrix_zero_if_alpha_zero_kernelILi16ELi16EPKfPfEviiT1_lT2_lli.num_agpr, 0
	.set _ZL44rocblas_set_matrix_zero_if_alpha_zero_kernelILi16ELi16EPKfPfEviiT1_lT2_lli.numbered_sgpr, 22
	.set _ZL44rocblas_set_matrix_zero_if_alpha_zero_kernelILi16ELi16EPKfPfEviiT1_lT2_lli.num_named_barrier, 0
	.set _ZL44rocblas_set_matrix_zero_if_alpha_zero_kernelILi16ELi16EPKfPfEviiT1_lT2_lli.private_seg_size, 0
	.set _ZL44rocblas_set_matrix_zero_if_alpha_zero_kernelILi16ELi16EPKfPfEviiT1_lT2_lli.uses_vcc, 1
	.set _ZL44rocblas_set_matrix_zero_if_alpha_zero_kernelILi16ELi16EPKfPfEviiT1_lT2_lli.uses_flat_scratch, 0
	.set _ZL44rocblas_set_matrix_zero_if_alpha_zero_kernelILi16ELi16EPKfPfEviiT1_lT2_lli.has_dyn_sized_stack, 0
	.set _ZL44rocblas_set_matrix_zero_if_alpha_zero_kernelILi16ELi16EPKfPfEviiT1_lT2_lli.has_recursion, 0
	.set _ZL44rocblas_set_matrix_zero_if_alpha_zero_kernelILi16ELi16EPKfPfEviiT1_lT2_lli.has_indirect_call, 0
	.section	.AMDGPU.csdata,"",@progbits
; Kernel info:
; codeLenInByte = 472
; TotalNumSgprs: 24
; NumVgprs: 11
; ScratchSize: 0
; MemoryBound: 0
; FloatMode: 240
; IeeeMode: 1
; LDSByteSize: 0 bytes/workgroup (compile time only)
; SGPRBlocks: 0
; VGPRBlocks: 1
; NumSGPRsForWavesPerEU: 24
; NumVGPRsForWavesPerEU: 11
; Occupancy: 16
; WaveLimiterHint : 0
; COMPUTE_PGM_RSRC2:SCRATCH_EN: 0
; COMPUTE_PGM_RSRC2:USER_SGPR: 2
; COMPUTE_PGM_RSRC2:TRAP_HANDLER: 0
; COMPUTE_PGM_RSRC2:TGID_X_EN: 1
; COMPUTE_PGM_RSRC2:TGID_Y_EN: 1
; COMPUTE_PGM_RSRC2:TGID_Z_EN: 1
; COMPUTE_PGM_RSRC2:TIDIG_COMP_CNT: 1
	.section	.text._ZL44rocblas_set_matrix_zero_if_alpha_zero_kernelILi16ELi16EfPfEviiT1_lT2_lli,"axG",@progbits,_ZL44rocblas_set_matrix_zero_if_alpha_zero_kernelILi16ELi16EfPfEviiT1_lT2_lli,comdat
	.globl	_ZL44rocblas_set_matrix_zero_if_alpha_zero_kernelILi16ELi16EfPfEviiT1_lT2_lli ; -- Begin function _ZL44rocblas_set_matrix_zero_if_alpha_zero_kernelILi16ELi16EfPfEviiT1_lT2_lli
	.p2align	8
	.type	_ZL44rocblas_set_matrix_zero_if_alpha_zero_kernelILi16ELi16EfPfEviiT1_lT2_lli,@function
_ZL44rocblas_set_matrix_zero_if_alpha_zero_kernelILi16ELi16EfPfEviiT1_lT2_lli: ; @_ZL44rocblas_set_matrix_zero_if_alpha_zero_kernelILi16ELi16EfPfEviiT1_lT2_lli
; %bb.0:
	s_load_b32 s14, s[0:1], 0x30
	s_lshr_b32 s15, ttmp7, 16
	s_wait_kmcnt 0x0
	s_cmp_ge_u32 s15, s14
	s_cbranch_scc1 .LBB195_6
; %bb.1:
	s_clause 0x1
	s_load_b96 s[8:10], s[0:1], 0x0
	s_load_b128 s[4:7], s[0:1], 0x18
	v_bfe_u32 v1, v0, 10, 10
	v_and_b32_e32 v0, 0x3ff, v0
	v_mov_b32_e32 v4, 0
	s_load_b64 s[12:13], s[0:1], 0x28
	s_mov_b32 s3, 0
	s_wait_kmcnt 0x0
	s_cmp_eq_f32 s10, 0
	s_mov_b32 s16, s8
	s_mov_b32 s10, s9
	s_cselect_b32 s18, -1, 0
	s_and_b32 s2, ttmp7, 0xffff
	s_ashr_i32 s17, s8, 31
	v_lshl_add_u32 v1, s2, 4, v1
	s_ashr_i32 s11, s9, 31
	s_add_nc_u64 s[8:9], s[0:1], 56
	s_delay_alu instid0(VALU_DEP_1) | instskip(NEXT) | instid1(VALU_DEP_1)
	v_mad_co_u64_u32 v[5:6], null, s6, v1, 0
	v_mov_b32_e32 v2, v6
	s_delay_alu instid0(VALU_DEP_1) | instskip(SKIP_3) | instid1(VALU_DEP_2)
	v_mad_co_u64_u32 v[6:7], null, s7, v1, v[2:3]
	v_lshl_add_u32 v3, ttmp9, 4, v0
	v_mov_b32_e32 v2, v4
	s_lshl_b64 s[6:7], s[6:7], 2
	v_lshlrev_b64_e32 v[7:8], 2, v[3:4]
	s_delay_alu instid0(VALU_DEP_4) | instskip(SKIP_2) | instid1(VALU_DEP_3)
	v_lshlrev_b64_e32 v[5:6], 2, v[5:6]
	v_cmp_gt_i64_e32 vcc_lo, s[16:17], v[3:4]
	v_cmp_gt_i64_e64 s2, s[10:11], v[1:2]
	v_add_co_u32 v0, s0, v5, v7
	s_wait_alu 0xf1ff
	s_delay_alu instid0(VALU_DEP_4) | instskip(SKIP_2) | instid1(VALU_DEP_1)
	v_add_co_ci_u32_e64 v3, null, v6, v8, s0
	s_and_b32 s0, s2, vcc_lo
	v_add_co_u32 v5, vcc_lo, s4, v0
	v_add_co_ci_u32_e64 v6, null, s5, v3, vcc_lo
	s_wait_alu 0xfffe
	s_and_b32 s1, s0, s18
	s_lshl_b64 s[4:5], s[12:13], 2
	s_branch .LBB195_3
.LBB195_2:                              ;   in Loop: Header=BB195_3 Depth=1
	s_wait_alu 0xfffe
	s_or_b32 exec_lo, exec_lo, s16
	s_add_co_i32 s15, s15, 0x10000
	s_wait_alu 0xfffe
	s_cmp_lt_u32 s15, s14
	s_cbranch_scc0 .LBB195_6
.LBB195_3:                              ; =>This Loop Header: Depth=1
                                        ;     Child Loop BB195_5 Depth 2
	s_wait_alu 0xfffe
	s_and_saveexec_b32 s16, s1
	s_cbranch_execz .LBB195_2
; %bb.4:                                ;   in Loop: Header=BB195_3 Depth=1
	s_load_b32 s0, s[8:9], 0x4
	v_mad_co_u64_u32 v[7:8], null, s4, s15, v[5:6]
	s_mov_b32 s17, 0
	v_mov_b32_e32 v0, v8
	s_delay_alu instid0(VALU_DEP_1)
	v_mad_co_u64_u32 v[8:9], null, s5, s15, v[0:1]
	v_dual_mov_b32 v10, v2 :: v_dual_mov_b32 v9, v1
	s_wait_kmcnt 0x0
	s_lshl_b32 s2, s0, 4
	s_wait_alu 0xfffe
	s_mul_u64 s[12:13], s[6:7], s[2:3]
.LBB195_5:                              ;   Parent Loop BB195_3 Depth=1
                                        ; =>  This Inner Loop Header: Depth=2
	v_add_co_u32 v9, vcc_lo, v9, s2
	s_wait_alu 0xfffd
	v_add_co_ci_u32_e64 v10, null, 0, v10, vcc_lo
	global_store_b32 v[7:8], v4, off
	s_wait_alu 0xfffe
	v_add_co_u32 v7, s0, v7, s12
	v_cmp_le_i64_e32 vcc_lo, s[10:11], v[9:10]
	s_wait_alu 0xf1ff
	v_add_co_ci_u32_e64 v8, null, s13, v8, s0
	s_or_b32 s17, vcc_lo, s17
	s_wait_alu 0xfffe
	s_and_not1_b32 exec_lo, exec_lo, s17
	s_cbranch_execnz .LBB195_5
	s_branch .LBB195_2
.LBB195_6:
	s_endpgm
	.section	.rodata,"a",@progbits
	.p2align	6, 0x0
	.amdhsa_kernel _ZL44rocblas_set_matrix_zero_if_alpha_zero_kernelILi16ELi16EfPfEviiT1_lT2_lli
		.amdhsa_group_segment_fixed_size 0
		.amdhsa_private_segment_fixed_size 0
		.amdhsa_kernarg_size 312
		.amdhsa_user_sgpr_count 2
		.amdhsa_user_sgpr_dispatch_ptr 0
		.amdhsa_user_sgpr_queue_ptr 0
		.amdhsa_user_sgpr_kernarg_segment_ptr 1
		.amdhsa_user_sgpr_dispatch_id 0
		.amdhsa_user_sgpr_private_segment_size 0
		.amdhsa_wavefront_size32 1
		.amdhsa_uses_dynamic_stack 0
		.amdhsa_enable_private_segment 0
		.amdhsa_system_sgpr_workgroup_id_x 1
		.amdhsa_system_sgpr_workgroup_id_y 1
		.amdhsa_system_sgpr_workgroup_id_z 1
		.amdhsa_system_sgpr_workgroup_info 0
		.amdhsa_system_vgpr_workitem_id 1
		.amdhsa_next_free_vgpr 11
		.amdhsa_next_free_sgpr 19
		.amdhsa_reserve_vcc 1
		.amdhsa_float_round_mode_32 0
		.amdhsa_float_round_mode_16_64 0
		.amdhsa_float_denorm_mode_32 3
		.amdhsa_float_denorm_mode_16_64 3
		.amdhsa_fp16_overflow 0
		.amdhsa_workgroup_processor_mode 1
		.amdhsa_memory_ordered 1
		.amdhsa_forward_progress 1
		.amdhsa_inst_pref_size 4
		.amdhsa_round_robin_scheduling 0
		.amdhsa_exception_fp_ieee_invalid_op 0
		.amdhsa_exception_fp_denorm_src 0
		.amdhsa_exception_fp_ieee_div_zero 0
		.amdhsa_exception_fp_ieee_overflow 0
		.amdhsa_exception_fp_ieee_underflow 0
		.amdhsa_exception_fp_ieee_inexact 0
		.amdhsa_exception_int_div_zero 0
	.end_amdhsa_kernel
	.section	.text._ZL44rocblas_set_matrix_zero_if_alpha_zero_kernelILi16ELi16EfPfEviiT1_lT2_lli,"axG",@progbits,_ZL44rocblas_set_matrix_zero_if_alpha_zero_kernelILi16ELi16EfPfEviiT1_lT2_lli,comdat
.Lfunc_end195:
	.size	_ZL44rocblas_set_matrix_zero_if_alpha_zero_kernelILi16ELi16EfPfEviiT1_lT2_lli, .Lfunc_end195-_ZL44rocblas_set_matrix_zero_if_alpha_zero_kernelILi16ELi16EfPfEviiT1_lT2_lli
                                        ; -- End function
	.set _ZL44rocblas_set_matrix_zero_if_alpha_zero_kernelILi16ELi16EfPfEviiT1_lT2_lli.num_vgpr, 11
	.set _ZL44rocblas_set_matrix_zero_if_alpha_zero_kernelILi16ELi16EfPfEviiT1_lT2_lli.num_agpr, 0
	.set _ZL44rocblas_set_matrix_zero_if_alpha_zero_kernelILi16ELi16EfPfEviiT1_lT2_lli.numbered_sgpr, 19
	.set _ZL44rocblas_set_matrix_zero_if_alpha_zero_kernelILi16ELi16EfPfEviiT1_lT2_lli.num_named_barrier, 0
	.set _ZL44rocblas_set_matrix_zero_if_alpha_zero_kernelILi16ELi16EfPfEviiT1_lT2_lli.private_seg_size, 0
	.set _ZL44rocblas_set_matrix_zero_if_alpha_zero_kernelILi16ELi16EfPfEviiT1_lT2_lli.uses_vcc, 1
	.set _ZL44rocblas_set_matrix_zero_if_alpha_zero_kernelILi16ELi16EfPfEviiT1_lT2_lli.uses_flat_scratch, 0
	.set _ZL44rocblas_set_matrix_zero_if_alpha_zero_kernelILi16ELi16EfPfEviiT1_lT2_lli.has_dyn_sized_stack, 0
	.set _ZL44rocblas_set_matrix_zero_if_alpha_zero_kernelILi16ELi16EfPfEviiT1_lT2_lli.has_recursion, 0
	.set _ZL44rocblas_set_matrix_zero_if_alpha_zero_kernelILi16ELi16EfPfEviiT1_lT2_lli.has_indirect_call, 0
	.section	.AMDGPU.csdata,"",@progbits
; Kernel info:
; codeLenInByte = 436
; TotalNumSgprs: 21
; NumVgprs: 11
; ScratchSize: 0
; MemoryBound: 0
; FloatMode: 240
; IeeeMode: 1
; LDSByteSize: 0 bytes/workgroup (compile time only)
; SGPRBlocks: 0
; VGPRBlocks: 1
; NumSGPRsForWavesPerEU: 21
; NumVGPRsForWavesPerEU: 11
; Occupancy: 16
; WaveLimiterHint : 0
; COMPUTE_PGM_RSRC2:SCRATCH_EN: 0
; COMPUTE_PGM_RSRC2:USER_SGPR: 2
; COMPUTE_PGM_RSRC2:TRAP_HANDLER: 0
; COMPUTE_PGM_RSRC2:TGID_X_EN: 1
; COMPUTE_PGM_RSRC2:TGID_Y_EN: 1
; COMPUTE_PGM_RSRC2:TGID_Z_EN: 1
; COMPUTE_PGM_RSRC2:TIDIG_COMP_CNT: 1
	.section	.text._ZL44rocblas_set_matrix_zero_if_alpha_zero_kernelILi16ELi16EPKdPdEviiT1_lT2_lli,"axG",@progbits,_ZL44rocblas_set_matrix_zero_if_alpha_zero_kernelILi16ELi16EPKdPdEviiT1_lT2_lli,comdat
	.globl	_ZL44rocblas_set_matrix_zero_if_alpha_zero_kernelILi16ELi16EPKdPdEviiT1_lT2_lli ; -- Begin function _ZL44rocblas_set_matrix_zero_if_alpha_zero_kernelILi16ELi16EPKdPdEviiT1_lT2_lli
	.p2align	8
	.type	_ZL44rocblas_set_matrix_zero_if_alpha_zero_kernelILi16ELi16EPKdPdEviiT1_lT2_lli,@function
_ZL44rocblas_set_matrix_zero_if_alpha_zero_kernelILi16ELi16EPKdPdEviiT1_lT2_lli: ; @_ZL44rocblas_set_matrix_zero_if_alpha_zero_kernelILi16ELi16EPKdPdEviiT1_lT2_lli
; %bb.0:
	s_load_b32 s20, s[0:1], 0x30
	s_lshr_b32 s12, ttmp7, 16
	s_wait_kmcnt 0x0
	s_cmp_ge_u32 s12, s20
	s_cbranch_scc1 .LBB196_6
; %bb.1:
	s_load_b256 s[4:11], s[0:1], 0x8
	v_bfe_u32 v1, v0, 10, 10
	s_and_b32 s2, ttmp7, 0xffff
	s_load_b64 s[18:19], s[0:1], 0x28
	s_mov_b32 s13, 0
	v_mov_b32_e32 v3, 0
	v_lshl_add_u32 v1, s2, 4, v1
	s_load_b64 s[2:3], s[0:1], 0x0
	s_delay_alu instid0(VALU_DEP_2) | instskip(SKIP_1) | instid1(VALU_DEP_2)
	v_dual_mov_b32 v7, v3 :: v_dual_and_b32 v0, 0x3ff, v0
	s_wait_kmcnt 0x0
	v_mad_co_u64_u32 v[4:5], null, s10, v1, 0
	s_ashr_i32 s17, s2, 31
	v_mov_b32_e32 v2, v5
	s_mov_b32 s16, s2
	s_ashr_i32 s15, s3, 31
	s_mov_b32 s14, s3
	s_delay_alu instid0(VALU_DEP_1) | instskip(SKIP_2) | instid1(VALU_DEP_2)
	v_mad_co_u64_u32 v[5:6], null, s11, v1, v[2:3]
	v_lshl_add_u32 v6, ttmp9, 4, v0
	v_mov_b32_e32 v2, v3
	v_lshlrev_b64_e32 v[8:9], 3, v[6:7]
	s_delay_alu instid0(VALU_DEP_4) | instskip(SKIP_1) | instid1(VALU_DEP_4)
	v_lshlrev_b64_e32 v[4:5], 3, v[4:5]
	v_cmp_gt_i64_e32 vcc_lo, s[16:17], v[6:7]
	v_cmp_gt_i64_e64 s2, s[14:15], v[1:2]
	s_add_nc_u64 s[16:17], s[0:1], 56
	v_add_co_u32 v0, s0, v4, v8
	s_wait_alu 0xf1ff
	v_add_co_ci_u32_e64 v4, null, v5, v9, s0
	s_and_b32 s1, s2, vcc_lo
	v_add_co_u32 v5, vcc_lo, s8, v0
	s_delay_alu instid0(VALU_DEP_1)
	v_add_co_ci_u32_e64 v6, null, s9, v4, vcc_lo
	s_lshl_b64 s[2:3], s[18:19], 3
	s_lshl_b64 s[8:9], s[10:11], 3
	s_branch .LBB196_3
.LBB196_2:                              ;   in Loop: Header=BB196_3 Depth=1
	s_or_b32 exec_lo, exec_lo, s21
	s_add_co_i32 s12, s12, 0x10000
	s_wait_alu 0xfffe
	s_cmp_lt_u32 s12, s20
	s_cbranch_scc0 .LBB196_6
.LBB196_3:                              ; =>This Loop Header: Depth=1
                                        ;     Child Loop BB196_5 Depth 2
	s_mul_u64 s[10:11], s[6:7], s[12:13]
	s_wait_alu 0xfffe
	s_lshl_b64 s[10:11], s[10:11], 3
	s_wait_alu 0xfffe
	s_add_nc_u64 s[10:11], s[4:5], s[10:11]
	global_load_b64 v[7:8], v3, s[10:11]
	s_wait_loadcnt 0x0
	v_cmp_eq_f64_e32 vcc_lo, 0, v[7:8]
	s_and_b32 s0, vcc_lo, s1
	s_wait_alu 0xfffe
	s_and_saveexec_b32 s21, s0
	s_cbranch_execz .LBB196_2
; %bb.4:                                ;   in Loop: Header=BB196_3 Depth=1
	s_load_b32 s0, s[16:17], 0x4
	v_mad_co_u64_u32 v[7:8], null, s2, s12, v[5:6]
	s_mov_b32 s11, s13
	v_mov_b32_e32 v0, v8
	s_delay_alu instid0(VALU_DEP_1)
	v_mad_co_u64_u32 v[8:9], null, s3, s12, v[0:1]
	v_dual_mov_b32 v10, v2 :: v_dual_mov_b32 v9, v1
	s_wait_kmcnt 0x0
	s_lshl_b32 s10, s0, 4
	s_wait_alu 0xfffe
	s_mul_u64 s[18:19], s[8:9], s[10:11]
	s_mov_b32 s11, 0
.LBB196_5:                              ;   Parent Loop BB196_3 Depth=1
                                        ; =>  This Inner Loop Header: Depth=2
	v_add_co_u32 v9, vcc_lo, v9, s10
	s_wait_alu 0xfffd
	v_add_co_ci_u32_e64 v10, null, 0, v10, vcc_lo
	v_mov_b32_e32 v4, v3
	s_delay_alu instid0(VALU_DEP_2)
	v_cmp_le_i64_e32 vcc_lo, s[14:15], v[9:10]
	global_store_b64 v[7:8], v[3:4], off
	s_wait_alu 0xfffe
	v_add_co_u32 v7, s0, v7, s18
	s_wait_alu 0xf1ff
	v_add_co_ci_u32_e64 v8, null, s19, v8, s0
	s_or_b32 s11, vcc_lo, s11
	s_wait_alu 0xfffe
	s_and_not1_b32 exec_lo, exec_lo, s11
	s_cbranch_execnz .LBB196_5
	s_branch .LBB196_2
.LBB196_6:
	s_endpgm
	.section	.rodata,"a",@progbits
	.p2align	6, 0x0
	.amdhsa_kernel _ZL44rocblas_set_matrix_zero_if_alpha_zero_kernelILi16ELi16EPKdPdEviiT1_lT2_lli
		.amdhsa_group_segment_fixed_size 0
		.amdhsa_private_segment_fixed_size 0
		.amdhsa_kernarg_size 312
		.amdhsa_user_sgpr_count 2
		.amdhsa_user_sgpr_dispatch_ptr 0
		.amdhsa_user_sgpr_queue_ptr 0
		.amdhsa_user_sgpr_kernarg_segment_ptr 1
		.amdhsa_user_sgpr_dispatch_id 0
		.amdhsa_user_sgpr_private_segment_size 0
		.amdhsa_wavefront_size32 1
		.amdhsa_uses_dynamic_stack 0
		.amdhsa_enable_private_segment 0
		.amdhsa_system_sgpr_workgroup_id_x 1
		.amdhsa_system_sgpr_workgroup_id_y 1
		.amdhsa_system_sgpr_workgroup_id_z 1
		.amdhsa_system_sgpr_workgroup_info 0
		.amdhsa_system_vgpr_workitem_id 1
		.amdhsa_next_free_vgpr 11
		.amdhsa_next_free_sgpr 22
		.amdhsa_reserve_vcc 1
		.amdhsa_float_round_mode_32 0
		.amdhsa_float_round_mode_16_64 0
		.amdhsa_float_denorm_mode_32 3
		.amdhsa_float_denorm_mode_16_64 3
		.amdhsa_fp16_overflow 0
		.amdhsa_workgroup_processor_mode 1
		.amdhsa_memory_ordered 1
		.amdhsa_forward_progress 1
		.amdhsa_inst_pref_size 4
		.amdhsa_round_robin_scheduling 0
		.amdhsa_exception_fp_ieee_invalid_op 0
		.amdhsa_exception_fp_denorm_src 0
		.amdhsa_exception_fp_ieee_div_zero 0
		.amdhsa_exception_fp_ieee_overflow 0
		.amdhsa_exception_fp_ieee_underflow 0
		.amdhsa_exception_fp_ieee_inexact 0
		.amdhsa_exception_int_div_zero 0
	.end_amdhsa_kernel
	.section	.text._ZL44rocblas_set_matrix_zero_if_alpha_zero_kernelILi16ELi16EPKdPdEviiT1_lT2_lli,"axG",@progbits,_ZL44rocblas_set_matrix_zero_if_alpha_zero_kernelILi16ELi16EPKdPdEviiT1_lT2_lli,comdat
.Lfunc_end196:
	.size	_ZL44rocblas_set_matrix_zero_if_alpha_zero_kernelILi16ELi16EPKdPdEviiT1_lT2_lli, .Lfunc_end196-_ZL44rocblas_set_matrix_zero_if_alpha_zero_kernelILi16ELi16EPKdPdEviiT1_lT2_lli
                                        ; -- End function
	.set _ZL44rocblas_set_matrix_zero_if_alpha_zero_kernelILi16ELi16EPKdPdEviiT1_lT2_lli.num_vgpr, 11
	.set _ZL44rocblas_set_matrix_zero_if_alpha_zero_kernelILi16ELi16EPKdPdEviiT1_lT2_lli.num_agpr, 0
	.set _ZL44rocblas_set_matrix_zero_if_alpha_zero_kernelILi16ELi16EPKdPdEviiT1_lT2_lli.numbered_sgpr, 22
	.set _ZL44rocblas_set_matrix_zero_if_alpha_zero_kernelILi16ELi16EPKdPdEviiT1_lT2_lli.num_named_barrier, 0
	.set _ZL44rocblas_set_matrix_zero_if_alpha_zero_kernelILi16ELi16EPKdPdEviiT1_lT2_lli.private_seg_size, 0
	.set _ZL44rocblas_set_matrix_zero_if_alpha_zero_kernelILi16ELi16EPKdPdEviiT1_lT2_lli.uses_vcc, 1
	.set _ZL44rocblas_set_matrix_zero_if_alpha_zero_kernelILi16ELi16EPKdPdEviiT1_lT2_lli.uses_flat_scratch, 0
	.set _ZL44rocblas_set_matrix_zero_if_alpha_zero_kernelILi16ELi16EPKdPdEviiT1_lT2_lli.has_dyn_sized_stack, 0
	.set _ZL44rocblas_set_matrix_zero_if_alpha_zero_kernelILi16ELi16EPKdPdEviiT1_lT2_lli.has_recursion, 0
	.set _ZL44rocblas_set_matrix_zero_if_alpha_zero_kernelILi16ELi16EPKdPdEviiT1_lT2_lli.has_indirect_call, 0
	.section	.AMDGPU.csdata,"",@progbits
; Kernel info:
; codeLenInByte = 472
; TotalNumSgprs: 24
; NumVgprs: 11
; ScratchSize: 0
; MemoryBound: 0
; FloatMode: 240
; IeeeMode: 1
; LDSByteSize: 0 bytes/workgroup (compile time only)
; SGPRBlocks: 0
; VGPRBlocks: 1
; NumSGPRsForWavesPerEU: 24
; NumVGPRsForWavesPerEU: 11
; Occupancy: 16
; WaveLimiterHint : 0
; COMPUTE_PGM_RSRC2:SCRATCH_EN: 0
; COMPUTE_PGM_RSRC2:USER_SGPR: 2
; COMPUTE_PGM_RSRC2:TRAP_HANDLER: 0
; COMPUTE_PGM_RSRC2:TGID_X_EN: 1
; COMPUTE_PGM_RSRC2:TGID_Y_EN: 1
; COMPUTE_PGM_RSRC2:TGID_Z_EN: 1
; COMPUTE_PGM_RSRC2:TIDIG_COMP_CNT: 1
	.section	.text._ZL44rocblas_set_matrix_zero_if_alpha_zero_kernelILi16ELi16EdPdEviiT1_lT2_lli,"axG",@progbits,_ZL44rocblas_set_matrix_zero_if_alpha_zero_kernelILi16ELi16EdPdEviiT1_lT2_lli,comdat
	.globl	_ZL44rocblas_set_matrix_zero_if_alpha_zero_kernelILi16ELi16EdPdEviiT1_lT2_lli ; -- Begin function _ZL44rocblas_set_matrix_zero_if_alpha_zero_kernelILi16ELi16EdPdEviiT1_lT2_lli
	.p2align	8
	.type	_ZL44rocblas_set_matrix_zero_if_alpha_zero_kernelILi16ELi16EdPdEviiT1_lT2_lli,@function
_ZL44rocblas_set_matrix_zero_if_alpha_zero_kernelILi16ELi16EdPdEviiT1_lT2_lli: ; @_ZL44rocblas_set_matrix_zero_if_alpha_zero_kernelILi16ELi16EdPdEviiT1_lT2_lli
; %bb.0:
	s_load_b32 s14, s[0:1], 0x30
	s_lshr_b32 s15, ttmp7, 16
	s_wait_kmcnt 0x0
	s_cmp_ge_u32 s15, s14
	s_cbranch_scc1 .LBB197_6
; %bb.1:
	s_clause 0x1
	s_load_b128 s[4:7], s[0:1], 0x18
	s_load_b128 s[16:19], s[0:1], 0x0
	v_bfe_u32 v1, v0, 10, 10
	s_and_b32 s2, ttmp7, 0xffff
	s_load_b64 s[12:13], s[0:1], 0x28
	s_add_nc_u64 s[10:11], s[0:1], 56
	v_mov_b32_e32 v3, 0
	v_lshl_add_u32 v1, s2, 4, v1
	s_delay_alu instid0(VALU_DEP_2) | instskip(SKIP_1) | instid1(VALU_DEP_2)
	v_dual_mov_b32 v7, v3 :: v_dual_and_b32 v0, 0x3ff, v0
	s_wait_kmcnt 0x0
	v_mad_co_u64_u32 v[4:5], null, s6, v1, 0
	v_cmp_eq_f64_e64 s18, s[18:19], 0
	s_ashr_i32 s3, s16, 31
	s_mov_b32 s2, s16
	s_ashr_i32 s9, s17, 31
	s_mov_b32 s8, s17
	v_mov_b32_e32 v2, v5
	s_delay_alu instid0(VALU_DEP_1) | instskip(SKIP_2) | instid1(VALU_DEP_2)
	v_mad_co_u64_u32 v[5:6], null, s7, v1, v[2:3]
	v_lshl_add_u32 v6, ttmp9, 4, v0
	v_mov_b32_e32 v2, v3
	v_lshlrev_b64_e32 v[8:9], 3, v[6:7]
	s_delay_alu instid0(VALU_DEP_4) | instskip(SKIP_3) | instid1(VALU_DEP_3)
	v_lshlrev_b64_e32 v[4:5], 3, v[4:5]
	s_wait_alu 0xfffe
	v_cmp_gt_i64_e32 vcc_lo, s[2:3], v[6:7]
	v_cmp_gt_i64_e64 s2, s[8:9], v[1:2]
	v_add_co_u32 v0, s0, v4, v8
	s_wait_alu 0xf1ff
	v_add_co_ci_u32_e64 v4, null, v5, v9, s0
	s_and_b32 s0, s2, vcc_lo
	v_add_co_u32 v5, vcc_lo, s4, v0
	s_delay_alu instid0(VALU_DEP_1)
	v_add_co_ci_u32_e64 v6, null, s5, v4, vcc_lo
	s_lshl_b64 s[2:3], s[12:13], 3
	s_lshl_b64 s[4:5], s[6:7], 3
	s_mov_b32 s7, 0
	s_wait_alu 0xfffe
	s_and_b32 s1, s0, s18
	s_branch .LBB197_3
.LBB197_2:                              ;   in Loop: Header=BB197_3 Depth=1
	s_or_b32 exec_lo, exec_lo, s16
	s_add_co_i32 s15, s15, 0x10000
	s_wait_alu 0xfffe
	s_cmp_lt_u32 s15, s14
	s_cbranch_scc0 .LBB197_6
.LBB197_3:                              ; =>This Loop Header: Depth=1
                                        ;     Child Loop BB197_5 Depth 2
	s_wait_alu 0xfffe
	s_and_saveexec_b32 s16, s1
	s_cbranch_execz .LBB197_2
; %bb.4:                                ;   in Loop: Header=BB197_3 Depth=1
	s_load_b32 s0, s[10:11], 0x4
	v_mad_co_u64_u32 v[7:8], null, s2, s15, v[5:6]
	s_mov_b32 s17, 0
	v_mov_b32_e32 v0, v8
	s_delay_alu instid0(VALU_DEP_1)
	v_mad_co_u64_u32 v[8:9], null, s3, s15, v[0:1]
	v_dual_mov_b32 v10, v2 :: v_dual_mov_b32 v9, v1
	s_wait_kmcnt 0x0
	s_lshl_b32 s6, s0, 4
	s_wait_alu 0xfffe
	s_mul_u64 s[12:13], s[4:5], s[6:7]
.LBB197_5:                              ;   Parent Loop BB197_3 Depth=1
                                        ; =>  This Inner Loop Header: Depth=2
	v_add_co_u32 v9, vcc_lo, v9, s6
	s_wait_alu 0xfffd
	v_add_co_ci_u32_e64 v10, null, 0, v10, vcc_lo
	v_mov_b32_e32 v4, v3
	s_delay_alu instid0(VALU_DEP_2)
	v_cmp_le_i64_e32 vcc_lo, s[8:9], v[9:10]
	global_store_b64 v[7:8], v[3:4], off
	s_wait_alu 0xfffe
	v_add_co_u32 v7, s0, v7, s12
	s_wait_alu 0xf1ff
	v_add_co_ci_u32_e64 v8, null, s13, v8, s0
	s_or_b32 s17, vcc_lo, s17
	s_delay_alu instid0(SALU_CYCLE_1)
	s_and_not1_b32 exec_lo, exec_lo, s17
	s_cbranch_execnz .LBB197_5
	s_branch .LBB197_2
.LBB197_6:
	s_endpgm
	.section	.rodata,"a",@progbits
	.p2align	6, 0x0
	.amdhsa_kernel _ZL44rocblas_set_matrix_zero_if_alpha_zero_kernelILi16ELi16EdPdEviiT1_lT2_lli
		.amdhsa_group_segment_fixed_size 0
		.amdhsa_private_segment_fixed_size 0
		.amdhsa_kernarg_size 312
		.amdhsa_user_sgpr_count 2
		.amdhsa_user_sgpr_dispatch_ptr 0
		.amdhsa_user_sgpr_queue_ptr 0
		.amdhsa_user_sgpr_kernarg_segment_ptr 1
		.amdhsa_user_sgpr_dispatch_id 0
		.amdhsa_user_sgpr_private_segment_size 0
		.amdhsa_wavefront_size32 1
		.amdhsa_uses_dynamic_stack 0
		.amdhsa_enable_private_segment 0
		.amdhsa_system_sgpr_workgroup_id_x 1
		.amdhsa_system_sgpr_workgroup_id_y 1
		.amdhsa_system_sgpr_workgroup_id_z 1
		.amdhsa_system_sgpr_workgroup_info 0
		.amdhsa_system_vgpr_workitem_id 1
		.amdhsa_next_free_vgpr 11
		.amdhsa_next_free_sgpr 20
		.amdhsa_reserve_vcc 1
		.amdhsa_float_round_mode_32 0
		.amdhsa_float_round_mode_16_64 0
		.amdhsa_float_denorm_mode_32 3
		.amdhsa_float_denorm_mode_16_64 3
		.amdhsa_fp16_overflow 0
		.amdhsa_workgroup_processor_mode 1
		.amdhsa_memory_ordered 1
		.amdhsa_forward_progress 1
		.amdhsa_inst_pref_size 4
		.amdhsa_round_robin_scheduling 0
		.amdhsa_exception_fp_ieee_invalid_op 0
		.amdhsa_exception_fp_denorm_src 0
		.amdhsa_exception_fp_ieee_div_zero 0
		.amdhsa_exception_fp_ieee_overflow 0
		.amdhsa_exception_fp_ieee_underflow 0
		.amdhsa_exception_fp_ieee_inexact 0
		.amdhsa_exception_int_div_zero 0
	.end_amdhsa_kernel
	.section	.text._ZL44rocblas_set_matrix_zero_if_alpha_zero_kernelILi16ELi16EdPdEviiT1_lT2_lli,"axG",@progbits,_ZL44rocblas_set_matrix_zero_if_alpha_zero_kernelILi16ELi16EdPdEviiT1_lT2_lli,comdat
.Lfunc_end197:
	.size	_ZL44rocblas_set_matrix_zero_if_alpha_zero_kernelILi16ELi16EdPdEviiT1_lT2_lli, .Lfunc_end197-_ZL44rocblas_set_matrix_zero_if_alpha_zero_kernelILi16ELi16EdPdEviiT1_lT2_lli
                                        ; -- End function
	.set _ZL44rocblas_set_matrix_zero_if_alpha_zero_kernelILi16ELi16EdPdEviiT1_lT2_lli.num_vgpr, 11
	.set _ZL44rocblas_set_matrix_zero_if_alpha_zero_kernelILi16ELi16EdPdEviiT1_lT2_lli.num_agpr, 0
	.set _ZL44rocblas_set_matrix_zero_if_alpha_zero_kernelILi16ELi16EdPdEviiT1_lT2_lli.numbered_sgpr, 20
	.set _ZL44rocblas_set_matrix_zero_if_alpha_zero_kernelILi16ELi16EdPdEviiT1_lT2_lli.num_named_barrier, 0
	.set _ZL44rocblas_set_matrix_zero_if_alpha_zero_kernelILi16ELi16EdPdEviiT1_lT2_lli.private_seg_size, 0
	.set _ZL44rocblas_set_matrix_zero_if_alpha_zero_kernelILi16ELi16EdPdEviiT1_lT2_lli.uses_vcc, 1
	.set _ZL44rocblas_set_matrix_zero_if_alpha_zero_kernelILi16ELi16EdPdEviiT1_lT2_lli.uses_flat_scratch, 0
	.set _ZL44rocblas_set_matrix_zero_if_alpha_zero_kernelILi16ELi16EdPdEviiT1_lT2_lli.has_dyn_sized_stack, 0
	.set _ZL44rocblas_set_matrix_zero_if_alpha_zero_kernelILi16ELi16EdPdEviiT1_lT2_lli.has_recursion, 0
	.set _ZL44rocblas_set_matrix_zero_if_alpha_zero_kernelILi16ELi16EdPdEviiT1_lT2_lli.has_indirect_call, 0
	.section	.AMDGPU.csdata,"",@progbits
; Kernel info:
; codeLenInByte = 448
; TotalNumSgprs: 22
; NumVgprs: 11
; ScratchSize: 0
; MemoryBound: 0
; FloatMode: 240
; IeeeMode: 1
; LDSByteSize: 0 bytes/workgroup (compile time only)
; SGPRBlocks: 0
; VGPRBlocks: 1
; NumSGPRsForWavesPerEU: 22
; NumVGPRsForWavesPerEU: 11
; Occupancy: 16
; WaveLimiterHint : 0
; COMPUTE_PGM_RSRC2:SCRATCH_EN: 0
; COMPUTE_PGM_RSRC2:USER_SGPR: 2
; COMPUTE_PGM_RSRC2:TRAP_HANDLER: 0
; COMPUTE_PGM_RSRC2:TGID_X_EN: 1
; COMPUTE_PGM_RSRC2:TGID_Y_EN: 1
; COMPUTE_PGM_RSRC2:TGID_Z_EN: 1
; COMPUTE_PGM_RSRC2:TIDIG_COMP_CNT: 1
	.section	.text._ZL44rocblas_set_matrix_zero_if_alpha_zero_kernelILi16ELi16EPKdPKPdEviiT1_lT2_lli,"axG",@progbits,_ZL44rocblas_set_matrix_zero_if_alpha_zero_kernelILi16ELi16EPKdPKPdEviiT1_lT2_lli,comdat
	.globl	_ZL44rocblas_set_matrix_zero_if_alpha_zero_kernelILi16ELi16EPKdPKPdEviiT1_lT2_lli ; -- Begin function _ZL44rocblas_set_matrix_zero_if_alpha_zero_kernelILi16ELi16EPKdPKPdEviiT1_lT2_lli
	.p2align	8
	.type	_ZL44rocblas_set_matrix_zero_if_alpha_zero_kernelILi16ELi16EPKdPKPdEviiT1_lT2_lli,@function
_ZL44rocblas_set_matrix_zero_if_alpha_zero_kernelILi16ELi16EPKdPKPdEviiT1_lT2_lli: ; @_ZL44rocblas_set_matrix_zero_if_alpha_zero_kernelILi16ELi16EPKdPKPdEviiT1_lT2_lli
; %bb.0:
	s_load_b32 s20, s[0:1], 0x30
	s_lshr_b32 s12, ttmp7, 16
	s_wait_kmcnt 0x0
	s_cmp_ge_u32 s12, s20
	s_cbranch_scc1 .LBB198_6
; %bb.1:
	s_load_b256 s[4:11], s[0:1], 0x8
	v_bfe_u32 v1, v0, 10, 10
	s_and_b32 s2, ttmp7, 0xffff
	s_mov_b32 s13, 0
	v_dual_mov_b32 v3, 0 :: v_dual_and_b32 v0, 0x3ff, v0
	s_delay_alu instid0(VALU_DEP_2)
	v_lshl_add_u32 v1, s2, 4, v1
	s_clause 0x1
	s_load_b64 s[2:3], s[0:1], 0x0
	s_load_b64 s[16:17], s[0:1], 0x28
	v_mov_b32_e32 v7, v3
	s_wait_kmcnt 0x0
	v_mad_co_u64_u32 v[4:5], null, s10, v1, 0
	s_ashr_i32 s15, s3, 31
	s_lshl_b64 s[16:17], s[16:17], 3
	v_mov_b32_e32 v2, v5
	s_mov_b32 s14, s3
	s_ashr_i32 s19, s2, 31
	s_mov_b32 s18, s2
	s_delay_alu instid0(VALU_DEP_1) | instskip(SKIP_2) | instid1(VALU_DEP_2)
	v_mad_co_u64_u32 v[5:6], null, s11, v1, v[2:3]
	v_lshl_add_u32 v6, ttmp9, 4, v0
	v_mov_b32_e32 v2, v3
	v_lshlrev_b64_e32 v[8:9], 3, v[6:7]
	s_delay_alu instid0(VALU_DEP_4) | instskip(SKIP_1) | instid1(VALU_DEP_4)
	v_lshlrev_b64_e32 v[4:5], 3, v[4:5]
	v_cmp_gt_i64_e32 vcc_lo, s[18:19], v[6:7]
	v_cmp_gt_i64_e64 s2, s[14:15], v[1:2]
	s_delay_alu instid0(VALU_DEP_3) | instskip(SKIP_1) | instid1(VALU_DEP_4)
	v_add_co_u32 v0, s3, v4, s16
	s_wait_alu 0xf1ff
	v_add_co_ci_u32_e64 v4, null, s17, v5, s3
	s_add_nc_u64 s[16:17], s[0:1], 56
	v_add_co_u32 v0, s0, v0, v8
	s_wait_alu 0xf1ff
	v_add_co_ci_u32_e64 v9, null, v4, v9, s0
	s_and_b32 s1, s2, vcc_lo
	s_lshl_b64 s[2:3], s[10:11], 3
	s_branch .LBB198_3
.LBB198_2:                              ;   in Loop: Header=BB198_3 Depth=1
	s_or_b32 exec_lo, exec_lo, s21
	s_add_co_i32 s12, s12, 0x10000
	s_delay_alu instid0(SALU_CYCLE_1)
	s_cmp_lt_u32 s12, s20
	s_cbranch_scc0 .LBB198_6
.LBB198_3:                              ; =>This Loop Header: Depth=1
                                        ;     Child Loop BB198_5 Depth 2
	s_mul_u64 s[10:11], s[6:7], s[12:13]
	s_wait_alu 0xfffe
	s_lshl_b64 s[10:11], s[10:11], 3
	s_wait_alu 0xfffe
	s_add_nc_u64 s[10:11], s[4:5], s[10:11]
	global_load_b64 v[4:5], v3, s[10:11]
	s_wait_loadcnt 0x0
	v_cmp_eq_f64_e32 vcc_lo, 0, v[4:5]
	s_and_b32 s0, vcc_lo, s1
	s_wait_alu 0xfffe
	s_and_saveexec_b32 s21, s0
	s_cbranch_execz .LBB198_2
; %bb.4:                                ;   in Loop: Header=BB198_3 Depth=1
	s_lshl_b64 s[10:11], s[12:13], 3
	s_load_b32 s0, s[16:17], 0x4
	s_add_nc_u64 s[10:11], s[8:9], s[10:11]
	v_dual_mov_b32 v8, v2 :: v_dual_mov_b32 v7, v1
	s_load_b64 s[18:19], s[10:11], 0x0
	s_mov_b32 s11, s13
	s_wait_kmcnt 0x0
	s_lshl_b32 s10, s0, 4
	v_add_co_u32 v5, vcc_lo, s18, v0
	s_wait_alu 0xfffd
	v_add_co_ci_u32_e64 v6, null, s19, v9, vcc_lo
	s_wait_alu 0xfffe
	s_mul_u64 s[18:19], s[2:3], s[10:11]
	s_mov_b32 s11, 0
.LBB198_5:                              ;   Parent Loop BB198_3 Depth=1
                                        ; =>  This Inner Loop Header: Depth=2
	v_add_co_u32 v7, vcc_lo, v7, s10
	s_wait_alu 0xfffd
	v_add_co_ci_u32_e64 v8, null, 0, v8, vcc_lo
	v_mov_b32_e32 v4, v3
	s_delay_alu instid0(VALU_DEP_2)
	v_cmp_le_i64_e32 vcc_lo, s[14:15], v[7:8]
	flat_store_b64 v[5:6], v[3:4]
	s_wait_alu 0xfffe
	v_add_co_u32 v5, s0, v5, s18
	s_wait_alu 0xf1ff
	v_add_co_ci_u32_e64 v6, null, s19, v6, s0
	s_or_b32 s11, vcc_lo, s11
	s_wait_alu 0xfffe
	s_and_not1_b32 exec_lo, exec_lo, s11
	s_cbranch_execnz .LBB198_5
	s_branch .LBB198_2
.LBB198_6:
	s_endpgm
	.section	.rodata,"a",@progbits
	.p2align	6, 0x0
	.amdhsa_kernel _ZL44rocblas_set_matrix_zero_if_alpha_zero_kernelILi16ELi16EPKdPKPdEviiT1_lT2_lli
		.amdhsa_group_segment_fixed_size 0
		.amdhsa_private_segment_fixed_size 0
		.amdhsa_kernarg_size 312
		.amdhsa_user_sgpr_count 2
		.amdhsa_user_sgpr_dispatch_ptr 0
		.amdhsa_user_sgpr_queue_ptr 0
		.amdhsa_user_sgpr_kernarg_segment_ptr 1
		.amdhsa_user_sgpr_dispatch_id 0
		.amdhsa_user_sgpr_private_segment_size 0
		.amdhsa_wavefront_size32 1
		.amdhsa_uses_dynamic_stack 0
		.amdhsa_enable_private_segment 0
		.amdhsa_system_sgpr_workgroup_id_x 1
		.amdhsa_system_sgpr_workgroup_id_y 1
		.amdhsa_system_sgpr_workgroup_id_z 1
		.amdhsa_system_sgpr_workgroup_info 0
		.amdhsa_system_vgpr_workitem_id 1
		.amdhsa_next_free_vgpr 10
		.amdhsa_next_free_sgpr 22
		.amdhsa_reserve_vcc 1
		.amdhsa_float_round_mode_32 0
		.amdhsa_float_round_mode_16_64 0
		.amdhsa_float_denorm_mode_32 3
		.amdhsa_float_denorm_mode_16_64 3
		.amdhsa_fp16_overflow 0
		.amdhsa_workgroup_processor_mode 1
		.amdhsa_memory_ordered 1
		.amdhsa_forward_progress 1
		.amdhsa_inst_pref_size 4
		.amdhsa_round_robin_scheduling 0
		.amdhsa_exception_fp_ieee_invalid_op 0
		.amdhsa_exception_fp_denorm_src 0
		.amdhsa_exception_fp_ieee_div_zero 0
		.amdhsa_exception_fp_ieee_overflow 0
		.amdhsa_exception_fp_ieee_underflow 0
		.amdhsa_exception_fp_ieee_inexact 0
		.amdhsa_exception_int_div_zero 0
	.end_amdhsa_kernel
	.section	.text._ZL44rocblas_set_matrix_zero_if_alpha_zero_kernelILi16ELi16EPKdPKPdEviiT1_lT2_lli,"axG",@progbits,_ZL44rocblas_set_matrix_zero_if_alpha_zero_kernelILi16ELi16EPKdPKPdEviiT1_lT2_lli,comdat
.Lfunc_end198:
	.size	_ZL44rocblas_set_matrix_zero_if_alpha_zero_kernelILi16ELi16EPKdPKPdEviiT1_lT2_lli, .Lfunc_end198-_ZL44rocblas_set_matrix_zero_if_alpha_zero_kernelILi16ELi16EPKdPKPdEviiT1_lT2_lli
                                        ; -- End function
	.set _ZL44rocblas_set_matrix_zero_if_alpha_zero_kernelILi16ELi16EPKdPKPdEviiT1_lT2_lli.num_vgpr, 10
	.set _ZL44rocblas_set_matrix_zero_if_alpha_zero_kernelILi16ELi16EPKdPKPdEviiT1_lT2_lli.num_agpr, 0
	.set _ZL44rocblas_set_matrix_zero_if_alpha_zero_kernelILi16ELi16EPKdPKPdEviiT1_lT2_lli.numbered_sgpr, 22
	.set _ZL44rocblas_set_matrix_zero_if_alpha_zero_kernelILi16ELi16EPKdPKPdEviiT1_lT2_lli.num_named_barrier, 0
	.set _ZL44rocblas_set_matrix_zero_if_alpha_zero_kernelILi16ELi16EPKdPKPdEviiT1_lT2_lli.private_seg_size, 0
	.set _ZL44rocblas_set_matrix_zero_if_alpha_zero_kernelILi16ELi16EPKdPKPdEviiT1_lT2_lli.uses_vcc, 1
	.set _ZL44rocblas_set_matrix_zero_if_alpha_zero_kernelILi16ELi16EPKdPKPdEviiT1_lT2_lli.uses_flat_scratch, 0
	.set _ZL44rocblas_set_matrix_zero_if_alpha_zero_kernelILi16ELi16EPKdPKPdEviiT1_lT2_lli.has_dyn_sized_stack, 0
	.set _ZL44rocblas_set_matrix_zero_if_alpha_zero_kernelILi16ELi16EPKdPKPdEviiT1_lT2_lli.has_recursion, 0
	.set _ZL44rocblas_set_matrix_zero_if_alpha_zero_kernelILi16ELi16EPKdPKPdEviiT1_lT2_lli.has_indirect_call, 0
	.section	.AMDGPU.csdata,"",@progbits
; Kernel info:
; codeLenInByte = 492
; TotalNumSgprs: 24
; NumVgprs: 10
; ScratchSize: 0
; MemoryBound: 0
; FloatMode: 240
; IeeeMode: 1
; LDSByteSize: 0 bytes/workgroup (compile time only)
; SGPRBlocks: 0
; VGPRBlocks: 1
; NumSGPRsForWavesPerEU: 24
; NumVGPRsForWavesPerEU: 10
; Occupancy: 16
; WaveLimiterHint : 0
; COMPUTE_PGM_RSRC2:SCRATCH_EN: 0
; COMPUTE_PGM_RSRC2:USER_SGPR: 2
; COMPUTE_PGM_RSRC2:TRAP_HANDLER: 0
; COMPUTE_PGM_RSRC2:TGID_X_EN: 1
; COMPUTE_PGM_RSRC2:TGID_Y_EN: 1
; COMPUTE_PGM_RSRC2:TGID_Z_EN: 1
; COMPUTE_PGM_RSRC2:TIDIG_COMP_CNT: 1
	.section	.text._ZL44rocblas_set_matrix_zero_if_alpha_zero_kernelILi16ELi16EdPKPdEviiT1_lT2_lli,"axG",@progbits,_ZL44rocblas_set_matrix_zero_if_alpha_zero_kernelILi16ELi16EdPKPdEviiT1_lT2_lli,comdat
	.globl	_ZL44rocblas_set_matrix_zero_if_alpha_zero_kernelILi16ELi16EdPKPdEviiT1_lT2_lli ; -- Begin function _ZL44rocblas_set_matrix_zero_if_alpha_zero_kernelILi16ELi16EdPKPdEviiT1_lT2_lli
	.p2align	8
	.type	_ZL44rocblas_set_matrix_zero_if_alpha_zero_kernelILi16ELi16EdPKPdEviiT1_lT2_lli,@function
_ZL44rocblas_set_matrix_zero_if_alpha_zero_kernelILi16ELi16EdPKPdEviiT1_lT2_lli: ; @_ZL44rocblas_set_matrix_zero_if_alpha_zero_kernelILi16ELi16EdPKPdEviiT1_lT2_lli
; %bb.0:
	s_load_b32 s16, s[0:1], 0x30
	s_lshr_b32 s2, ttmp7, 16
	s_wait_kmcnt 0x0
	s_cmp_ge_u32 s2, s16
	s_cbranch_scc1 .LBB199_6
; %bb.1:
	s_clause 0x1
	s_load_b128 s[4:7], s[0:1], 0x18
	s_load_b128 s[8:11], s[0:1], 0x0
	v_bfe_u32 v1, v0, 10, 10
	s_and_b32 s3, ttmp7, 0xffff
	s_load_b64 s[14:15], s[0:1], 0x28
	v_dual_mov_b32 v3, 0 :: v_dual_and_b32 v0, 0x3ff, v0
	s_delay_alu instid0(VALU_DEP_2) | instskip(NEXT) | instid1(VALU_DEP_2)
	v_lshl_add_u32 v1, s3, 4, v1
	v_mov_b32_e32 v7, v3
	s_wait_kmcnt 0x0
	s_delay_alu instid0(VALU_DEP_2)
	v_mad_co_u64_u32 v[4:5], null, s6, v1, 0
	v_cmp_eq_f64_e64 s3, s[10:11], 0
	s_add_nc_u64 s[10:11], s[0:1], 56
	s_ashr_i32 s1, s8, 31
	s_mov_b32 s0, s8
	s_ashr_i32 s13, s9, 31
	s_mov_b32 s12, s9
	v_mov_b32_e32 v2, v5
	s_lshl_b64 s[8:9], s[14:15], 3
	s_delay_alu instid0(VALU_DEP_1) | instskip(SKIP_3) | instid1(VALU_DEP_2)
	v_mad_co_u64_u32 v[5:6], null, s7, v1, v[2:3]
	v_lshl_add_u32 v6, ttmp9, 4, v0
	v_mov_b32_e32 v2, v3
	s_lshl_b64 s[6:7], s[6:7], 3
	v_lshlrev_b64_e32 v[8:9], 3, v[6:7]
	s_delay_alu instid0(VALU_DEP_4) | instskip(SKIP_2) | instid1(VALU_DEP_3)
	v_lshlrev_b64_e32 v[4:5], 3, v[4:5]
	v_cmp_gt_i64_e32 vcc_lo, s[0:1], v[6:7]
	v_cmp_gt_i64_e64 s0, s[12:13], v[1:2]
	v_add_co_u32 v0, s1, v4, s8
	s_wait_alu 0xf1ff
	s_delay_alu instid0(VALU_DEP_4) | instskip(SKIP_2) | instid1(VALU_DEP_1)
	v_add_co_ci_u32_e64 v4, null, s9, v5, s1
	s_and_b32 s0, s0, vcc_lo
	v_add_co_u32 v0, vcc_lo, v0, v8
	v_add_co_ci_u32_e64 v9, null, v4, v9, vcc_lo
	s_mov_b32 s9, 0
	s_wait_alu 0xfffe
	s_and_b32 s1, s0, s3
	s_branch .LBB199_3
.LBB199_2:                              ;   in Loop: Header=BB199_3 Depth=1
	s_or_b32 exec_lo, exec_lo, s17
	s_add_co_i32 s2, s2, 0x10000
	s_wait_alu 0xfffe
	s_cmp_lt_u32 s2, s16
	s_cbranch_scc0 .LBB199_6
.LBB199_3:                              ; =>This Loop Header: Depth=1
                                        ;     Child Loop BB199_5 Depth 2
	s_wait_alu 0xfffe
	s_and_saveexec_b32 s17, s1
	s_cbranch_execz .LBB199_2
; %bb.4:                                ;   in Loop: Header=BB199_3 Depth=1
	s_mov_b32 s3, s9
	s_load_b32 s0, s[10:11], 0x4
	s_lshl_b64 s[14:15], s[2:3], 3
	v_dual_mov_b32 v8, v2 :: v_dual_mov_b32 v7, v1
	s_wait_alu 0xfffe
	s_add_nc_u64 s[14:15], s[4:5], s[14:15]
	s_mov_b32 s3, 0
	s_load_b64 s[14:15], s[14:15], 0x0
	s_wait_kmcnt 0x0
	s_lshl_b32 s8, s0, 4
	v_add_co_u32 v5, vcc_lo, s14, v0
	s_wait_alu 0xfffd
	v_add_co_ci_u32_e64 v6, null, s15, v9, vcc_lo
	s_wait_alu 0xfffe
	s_mul_u64 s[14:15], s[6:7], s[8:9]
.LBB199_5:                              ;   Parent Loop BB199_3 Depth=1
                                        ; =>  This Inner Loop Header: Depth=2
	v_add_co_u32 v7, vcc_lo, v7, s8
	s_wait_alu 0xfffd
	v_add_co_ci_u32_e64 v8, null, 0, v8, vcc_lo
	v_mov_b32_e32 v4, v3
	s_delay_alu instid0(VALU_DEP_2)
	v_cmp_le_i64_e32 vcc_lo, s[12:13], v[7:8]
	flat_store_b64 v[5:6], v[3:4]
	s_wait_alu 0xfffe
	v_add_co_u32 v5, s0, v5, s14
	s_wait_alu 0xf1ff
	v_add_co_ci_u32_e64 v6, null, s15, v6, s0
	s_or_b32 s3, vcc_lo, s3
	s_wait_alu 0xfffe
	s_and_not1_b32 exec_lo, exec_lo, s3
	s_cbranch_execnz .LBB199_5
	s_branch .LBB199_2
.LBB199_6:
	s_endpgm
	.section	.rodata,"a",@progbits
	.p2align	6, 0x0
	.amdhsa_kernel _ZL44rocblas_set_matrix_zero_if_alpha_zero_kernelILi16ELi16EdPKPdEviiT1_lT2_lli
		.amdhsa_group_segment_fixed_size 0
		.amdhsa_private_segment_fixed_size 0
		.amdhsa_kernarg_size 312
		.amdhsa_user_sgpr_count 2
		.amdhsa_user_sgpr_dispatch_ptr 0
		.amdhsa_user_sgpr_queue_ptr 0
		.amdhsa_user_sgpr_kernarg_segment_ptr 1
		.amdhsa_user_sgpr_dispatch_id 0
		.amdhsa_user_sgpr_private_segment_size 0
		.amdhsa_wavefront_size32 1
		.amdhsa_uses_dynamic_stack 0
		.amdhsa_enable_private_segment 0
		.amdhsa_system_sgpr_workgroup_id_x 1
		.amdhsa_system_sgpr_workgroup_id_y 1
		.amdhsa_system_sgpr_workgroup_id_z 1
		.amdhsa_system_sgpr_workgroup_info 0
		.amdhsa_system_vgpr_workitem_id 1
		.amdhsa_next_free_vgpr 10
		.amdhsa_next_free_sgpr 18
		.amdhsa_reserve_vcc 1
		.amdhsa_float_round_mode_32 0
		.amdhsa_float_round_mode_16_64 0
		.amdhsa_float_denorm_mode_32 3
		.amdhsa_float_denorm_mode_16_64 3
		.amdhsa_fp16_overflow 0
		.amdhsa_workgroup_processor_mode 1
		.amdhsa_memory_ordered 1
		.amdhsa_forward_progress 1
		.amdhsa_inst_pref_size 4
		.amdhsa_round_robin_scheduling 0
		.amdhsa_exception_fp_ieee_invalid_op 0
		.amdhsa_exception_fp_denorm_src 0
		.amdhsa_exception_fp_ieee_div_zero 0
		.amdhsa_exception_fp_ieee_overflow 0
		.amdhsa_exception_fp_ieee_underflow 0
		.amdhsa_exception_fp_ieee_inexact 0
		.amdhsa_exception_int_div_zero 0
	.end_amdhsa_kernel
	.section	.text._ZL44rocblas_set_matrix_zero_if_alpha_zero_kernelILi16ELi16EdPKPdEviiT1_lT2_lli,"axG",@progbits,_ZL44rocblas_set_matrix_zero_if_alpha_zero_kernelILi16ELi16EdPKPdEviiT1_lT2_lli,comdat
.Lfunc_end199:
	.size	_ZL44rocblas_set_matrix_zero_if_alpha_zero_kernelILi16ELi16EdPKPdEviiT1_lT2_lli, .Lfunc_end199-_ZL44rocblas_set_matrix_zero_if_alpha_zero_kernelILi16ELi16EdPKPdEviiT1_lT2_lli
                                        ; -- End function
	.set _ZL44rocblas_set_matrix_zero_if_alpha_zero_kernelILi16ELi16EdPKPdEviiT1_lT2_lli.num_vgpr, 10
	.set _ZL44rocblas_set_matrix_zero_if_alpha_zero_kernelILi16ELi16EdPKPdEviiT1_lT2_lli.num_agpr, 0
	.set _ZL44rocblas_set_matrix_zero_if_alpha_zero_kernelILi16ELi16EdPKPdEviiT1_lT2_lli.numbered_sgpr, 18
	.set _ZL44rocblas_set_matrix_zero_if_alpha_zero_kernelILi16ELi16EdPKPdEviiT1_lT2_lli.num_named_barrier, 0
	.set _ZL44rocblas_set_matrix_zero_if_alpha_zero_kernelILi16ELi16EdPKPdEviiT1_lT2_lli.private_seg_size, 0
	.set _ZL44rocblas_set_matrix_zero_if_alpha_zero_kernelILi16ELi16EdPKPdEviiT1_lT2_lli.uses_vcc, 1
	.set _ZL44rocblas_set_matrix_zero_if_alpha_zero_kernelILi16ELi16EdPKPdEviiT1_lT2_lli.uses_flat_scratch, 0
	.set _ZL44rocblas_set_matrix_zero_if_alpha_zero_kernelILi16ELi16EdPKPdEviiT1_lT2_lli.has_dyn_sized_stack, 0
	.set _ZL44rocblas_set_matrix_zero_if_alpha_zero_kernelILi16ELi16EdPKPdEviiT1_lT2_lli.has_recursion, 0
	.set _ZL44rocblas_set_matrix_zero_if_alpha_zero_kernelILi16ELi16EdPKPdEviiT1_lT2_lli.has_indirect_call, 0
	.section	.AMDGPU.csdata,"",@progbits
; Kernel info:
; codeLenInByte = 468
; TotalNumSgprs: 20
; NumVgprs: 10
; ScratchSize: 0
; MemoryBound: 0
; FloatMode: 240
; IeeeMode: 1
; LDSByteSize: 0 bytes/workgroup (compile time only)
; SGPRBlocks: 0
; VGPRBlocks: 1
; NumSGPRsForWavesPerEU: 20
; NumVGPRsForWavesPerEU: 10
; Occupancy: 16
; WaveLimiterHint : 0
; COMPUTE_PGM_RSRC2:SCRATCH_EN: 0
; COMPUTE_PGM_RSRC2:USER_SGPR: 2
; COMPUTE_PGM_RSRC2:TRAP_HANDLER: 0
; COMPUTE_PGM_RSRC2:TGID_X_EN: 1
; COMPUTE_PGM_RSRC2:TGID_Y_EN: 1
; COMPUTE_PGM_RSRC2:TGID_Z_EN: 1
; COMPUTE_PGM_RSRC2:TIDIG_COMP_CNT: 1
	.section	.text._ZL44rocblas_set_matrix_zero_if_alpha_zero_kernelILi16ELi16EPK19rocblas_complex_numIfEPKPS1_EviiT1_lT2_lli,"axG",@progbits,_ZL44rocblas_set_matrix_zero_if_alpha_zero_kernelILi16ELi16EPK19rocblas_complex_numIfEPKPS1_EviiT1_lT2_lli,comdat
	.globl	_ZL44rocblas_set_matrix_zero_if_alpha_zero_kernelILi16ELi16EPK19rocblas_complex_numIfEPKPS1_EviiT1_lT2_lli ; -- Begin function _ZL44rocblas_set_matrix_zero_if_alpha_zero_kernelILi16ELi16EPK19rocblas_complex_numIfEPKPS1_EviiT1_lT2_lli
	.p2align	8
	.type	_ZL44rocblas_set_matrix_zero_if_alpha_zero_kernelILi16ELi16EPK19rocblas_complex_numIfEPKPS1_EviiT1_lT2_lli,@function
_ZL44rocblas_set_matrix_zero_if_alpha_zero_kernelILi16ELi16EPK19rocblas_complex_numIfEPKPS1_EviiT1_lT2_lli: ; @_ZL44rocblas_set_matrix_zero_if_alpha_zero_kernelILi16ELi16EPK19rocblas_complex_numIfEPKPS1_EviiT1_lT2_lli
; %bb.0:
	s_load_b32 s22, s[0:1], 0x30
	s_lshr_b32 s12, ttmp7, 16
	s_wait_kmcnt 0x0
	s_cmp_ge_u32 s12, s22
	s_cbranch_scc1 .LBB200_6
; %bb.1:
	s_load_b256 s[4:11], s[0:1], 0x8
	v_bfe_u32 v1, v0, 10, 10
	s_and_b32 s2, ttmp7, 0xffff
	s_mov_b32 s13, 0
	v_dual_mov_b32 v3, 0 :: v_dual_and_b32 v0, 0x3ff, v0
	s_delay_alu instid0(VALU_DEP_2)
	v_lshl_add_u32 v1, s2, 4, v1
	s_clause 0x1
	s_load_b64 s[2:3], s[0:1], 0x0
	s_load_b64 s[16:17], s[0:1], 0x28
	v_mov_b32_e32 v7, v3
	s_wait_kmcnt 0x0
	v_mad_co_u64_u32 v[4:5], null, s10, v1, 0
	s_ashr_i32 s15, s3, 31
	s_lshl_b64 s[16:17], s[16:17], 3
	v_mov_b32_e32 v2, v5
	s_mov_b32 s14, s3
	s_ashr_i32 s19, s2, 31
	s_mov_b32 s18, s2
	s_delay_alu instid0(VALU_DEP_1) | instskip(SKIP_2) | instid1(VALU_DEP_2)
	v_mad_co_u64_u32 v[5:6], null, s11, v1, v[2:3]
	v_lshl_add_u32 v6, ttmp9, 4, v0
	v_mov_b32_e32 v2, v3
	v_lshlrev_b64_e32 v[8:9], 3, v[6:7]
	s_delay_alu instid0(VALU_DEP_4) | instskip(SKIP_1) | instid1(VALU_DEP_4)
	v_lshlrev_b64_e32 v[4:5], 3, v[4:5]
	v_cmp_gt_i64_e32 vcc_lo, s[18:19], v[6:7]
	v_cmp_gt_i64_e64 s2, s[14:15], v[1:2]
	s_delay_alu instid0(VALU_DEP_3) | instskip(SKIP_1) | instid1(VALU_DEP_4)
	v_add_co_u32 v0, s3, v4, s16
	s_wait_alu 0xf1ff
	v_add_co_ci_u32_e64 v4, null, s17, v5, s3
	s_add_nc_u64 s[16:17], s[0:1], 56
	v_add_co_u32 v5, s0, v0, v8
	s_wait_alu 0xf1ff
	v_add_co_ci_u32_e64 v6, null, v4, v9, s0
	s_and_b32 s1, s2, vcc_lo
	s_lshl_b64 s[2:3], s[10:11], 3
	s_branch .LBB200_3
.LBB200_2:                              ;   in Loop: Header=BB200_3 Depth=1
	s_or_b32 exec_lo, exec_lo, s23
	s_add_co_i32 s12, s12, 0x10000
	s_delay_alu instid0(SALU_CYCLE_1)
	s_cmp_lt_u32 s12, s22
	s_cbranch_scc0 .LBB200_6
.LBB200_3:                              ; =>This Loop Header: Depth=1
                                        ;     Child Loop BB200_5 Depth 2
	s_mul_u64 s[10:11], s[6:7], s[12:13]
	s_wait_alu 0xfffe
	s_lshl_b64 s[10:11], s[10:11], 3
	s_wait_alu 0xfffe
	s_add_nc_u64 s[10:11], s[4:5], s[10:11]
	global_load_b64 v[7:8], v3, s[10:11]
	s_wait_loadcnt 0x0
	v_readfirstlane_b32 s0, v7
	v_readfirstlane_b32 s10, v8
	s_cmp_eq_f32 s0, 0
	s_cselect_b32 s0, -1, 0
	s_wait_alu 0xfffe
	s_cmp_eq_f32 s10, 0
	s_cselect_b32 s10, -1, 0
	s_wait_alu 0xfffe
	s_and_b32 s0, s0, s10
	s_wait_alu 0xfffe
	s_and_b32 s0, s0, s1
	s_wait_alu 0xfffe
	s_and_saveexec_b32 s23, s0
	s_cbranch_execz .LBB200_2
; %bb.4:                                ;   in Loop: Header=BB200_3 Depth=1
	s_load_b32 s0, s[16:17], 0x4
	v_dual_mov_b32 v8, v6 :: v_dual_mov_b32 v7, v5
	v_dual_mov_b32 v10, v2 :: v_dual_mov_b32 v9, v1
	s_lshl_b64 s[18:19], s[12:13], 3
	s_mov_b32 s11, s13
	s_wait_alu 0xfffe
	s_add_nc_u64 s[18:19], s[8:9], s[18:19]
	s_wait_kmcnt 0x0
	s_lshl_b32 s10, s0, 4
	s_wait_alu 0xfffe
	s_mul_u64 s[20:21], s[2:3], s[10:11]
	s_mov_b32 s11, 0
.LBB200_5:                              ;   Parent Loop BB200_3 Depth=1
                                        ; =>  This Inner Loop Header: Depth=2
	global_load_b64 v[11:12], v3, s[18:19]
	v_add_co_u32 v9, vcc_lo, v9, s10
	s_wait_alu 0xfffd
	v_add_co_ci_u32_e64 v10, null, 0, v10, vcc_lo
	v_mov_b32_e32 v4, v3
	s_delay_alu instid0(VALU_DEP_2)
	v_cmp_le_i64_e32 vcc_lo, s[14:15], v[9:10]
	s_wait_alu 0xfffe
	s_or_b32 s11, vcc_lo, s11
	s_wait_loadcnt 0x0
	v_add_co_u32 v11, s0, v11, v7
	s_wait_alu 0xf1ff
	v_add_co_ci_u32_e64 v12, null, v12, v8, s0
	v_add_co_u32 v7, s0, v7, s20
	s_wait_alu 0xf1ff
	v_add_co_ci_u32_e64 v8, null, s21, v8, s0
	flat_store_b64 v[11:12], v[3:4]
	s_wait_alu 0xfffe
	s_and_not1_b32 exec_lo, exec_lo, s11
	s_cbranch_execnz .LBB200_5
	s_branch .LBB200_2
.LBB200_6:
	s_endpgm
	.section	.rodata,"a",@progbits
	.p2align	6, 0x0
	.amdhsa_kernel _ZL44rocblas_set_matrix_zero_if_alpha_zero_kernelILi16ELi16EPK19rocblas_complex_numIfEPKPS1_EviiT1_lT2_lli
		.amdhsa_group_segment_fixed_size 0
		.amdhsa_private_segment_fixed_size 0
		.amdhsa_kernarg_size 312
		.amdhsa_user_sgpr_count 2
		.amdhsa_user_sgpr_dispatch_ptr 0
		.amdhsa_user_sgpr_queue_ptr 0
		.amdhsa_user_sgpr_kernarg_segment_ptr 1
		.amdhsa_user_sgpr_dispatch_id 0
		.amdhsa_user_sgpr_private_segment_size 0
		.amdhsa_wavefront_size32 1
		.amdhsa_uses_dynamic_stack 0
		.amdhsa_enable_private_segment 0
		.amdhsa_system_sgpr_workgroup_id_x 1
		.amdhsa_system_sgpr_workgroup_id_y 1
		.amdhsa_system_sgpr_workgroup_id_z 1
		.amdhsa_system_sgpr_workgroup_info 0
		.amdhsa_system_vgpr_workitem_id 1
		.amdhsa_next_free_vgpr 13
		.amdhsa_next_free_sgpr 24
		.amdhsa_reserve_vcc 1
		.amdhsa_float_round_mode_32 0
		.amdhsa_float_round_mode_16_64 0
		.amdhsa_float_denorm_mode_32 3
		.amdhsa_float_denorm_mode_16_64 3
		.amdhsa_fp16_overflow 0
		.amdhsa_workgroup_processor_mode 1
		.amdhsa_memory_ordered 1
		.amdhsa_forward_progress 1
		.amdhsa_inst_pref_size 5
		.amdhsa_round_robin_scheduling 0
		.amdhsa_exception_fp_ieee_invalid_op 0
		.amdhsa_exception_fp_denorm_src 0
		.amdhsa_exception_fp_ieee_div_zero 0
		.amdhsa_exception_fp_ieee_overflow 0
		.amdhsa_exception_fp_ieee_underflow 0
		.amdhsa_exception_fp_ieee_inexact 0
		.amdhsa_exception_int_div_zero 0
	.end_amdhsa_kernel
	.section	.text._ZL44rocblas_set_matrix_zero_if_alpha_zero_kernelILi16ELi16EPK19rocblas_complex_numIfEPKPS1_EviiT1_lT2_lli,"axG",@progbits,_ZL44rocblas_set_matrix_zero_if_alpha_zero_kernelILi16ELi16EPK19rocblas_complex_numIfEPKPS1_EviiT1_lT2_lli,comdat
.Lfunc_end200:
	.size	_ZL44rocblas_set_matrix_zero_if_alpha_zero_kernelILi16ELi16EPK19rocblas_complex_numIfEPKPS1_EviiT1_lT2_lli, .Lfunc_end200-_ZL44rocblas_set_matrix_zero_if_alpha_zero_kernelILi16ELi16EPK19rocblas_complex_numIfEPKPS1_EviiT1_lT2_lli
                                        ; -- End function
	.set _ZL44rocblas_set_matrix_zero_if_alpha_zero_kernelILi16ELi16EPK19rocblas_complex_numIfEPKPS1_EviiT1_lT2_lli.num_vgpr, 13
	.set _ZL44rocblas_set_matrix_zero_if_alpha_zero_kernelILi16ELi16EPK19rocblas_complex_numIfEPKPS1_EviiT1_lT2_lli.num_agpr, 0
	.set _ZL44rocblas_set_matrix_zero_if_alpha_zero_kernelILi16ELi16EPK19rocblas_complex_numIfEPKPS1_EviiT1_lT2_lli.numbered_sgpr, 24
	.set _ZL44rocblas_set_matrix_zero_if_alpha_zero_kernelILi16ELi16EPK19rocblas_complex_numIfEPKPS1_EviiT1_lT2_lli.num_named_barrier, 0
	.set _ZL44rocblas_set_matrix_zero_if_alpha_zero_kernelILi16ELi16EPK19rocblas_complex_numIfEPKPS1_EviiT1_lT2_lli.private_seg_size, 0
	.set _ZL44rocblas_set_matrix_zero_if_alpha_zero_kernelILi16ELi16EPK19rocblas_complex_numIfEPKPS1_EviiT1_lT2_lli.uses_vcc, 1
	.set _ZL44rocblas_set_matrix_zero_if_alpha_zero_kernelILi16ELi16EPK19rocblas_complex_numIfEPKPS1_EviiT1_lT2_lli.uses_flat_scratch, 0
	.set _ZL44rocblas_set_matrix_zero_if_alpha_zero_kernelILi16ELi16EPK19rocblas_complex_numIfEPKPS1_EviiT1_lT2_lli.has_dyn_sized_stack, 0
	.set _ZL44rocblas_set_matrix_zero_if_alpha_zero_kernelILi16ELi16EPK19rocblas_complex_numIfEPKPS1_EviiT1_lT2_lli.has_recursion, 0
	.set _ZL44rocblas_set_matrix_zero_if_alpha_zero_kernelILi16ELi16EPK19rocblas_complex_numIfEPKPS1_EviiT1_lT2_lli.has_indirect_call, 0
	.section	.AMDGPU.csdata,"",@progbits
; Kernel info:
; codeLenInByte = 548
; TotalNumSgprs: 26
; NumVgprs: 13
; ScratchSize: 0
; MemoryBound: 0
; FloatMode: 240
; IeeeMode: 1
; LDSByteSize: 0 bytes/workgroup (compile time only)
; SGPRBlocks: 0
; VGPRBlocks: 1
; NumSGPRsForWavesPerEU: 26
; NumVGPRsForWavesPerEU: 13
; Occupancy: 16
; WaveLimiterHint : 1
; COMPUTE_PGM_RSRC2:SCRATCH_EN: 0
; COMPUTE_PGM_RSRC2:USER_SGPR: 2
; COMPUTE_PGM_RSRC2:TRAP_HANDLER: 0
; COMPUTE_PGM_RSRC2:TGID_X_EN: 1
; COMPUTE_PGM_RSRC2:TGID_Y_EN: 1
; COMPUTE_PGM_RSRC2:TGID_Z_EN: 1
; COMPUTE_PGM_RSRC2:TIDIG_COMP_CNT: 1
	.section	.text._ZL44rocblas_set_matrix_zero_if_alpha_zero_kernelILi16ELi16E19rocblas_complex_numIfEPKPS1_EviiT1_lT2_lli,"axG",@progbits,_ZL44rocblas_set_matrix_zero_if_alpha_zero_kernelILi16ELi16E19rocblas_complex_numIfEPKPS1_EviiT1_lT2_lli,comdat
	.globl	_ZL44rocblas_set_matrix_zero_if_alpha_zero_kernelILi16ELi16E19rocblas_complex_numIfEPKPS1_EviiT1_lT2_lli ; -- Begin function _ZL44rocblas_set_matrix_zero_if_alpha_zero_kernelILi16ELi16E19rocblas_complex_numIfEPKPS1_EviiT1_lT2_lli
	.p2align	8
	.type	_ZL44rocblas_set_matrix_zero_if_alpha_zero_kernelILi16ELi16E19rocblas_complex_numIfEPKPS1_EviiT1_lT2_lli,@function
_ZL44rocblas_set_matrix_zero_if_alpha_zero_kernelILi16ELi16E19rocblas_complex_numIfEPKPS1_EviiT1_lT2_lli: ; @_ZL44rocblas_set_matrix_zero_if_alpha_zero_kernelILi16ELi16E19rocblas_complex_numIfEPKPS1_EviiT1_lT2_lli
; %bb.0:
	s_load_b32 s18, s[0:1], 0x30
	s_lshr_b32 s12, ttmp7, 16
	s_wait_kmcnt 0x0
	s_cmp_ge_u32 s12, s18
	s_cbranch_scc1 .LBB201_6
; %bb.1:
	s_clause 0x1
	s_load_b128 s[8:11], s[0:1], 0x0
	s_load_b128 s[4:7], s[0:1], 0x18
	v_bfe_u32 v1, v0, 10, 10
	v_dual_mov_b32 v3, 0 :: v_dual_and_b32 v0, 0x3ff, v0
	s_delay_alu instid0(VALU_DEP_1)
	v_mov_b32_e32 v7, v3
	s_wait_kmcnt 0x0
	s_cmp_eq_f32 s10, 0
	s_mov_b32 s14, s9
	s_mov_b32 s16, s8
	s_cselect_b32 s10, -1, 0
	s_cmp_eq_f32 s11, 0
	s_mov_b32 s11, 0
	s_cselect_b32 s13, -1, 0
	s_and_b32 s2, ttmp7, 0xffff
	s_ashr_i32 s15, s9, 31
	v_lshl_add_u32 v1, s2, 4, v1
	s_load_b64 s[2:3], s[0:1], 0x28
	s_ashr_i32 s17, s8, 31
	s_and_b32 s10, s10, s13
	s_delay_alu instid0(VALU_DEP_1) | instskip(NEXT) | instid1(VALU_DEP_1)
	v_mad_co_u64_u32 v[4:5], null, s6, v1, 0
	v_mov_b32_e32 v2, v5
	s_delay_alu instid0(VALU_DEP_1) | instskip(SKIP_4) | instid1(VALU_DEP_2)
	v_mad_co_u64_u32 v[5:6], null, s7, v1, v[2:3]
	v_lshl_add_u32 v6, ttmp9, 4, v0
	v_mov_b32_e32 v2, v3
	s_wait_kmcnt 0x0
	s_lshl_b64 s[8:9], s[2:3], 3
	v_lshlrev_b64_e32 v[8:9], 3, v[6:7]
	s_delay_alu instid0(VALU_DEP_4) | instskip(SKIP_2) | instid1(VALU_DEP_3)
	v_lshlrev_b64_e32 v[4:5], 3, v[4:5]
	v_cmp_gt_i64_e32 vcc_lo, s[14:15], v[1:2]
	v_cmp_gt_i64_e64 s2, s[16:17], v[6:7]
	v_add_co_u32 v0, s3, v4, s8
	s_wait_alu 0xf1ff
	s_delay_alu instid0(VALU_DEP_4) | instskip(SKIP_2) | instid1(VALU_DEP_1)
	v_add_co_ci_u32_e64 v4, null, s9, v5, s3
	s_and_b32 s3, vcc_lo, s10
	v_add_co_u32 v5, vcc_lo, v0, v8
	v_add_co_ci_u32_e64 v6, null, v4, v9, vcc_lo
	s_add_nc_u64 s[8:9], s[0:1], 56
	s_wait_alu 0xfffe
	s_and_b32 s1, s3, s2
	s_lshl_b64 s[2:3], s[6:7], 3
	s_branch .LBB201_3
.LBB201_2:                              ;   in Loop: Header=BB201_3 Depth=1
	s_or_b32 exec_lo, exec_lo, s19
	s_add_co_i32 s12, s12, 0x10000
	s_delay_alu instid0(SALU_CYCLE_1)
	s_cmp_lt_u32 s12, s18
	s_cbranch_scc0 .LBB201_6
.LBB201_3:                              ; =>This Loop Header: Depth=1
                                        ;     Child Loop BB201_5 Depth 2
	s_wait_alu 0xfffe
	s_and_saveexec_b32 s19, s1
	s_cbranch_execz .LBB201_2
; %bb.4:                                ;   in Loop: Header=BB201_3 Depth=1
	s_load_b32 s0, s[8:9], 0x4
	s_mov_b32 s13, s11
	v_dual_mov_b32 v8, v6 :: v_dual_mov_b32 v7, v5
	v_dual_mov_b32 v10, v2 :: v_dual_mov_b32 v9, v1
	s_lshl_b64 s[6:7], s[12:13], 3
	s_mov_b32 s13, 0
	s_wait_alu 0xfffe
	s_add_nc_u64 s[6:7], s[4:5], s[6:7]
	s_wait_kmcnt 0x0
	s_lshl_b32 s10, s0, 4
	s_wait_alu 0xfffe
	s_mul_u64 s[16:17], s[2:3], s[10:11]
.LBB201_5:                              ;   Parent Loop BB201_3 Depth=1
                                        ; =>  This Inner Loop Header: Depth=2
	global_load_b64 v[11:12], v3, s[6:7]
	v_add_co_u32 v9, vcc_lo, v9, s10
	s_wait_alu 0xfffd
	v_add_co_ci_u32_e64 v10, null, 0, v10, vcc_lo
	v_mov_b32_e32 v4, v3
	s_delay_alu instid0(VALU_DEP_2)
	v_cmp_le_i64_e32 vcc_lo, s[14:15], v[9:10]
	s_or_b32 s13, vcc_lo, s13
	s_wait_loadcnt 0x0
	v_add_co_u32 v11, s0, v11, v7
	s_wait_alu 0xf1ff
	v_add_co_ci_u32_e64 v12, null, v12, v8, s0
	s_wait_alu 0xfffe
	v_add_co_u32 v7, s0, v7, s16
	s_wait_alu 0xf1ff
	v_add_co_ci_u32_e64 v8, null, s17, v8, s0
	flat_store_b64 v[11:12], v[3:4]
	s_and_not1_b32 exec_lo, exec_lo, s13
	s_cbranch_execnz .LBB201_5
	s_branch .LBB201_2
.LBB201_6:
	s_endpgm
	.section	.rodata,"a",@progbits
	.p2align	6, 0x0
	.amdhsa_kernel _ZL44rocblas_set_matrix_zero_if_alpha_zero_kernelILi16ELi16E19rocblas_complex_numIfEPKPS1_EviiT1_lT2_lli
		.amdhsa_group_segment_fixed_size 0
		.amdhsa_private_segment_fixed_size 0
		.amdhsa_kernarg_size 312
		.amdhsa_user_sgpr_count 2
		.amdhsa_user_sgpr_dispatch_ptr 0
		.amdhsa_user_sgpr_queue_ptr 0
		.amdhsa_user_sgpr_kernarg_segment_ptr 1
		.amdhsa_user_sgpr_dispatch_id 0
		.amdhsa_user_sgpr_private_segment_size 0
		.amdhsa_wavefront_size32 1
		.amdhsa_uses_dynamic_stack 0
		.amdhsa_enable_private_segment 0
		.amdhsa_system_sgpr_workgroup_id_x 1
		.amdhsa_system_sgpr_workgroup_id_y 1
		.amdhsa_system_sgpr_workgroup_id_z 1
		.amdhsa_system_sgpr_workgroup_info 0
		.amdhsa_system_vgpr_workitem_id 1
		.amdhsa_next_free_vgpr 13
		.amdhsa_next_free_sgpr 20
		.amdhsa_reserve_vcc 1
		.amdhsa_float_round_mode_32 0
		.amdhsa_float_round_mode_16_64 0
		.amdhsa_float_denorm_mode_32 3
		.amdhsa_float_denorm_mode_16_64 3
		.amdhsa_fp16_overflow 0
		.amdhsa_workgroup_processor_mode 1
		.amdhsa_memory_ordered 1
		.amdhsa_forward_progress 1
		.amdhsa_inst_pref_size 4
		.amdhsa_round_robin_scheduling 0
		.amdhsa_exception_fp_ieee_invalid_op 0
		.amdhsa_exception_fp_denorm_src 0
		.amdhsa_exception_fp_ieee_div_zero 0
		.amdhsa_exception_fp_ieee_overflow 0
		.amdhsa_exception_fp_ieee_underflow 0
		.amdhsa_exception_fp_ieee_inexact 0
		.amdhsa_exception_int_div_zero 0
	.end_amdhsa_kernel
	.section	.text._ZL44rocblas_set_matrix_zero_if_alpha_zero_kernelILi16ELi16E19rocblas_complex_numIfEPKPS1_EviiT1_lT2_lli,"axG",@progbits,_ZL44rocblas_set_matrix_zero_if_alpha_zero_kernelILi16ELi16E19rocblas_complex_numIfEPKPS1_EviiT1_lT2_lli,comdat
.Lfunc_end201:
	.size	_ZL44rocblas_set_matrix_zero_if_alpha_zero_kernelILi16ELi16E19rocblas_complex_numIfEPKPS1_EviiT1_lT2_lli, .Lfunc_end201-_ZL44rocblas_set_matrix_zero_if_alpha_zero_kernelILi16ELi16E19rocblas_complex_numIfEPKPS1_EviiT1_lT2_lli
                                        ; -- End function
	.set _ZL44rocblas_set_matrix_zero_if_alpha_zero_kernelILi16ELi16E19rocblas_complex_numIfEPKPS1_EviiT1_lT2_lli.num_vgpr, 13
	.set _ZL44rocblas_set_matrix_zero_if_alpha_zero_kernelILi16ELi16E19rocblas_complex_numIfEPKPS1_EviiT1_lT2_lli.num_agpr, 0
	.set _ZL44rocblas_set_matrix_zero_if_alpha_zero_kernelILi16ELi16E19rocblas_complex_numIfEPKPS1_EviiT1_lT2_lli.numbered_sgpr, 20
	.set _ZL44rocblas_set_matrix_zero_if_alpha_zero_kernelILi16ELi16E19rocblas_complex_numIfEPKPS1_EviiT1_lT2_lli.num_named_barrier, 0
	.set _ZL44rocblas_set_matrix_zero_if_alpha_zero_kernelILi16ELi16E19rocblas_complex_numIfEPKPS1_EviiT1_lT2_lli.private_seg_size, 0
	.set _ZL44rocblas_set_matrix_zero_if_alpha_zero_kernelILi16ELi16E19rocblas_complex_numIfEPKPS1_EviiT1_lT2_lli.uses_vcc, 1
	.set _ZL44rocblas_set_matrix_zero_if_alpha_zero_kernelILi16ELi16E19rocblas_complex_numIfEPKPS1_EviiT1_lT2_lli.uses_flat_scratch, 0
	.set _ZL44rocblas_set_matrix_zero_if_alpha_zero_kernelILi16ELi16E19rocblas_complex_numIfEPKPS1_EviiT1_lT2_lli.has_dyn_sized_stack, 0
	.set _ZL44rocblas_set_matrix_zero_if_alpha_zero_kernelILi16ELi16E19rocblas_complex_numIfEPKPS1_EviiT1_lT2_lli.has_recursion, 0
	.set _ZL44rocblas_set_matrix_zero_if_alpha_zero_kernelILi16ELi16E19rocblas_complex_numIfEPKPS1_EviiT1_lT2_lli.has_indirect_call, 0
	.section	.AMDGPU.csdata,"",@progbits
; Kernel info:
; codeLenInByte = 496
; TotalNumSgprs: 22
; NumVgprs: 13
; ScratchSize: 0
; MemoryBound: 0
; FloatMode: 240
; IeeeMode: 1
; LDSByteSize: 0 bytes/workgroup (compile time only)
; SGPRBlocks: 0
; VGPRBlocks: 1
; NumSGPRsForWavesPerEU: 22
; NumVGPRsForWavesPerEU: 13
; Occupancy: 16
; WaveLimiterHint : 1
; COMPUTE_PGM_RSRC2:SCRATCH_EN: 0
; COMPUTE_PGM_RSRC2:USER_SGPR: 2
; COMPUTE_PGM_RSRC2:TRAP_HANDLER: 0
; COMPUTE_PGM_RSRC2:TGID_X_EN: 1
; COMPUTE_PGM_RSRC2:TGID_Y_EN: 1
; COMPUTE_PGM_RSRC2:TGID_Z_EN: 1
; COMPUTE_PGM_RSRC2:TIDIG_COMP_CNT: 1
	.section	.text._ZL44rocblas_set_matrix_zero_if_alpha_zero_kernelILi16ELi16EPK19rocblas_complex_numIfEPS1_EviiT1_lT2_lli,"axG",@progbits,_ZL44rocblas_set_matrix_zero_if_alpha_zero_kernelILi16ELi16EPK19rocblas_complex_numIfEPS1_EviiT1_lT2_lli,comdat
	.globl	_ZL44rocblas_set_matrix_zero_if_alpha_zero_kernelILi16ELi16EPK19rocblas_complex_numIfEPS1_EviiT1_lT2_lli ; -- Begin function _ZL44rocblas_set_matrix_zero_if_alpha_zero_kernelILi16ELi16EPK19rocblas_complex_numIfEPS1_EviiT1_lT2_lli
	.p2align	8
	.type	_ZL44rocblas_set_matrix_zero_if_alpha_zero_kernelILi16ELi16EPK19rocblas_complex_numIfEPS1_EviiT1_lT2_lli,@function
_ZL44rocblas_set_matrix_zero_if_alpha_zero_kernelILi16ELi16EPK19rocblas_complex_numIfEPS1_EviiT1_lT2_lli: ; @_ZL44rocblas_set_matrix_zero_if_alpha_zero_kernelILi16ELi16EPK19rocblas_complex_numIfEPS1_EviiT1_lT2_lli
; %bb.0:
	s_load_b32 s20, s[0:1], 0x30
	s_lshr_b32 s12, ttmp7, 16
	s_wait_kmcnt 0x0
	s_cmp_ge_u32 s12, s20
	s_cbranch_scc1 .LBB202_6
; %bb.1:
	s_load_b256 s[4:11], s[0:1], 0x8
	v_bfe_u32 v1, v0, 10, 10
	s_and_b32 s2, ttmp7, 0xffff
	s_load_b64 s[18:19], s[0:1], 0x28
	s_mov_b32 s13, 0
	s_delay_alu instid0(VALU_DEP_1) | instskip(SKIP_2) | instid1(VALU_DEP_1)
	v_lshl_add_u32 v1, s2, 4, v1
	s_load_b64 s[2:3], s[0:1], 0x0
	s_wait_kmcnt 0x0
	v_mad_co_u64_u32 v[4:5], null, s10, v1, 0
	s_ashr_i32 s15, s3, 31
	v_mov_b32_e32 v2, v5
	s_mov_b32 s14, s3
	s_ashr_i32 s17, s2, 31
	s_mov_b32 s16, s2
	s_delay_alu instid0(VALU_DEP_1) | instskip(SKIP_1) | instid1(VALU_DEP_1)
	v_mad_co_u64_u32 v[2:3], null, s11, v1, v[2:3]
	v_dual_mov_b32 v3, 0 :: v_dual_and_b32 v0, 0x3ff, v0
	v_mov_b32_e32 v7, v3
	s_delay_alu instid0(VALU_DEP_2) | instskip(NEXT) | instid1(VALU_DEP_4)
	v_lshl_add_u32 v6, ttmp9, 4, v0
	v_dual_mov_b32 v5, v2 :: v_dual_mov_b32 v2, v3
	s_delay_alu instid0(VALU_DEP_2) | instskip(NEXT) | instid1(VALU_DEP_2)
	v_lshlrev_b64_e32 v[8:9], 3, v[6:7]
	v_lshlrev_b64_e32 v[4:5], 3, v[4:5]
	v_cmp_gt_i64_e32 vcc_lo, s[16:17], v[6:7]
	s_delay_alu instid0(VALU_DEP_4)
	v_cmp_gt_i64_e64 s2, s[14:15], v[1:2]
	s_add_nc_u64 s[16:17], s[0:1], 56
	v_add_co_u32 v0, s3, v4, v8
	s_wait_alu 0xf1ff
	v_add_co_ci_u32_e64 v4, null, v5, v9, s3
	s_and_b32 s1, s2, vcc_lo
	v_add_co_u32 v0, s0, s8, v0
	s_wait_alu 0xf1ff
	v_add_co_ci_u32_e64 v4, null, s9, v4, s0
	s_lshl_b64 s[2:3], s[18:19], 3
	v_add_co_u32 v5, vcc_lo, v0, 4
	s_delay_alu instid0(VALU_DEP_1)
	v_add_co_ci_u32_e64 v6, null, 0, v4, vcc_lo
	s_lshl_b64 s[8:9], s[10:11], 3
	s_branch .LBB202_3
.LBB202_2:                              ;   in Loop: Header=BB202_3 Depth=1
	s_or_b32 exec_lo, exec_lo, s21
	s_add_co_i32 s12, s12, 0x10000
	s_wait_alu 0xfffe
	s_cmp_lt_u32 s12, s20
	s_cbranch_scc0 .LBB202_6
.LBB202_3:                              ; =>This Loop Header: Depth=1
                                        ;     Child Loop BB202_5 Depth 2
	s_mul_u64 s[10:11], s[6:7], s[12:13]
	s_wait_alu 0xfffe
	s_lshl_b64 s[10:11], s[10:11], 3
	s_wait_alu 0xfffe
	s_add_nc_u64 s[10:11], s[4:5], s[10:11]
	global_load_b64 v[7:8], v3, s[10:11]
	s_wait_loadcnt 0x0
	v_readfirstlane_b32 s0, v7
	v_readfirstlane_b32 s10, v8
	s_cmp_eq_f32 s0, 0
	s_cselect_b32 s0, -1, 0
	s_wait_alu 0xfffe
	s_cmp_eq_f32 s10, 0
	s_cselect_b32 s10, -1, 0
	s_wait_alu 0xfffe
	s_and_b32 s0, s0, s10
	s_wait_alu 0xfffe
	s_and_b32 s0, s0, s1
	s_wait_alu 0xfffe
	s_and_saveexec_b32 s21, s0
	s_cbranch_execz .LBB202_2
; %bb.4:                                ;   in Loop: Header=BB202_3 Depth=1
	s_load_b32 s0, s[16:17], 0x4
	v_mad_co_u64_u32 v[7:8], null, s2, s12, v[5:6]
	s_mov_b32 s11, s13
	v_mov_b32_e32 v0, v8
	s_delay_alu instid0(VALU_DEP_1)
	v_mad_co_u64_u32 v[8:9], null, s3, s12, v[0:1]
	v_dual_mov_b32 v10, v2 :: v_dual_mov_b32 v9, v1
	s_wait_kmcnt 0x0
	s_lshl_b32 s10, s0, 4
	s_wait_alu 0xfffe
	s_mul_u64 s[18:19], s[8:9], s[10:11]
	s_mov_b32 s11, 0
.LBB202_5:                              ;   Parent Loop BB202_3 Depth=1
                                        ; =>  This Inner Loop Header: Depth=2
	v_add_co_u32 v9, vcc_lo, v9, s10
	s_wait_alu 0xfffd
	v_add_co_ci_u32_e64 v10, null, 0, v10, vcc_lo
	v_mov_b32_e32 v4, v3
	s_delay_alu instid0(VALU_DEP_2)
	v_cmp_le_i64_e32 vcc_lo, s[14:15], v[9:10]
	global_store_b64 v[7:8], v[3:4], off offset:-4
	s_wait_alu 0xfffe
	v_add_co_u32 v7, s0, v7, s18
	s_wait_alu 0xf1ff
	v_add_co_ci_u32_e64 v8, null, s19, v8, s0
	s_or_b32 s11, vcc_lo, s11
	s_wait_alu 0xfffe
	s_and_not1_b32 exec_lo, exec_lo, s11
	s_cbranch_execnz .LBB202_5
	s_branch .LBB202_2
.LBB202_6:
	s_endpgm
	.section	.rodata,"a",@progbits
	.p2align	6, 0x0
	.amdhsa_kernel _ZL44rocblas_set_matrix_zero_if_alpha_zero_kernelILi16ELi16EPK19rocblas_complex_numIfEPS1_EviiT1_lT2_lli
		.amdhsa_group_segment_fixed_size 0
		.amdhsa_private_segment_fixed_size 0
		.amdhsa_kernarg_size 312
		.amdhsa_user_sgpr_count 2
		.amdhsa_user_sgpr_dispatch_ptr 0
		.amdhsa_user_sgpr_queue_ptr 0
		.amdhsa_user_sgpr_kernarg_segment_ptr 1
		.amdhsa_user_sgpr_dispatch_id 0
		.amdhsa_user_sgpr_private_segment_size 0
		.amdhsa_wavefront_size32 1
		.amdhsa_uses_dynamic_stack 0
		.amdhsa_enable_private_segment 0
		.amdhsa_system_sgpr_workgroup_id_x 1
		.amdhsa_system_sgpr_workgroup_id_y 1
		.amdhsa_system_sgpr_workgroup_id_z 1
		.amdhsa_system_sgpr_workgroup_info 0
		.amdhsa_system_vgpr_workitem_id 1
		.amdhsa_next_free_vgpr 11
		.amdhsa_next_free_sgpr 22
		.amdhsa_reserve_vcc 1
		.amdhsa_float_round_mode_32 0
		.amdhsa_float_round_mode_16_64 0
		.amdhsa_float_denorm_mode_32 3
		.amdhsa_float_denorm_mode_16_64 3
		.amdhsa_fp16_overflow 0
		.amdhsa_workgroup_processor_mode 1
		.amdhsa_memory_ordered 1
		.amdhsa_forward_progress 1
		.amdhsa_inst_pref_size 5
		.amdhsa_round_robin_scheduling 0
		.amdhsa_exception_fp_ieee_invalid_op 0
		.amdhsa_exception_fp_denorm_src 0
		.amdhsa_exception_fp_ieee_div_zero 0
		.amdhsa_exception_fp_ieee_overflow 0
		.amdhsa_exception_fp_ieee_underflow 0
		.amdhsa_exception_fp_ieee_inexact 0
		.amdhsa_exception_int_div_zero 0
	.end_amdhsa_kernel
	.section	.text._ZL44rocblas_set_matrix_zero_if_alpha_zero_kernelILi16ELi16EPK19rocblas_complex_numIfEPS1_EviiT1_lT2_lli,"axG",@progbits,_ZL44rocblas_set_matrix_zero_if_alpha_zero_kernelILi16ELi16EPK19rocblas_complex_numIfEPS1_EviiT1_lT2_lli,comdat
.Lfunc_end202:
	.size	_ZL44rocblas_set_matrix_zero_if_alpha_zero_kernelILi16ELi16EPK19rocblas_complex_numIfEPS1_EviiT1_lT2_lli, .Lfunc_end202-_ZL44rocblas_set_matrix_zero_if_alpha_zero_kernelILi16ELi16EPK19rocblas_complex_numIfEPS1_EviiT1_lT2_lli
                                        ; -- End function
	.set _ZL44rocblas_set_matrix_zero_if_alpha_zero_kernelILi16ELi16EPK19rocblas_complex_numIfEPS1_EviiT1_lT2_lli.num_vgpr, 11
	.set _ZL44rocblas_set_matrix_zero_if_alpha_zero_kernelILi16ELi16EPK19rocblas_complex_numIfEPS1_EviiT1_lT2_lli.num_agpr, 0
	.set _ZL44rocblas_set_matrix_zero_if_alpha_zero_kernelILi16ELi16EPK19rocblas_complex_numIfEPS1_EviiT1_lT2_lli.numbered_sgpr, 22
	.set _ZL44rocblas_set_matrix_zero_if_alpha_zero_kernelILi16ELi16EPK19rocblas_complex_numIfEPS1_EviiT1_lT2_lli.num_named_barrier, 0
	.set _ZL44rocblas_set_matrix_zero_if_alpha_zero_kernelILi16ELi16EPK19rocblas_complex_numIfEPS1_EviiT1_lT2_lli.private_seg_size, 0
	.set _ZL44rocblas_set_matrix_zero_if_alpha_zero_kernelILi16ELi16EPK19rocblas_complex_numIfEPS1_EviiT1_lT2_lli.uses_vcc, 1
	.set _ZL44rocblas_set_matrix_zero_if_alpha_zero_kernelILi16ELi16EPK19rocblas_complex_numIfEPS1_EviiT1_lT2_lli.uses_flat_scratch, 0
	.set _ZL44rocblas_set_matrix_zero_if_alpha_zero_kernelILi16ELi16EPK19rocblas_complex_numIfEPS1_EviiT1_lT2_lli.has_dyn_sized_stack, 0
	.set _ZL44rocblas_set_matrix_zero_if_alpha_zero_kernelILi16ELi16EPK19rocblas_complex_numIfEPS1_EviiT1_lT2_lli.has_recursion, 0
	.set _ZL44rocblas_set_matrix_zero_if_alpha_zero_kernelILi16ELi16EPK19rocblas_complex_numIfEPS1_EviiT1_lT2_lli.has_indirect_call, 0
	.section	.AMDGPU.csdata,"",@progbits
; Kernel info:
; codeLenInByte = 540
; TotalNumSgprs: 24
; NumVgprs: 11
; ScratchSize: 0
; MemoryBound: 0
; FloatMode: 240
; IeeeMode: 1
; LDSByteSize: 0 bytes/workgroup (compile time only)
; SGPRBlocks: 0
; VGPRBlocks: 1
; NumSGPRsForWavesPerEU: 24
; NumVGPRsForWavesPerEU: 11
; Occupancy: 16
; WaveLimiterHint : 0
; COMPUTE_PGM_RSRC2:SCRATCH_EN: 0
; COMPUTE_PGM_RSRC2:USER_SGPR: 2
; COMPUTE_PGM_RSRC2:TRAP_HANDLER: 0
; COMPUTE_PGM_RSRC2:TGID_X_EN: 1
; COMPUTE_PGM_RSRC2:TGID_Y_EN: 1
; COMPUTE_PGM_RSRC2:TGID_Z_EN: 1
; COMPUTE_PGM_RSRC2:TIDIG_COMP_CNT: 1
	.section	.text._ZL44rocblas_set_matrix_zero_if_alpha_zero_kernelILi16ELi16E19rocblas_complex_numIfEPS1_EviiT1_lT2_lli,"axG",@progbits,_ZL44rocblas_set_matrix_zero_if_alpha_zero_kernelILi16ELi16E19rocblas_complex_numIfEPS1_EviiT1_lT2_lli,comdat
	.globl	_ZL44rocblas_set_matrix_zero_if_alpha_zero_kernelILi16ELi16E19rocblas_complex_numIfEPS1_EviiT1_lT2_lli ; -- Begin function _ZL44rocblas_set_matrix_zero_if_alpha_zero_kernelILi16ELi16E19rocblas_complex_numIfEPS1_EviiT1_lT2_lli
	.p2align	8
	.type	_ZL44rocblas_set_matrix_zero_if_alpha_zero_kernelILi16ELi16E19rocblas_complex_numIfEPS1_EviiT1_lT2_lli,@function
_ZL44rocblas_set_matrix_zero_if_alpha_zero_kernelILi16ELi16E19rocblas_complex_numIfEPS1_EviiT1_lT2_lli: ; @_ZL44rocblas_set_matrix_zero_if_alpha_zero_kernelILi16ELi16E19rocblas_complex_numIfEPS1_EviiT1_lT2_lli
; %bb.0:
	s_load_b32 s14, s[0:1], 0x30
	s_lshr_b32 s15, ttmp7, 16
	s_wait_kmcnt 0x0
	s_cmp_ge_u32 s15, s14
	s_cbranch_scc1 .LBB203_6
; %bb.1:
	s_clause 0x1
	s_load_b128 s[8:11], s[0:1], 0x0
	s_load_b128 s[4:7], s[0:1], 0x18
	v_bfe_u32 v1, v0, 10, 10
	s_load_b64 s[16:17], s[0:1], 0x28
	v_dual_mov_b32 v3, 0 :: v_dual_and_b32 v0, 0x3ff, v0
	s_delay_alu instid0(VALU_DEP_1)
	v_mov_b32_e32 v7, v3
	s_wait_kmcnt 0x0
	s_cmp_eq_f32 s10, 0
	s_mov_b32 s12, s9
	s_mov_b32 s18, s8
	s_cselect_b32 s2, -1, 0
	s_cmp_eq_f32 s11, 0
	s_add_nc_u64 s[10:11], s[0:1], 56
	s_cselect_b32 s20, -1, 0
	s_and_b32 s3, ttmp7, 0xffff
	s_ashr_i32 s13, s9, 31
	v_lshl_add_u32 v1, s3, 4, v1
	s_ashr_i32 s19, s8, 31
	s_and_b32 s2, s2, s20
	s_mov_b32 s3, 0
	s_delay_alu instid0(VALU_DEP_1) | instskip(NEXT) | instid1(VALU_DEP_1)
	v_mad_co_u64_u32 v[4:5], null, s6, v1, 0
	v_mov_b32_e32 v2, v5
	s_delay_alu instid0(VALU_DEP_1) | instskip(SKIP_3) | instid1(VALU_DEP_2)
	v_mad_co_u64_u32 v[5:6], null, s7, v1, v[2:3]
	v_lshl_add_u32 v6, ttmp9, 4, v0
	v_mov_b32_e32 v2, v3
	s_lshl_b64 s[6:7], s[6:7], 3
	v_lshlrev_b64_e32 v[8:9], 3, v[6:7]
	s_delay_alu instid0(VALU_DEP_4) | instskip(NEXT) | instid1(VALU_DEP_3)
	v_lshlrev_b64_e32 v[4:5], 3, v[4:5]
	v_cmp_gt_i64_e32 vcc_lo, s[12:13], v[1:2]
	s_delay_alu instid0(VALU_DEP_2) | instskip(SKIP_1) | instid1(VALU_DEP_3)
	v_add_co_u32 v0, s0, v4, v8
	s_wait_alu 0xf1ff
	v_add_co_ci_u32_e64 v4, null, v5, v9, s0
	v_cmp_gt_i64_e64 s0, s[18:19], v[6:7]
	s_delay_alu instid0(VALU_DEP_3) | instskip(SKIP_1) | instid1(VALU_DEP_3)
	v_add_co_u32 v0, s1, s4, v0
	s_wait_alu 0xf1ff
	v_add_co_ci_u32_e64 v4, null, s5, v4, s1
	s_wait_alu 0xfffe
	s_and_b32 s1, vcc_lo, s2
	v_add_co_u32 v5, vcc_lo, v0, 4
	s_delay_alu instid0(VALU_DEP_1)
	v_add_co_ci_u32_e64 v6, null, 0, v4, vcc_lo
	s_wait_alu 0xfffe
	s_and_b32 s1, s1, s0
	s_lshl_b64 s[4:5], s[16:17], 3
	s_branch .LBB203_3
.LBB203_2:                              ;   in Loop: Header=BB203_3 Depth=1
	s_or_b32 exec_lo, exec_lo, s16
	s_add_co_i32 s15, s15, 0x10000
	s_wait_alu 0xfffe
	s_cmp_lt_u32 s15, s14
	s_cbranch_scc0 .LBB203_6
.LBB203_3:                              ; =>This Loop Header: Depth=1
                                        ;     Child Loop BB203_5 Depth 2
	s_wait_alu 0xfffe
	s_and_saveexec_b32 s16, s1
	s_cbranch_execz .LBB203_2
; %bb.4:                                ;   in Loop: Header=BB203_3 Depth=1
	s_load_b32 s0, s[10:11], 0x4
	v_mad_co_u64_u32 v[7:8], null, s4, s15, v[5:6]
	s_mov_b32 s17, 0
	v_mov_b32_e32 v0, v8
	s_delay_alu instid0(VALU_DEP_1)
	v_mad_co_u64_u32 v[8:9], null, s5, s15, v[0:1]
	v_dual_mov_b32 v10, v2 :: v_dual_mov_b32 v9, v1
	s_wait_kmcnt 0x0
	s_lshl_b32 s2, s0, 4
	s_wait_alu 0xfffe
	s_mul_u64 s[8:9], s[6:7], s[2:3]
.LBB203_5:                              ;   Parent Loop BB203_3 Depth=1
                                        ; =>  This Inner Loop Header: Depth=2
	v_add_co_u32 v9, vcc_lo, v9, s2
	s_wait_alu 0xfffd
	v_add_co_ci_u32_e64 v10, null, 0, v10, vcc_lo
	v_mov_b32_e32 v4, v3
	s_delay_alu instid0(VALU_DEP_2)
	v_cmp_le_i64_e32 vcc_lo, s[12:13], v[9:10]
	global_store_b64 v[7:8], v[3:4], off offset:-4
	s_wait_alu 0xfffe
	v_add_co_u32 v7, s0, v7, s8
	s_wait_alu 0xf1ff
	v_add_co_ci_u32_e64 v8, null, s9, v8, s0
	s_or_b32 s17, vcc_lo, s17
	s_delay_alu instid0(SALU_CYCLE_1)
	s_and_not1_b32 exec_lo, exec_lo, s17
	s_cbranch_execnz .LBB203_5
	s_branch .LBB203_2
.LBB203_6:
	s_endpgm
	.section	.rodata,"a",@progbits
	.p2align	6, 0x0
	.amdhsa_kernel _ZL44rocblas_set_matrix_zero_if_alpha_zero_kernelILi16ELi16E19rocblas_complex_numIfEPS1_EviiT1_lT2_lli
		.amdhsa_group_segment_fixed_size 0
		.amdhsa_private_segment_fixed_size 0
		.amdhsa_kernarg_size 312
		.amdhsa_user_sgpr_count 2
		.amdhsa_user_sgpr_dispatch_ptr 0
		.amdhsa_user_sgpr_queue_ptr 0
		.amdhsa_user_sgpr_kernarg_segment_ptr 1
		.amdhsa_user_sgpr_dispatch_id 0
		.amdhsa_user_sgpr_private_segment_size 0
		.amdhsa_wavefront_size32 1
		.amdhsa_uses_dynamic_stack 0
		.amdhsa_enable_private_segment 0
		.amdhsa_system_sgpr_workgroup_id_x 1
		.amdhsa_system_sgpr_workgroup_id_y 1
		.amdhsa_system_sgpr_workgroup_id_z 1
		.amdhsa_system_sgpr_workgroup_info 0
		.amdhsa_system_vgpr_workitem_id 1
		.amdhsa_next_free_vgpr 11
		.amdhsa_next_free_sgpr 21
		.amdhsa_reserve_vcc 1
		.amdhsa_float_round_mode_32 0
		.amdhsa_float_round_mode_16_64 0
		.amdhsa_float_denorm_mode_32 3
		.amdhsa_float_denorm_mode_16_64 3
		.amdhsa_fp16_overflow 0
		.amdhsa_workgroup_processor_mode 1
		.amdhsa_memory_ordered 1
		.amdhsa_forward_progress 1
		.amdhsa_inst_pref_size 4
		.amdhsa_round_robin_scheduling 0
		.amdhsa_exception_fp_ieee_invalid_op 0
		.amdhsa_exception_fp_denorm_src 0
		.amdhsa_exception_fp_ieee_div_zero 0
		.amdhsa_exception_fp_ieee_overflow 0
		.amdhsa_exception_fp_ieee_underflow 0
		.amdhsa_exception_fp_ieee_inexact 0
		.amdhsa_exception_int_div_zero 0
	.end_amdhsa_kernel
	.section	.text._ZL44rocblas_set_matrix_zero_if_alpha_zero_kernelILi16ELi16E19rocblas_complex_numIfEPS1_EviiT1_lT2_lli,"axG",@progbits,_ZL44rocblas_set_matrix_zero_if_alpha_zero_kernelILi16ELi16E19rocblas_complex_numIfEPS1_EviiT1_lT2_lli,comdat
.Lfunc_end203:
	.size	_ZL44rocblas_set_matrix_zero_if_alpha_zero_kernelILi16ELi16E19rocblas_complex_numIfEPS1_EviiT1_lT2_lli, .Lfunc_end203-_ZL44rocblas_set_matrix_zero_if_alpha_zero_kernelILi16ELi16E19rocblas_complex_numIfEPS1_EviiT1_lT2_lli
                                        ; -- End function
	.set _ZL44rocblas_set_matrix_zero_if_alpha_zero_kernelILi16ELi16E19rocblas_complex_numIfEPS1_EviiT1_lT2_lli.num_vgpr, 11
	.set _ZL44rocblas_set_matrix_zero_if_alpha_zero_kernelILi16ELi16E19rocblas_complex_numIfEPS1_EviiT1_lT2_lli.num_agpr, 0
	.set _ZL44rocblas_set_matrix_zero_if_alpha_zero_kernelILi16ELi16E19rocblas_complex_numIfEPS1_EviiT1_lT2_lli.numbered_sgpr, 21
	.set _ZL44rocblas_set_matrix_zero_if_alpha_zero_kernelILi16ELi16E19rocblas_complex_numIfEPS1_EviiT1_lT2_lli.num_named_barrier, 0
	.set _ZL44rocblas_set_matrix_zero_if_alpha_zero_kernelILi16ELi16E19rocblas_complex_numIfEPS1_EviiT1_lT2_lli.private_seg_size, 0
	.set _ZL44rocblas_set_matrix_zero_if_alpha_zero_kernelILi16ELi16E19rocblas_complex_numIfEPS1_EviiT1_lT2_lli.uses_vcc, 1
	.set _ZL44rocblas_set_matrix_zero_if_alpha_zero_kernelILi16ELi16E19rocblas_complex_numIfEPS1_EviiT1_lT2_lli.uses_flat_scratch, 0
	.set _ZL44rocblas_set_matrix_zero_if_alpha_zero_kernelILi16ELi16E19rocblas_complex_numIfEPS1_EviiT1_lT2_lli.has_dyn_sized_stack, 0
	.set _ZL44rocblas_set_matrix_zero_if_alpha_zero_kernelILi16ELi16E19rocblas_complex_numIfEPS1_EviiT1_lT2_lli.has_recursion, 0
	.set _ZL44rocblas_set_matrix_zero_if_alpha_zero_kernelILi16ELi16E19rocblas_complex_numIfEPS1_EviiT1_lT2_lli.has_indirect_call, 0
	.section	.AMDGPU.csdata,"",@progbits
; Kernel info:
; codeLenInByte = 492
; TotalNumSgprs: 23
; NumVgprs: 11
; ScratchSize: 0
; MemoryBound: 0
; FloatMode: 240
; IeeeMode: 1
; LDSByteSize: 0 bytes/workgroup (compile time only)
; SGPRBlocks: 0
; VGPRBlocks: 1
; NumSGPRsForWavesPerEU: 23
; NumVGPRsForWavesPerEU: 11
; Occupancy: 16
; WaveLimiterHint : 0
; COMPUTE_PGM_RSRC2:SCRATCH_EN: 0
; COMPUTE_PGM_RSRC2:USER_SGPR: 2
; COMPUTE_PGM_RSRC2:TRAP_HANDLER: 0
; COMPUTE_PGM_RSRC2:TGID_X_EN: 1
; COMPUTE_PGM_RSRC2:TGID_Y_EN: 1
; COMPUTE_PGM_RSRC2:TGID_Z_EN: 1
; COMPUTE_PGM_RSRC2:TIDIG_COMP_CNT: 1
	.section	.text._ZL44rocblas_set_matrix_zero_if_alpha_zero_kernelILi16ELi16EPK19rocblas_complex_numIdEPKPS1_EviiT1_lT2_lli,"axG",@progbits,_ZL44rocblas_set_matrix_zero_if_alpha_zero_kernelILi16ELi16EPK19rocblas_complex_numIdEPKPS1_EviiT1_lT2_lli,comdat
	.globl	_ZL44rocblas_set_matrix_zero_if_alpha_zero_kernelILi16ELi16EPK19rocblas_complex_numIdEPKPS1_EviiT1_lT2_lli ; -- Begin function _ZL44rocblas_set_matrix_zero_if_alpha_zero_kernelILi16ELi16EPK19rocblas_complex_numIdEPKPS1_EviiT1_lT2_lli
	.p2align	8
	.type	_ZL44rocblas_set_matrix_zero_if_alpha_zero_kernelILi16ELi16EPK19rocblas_complex_numIdEPKPS1_EviiT1_lT2_lli,@function
_ZL44rocblas_set_matrix_zero_if_alpha_zero_kernelILi16ELi16EPK19rocblas_complex_numIdEPKPS1_EviiT1_lT2_lli: ; @_ZL44rocblas_set_matrix_zero_if_alpha_zero_kernelILi16ELi16EPK19rocblas_complex_numIdEPKPS1_EviiT1_lT2_lli
; %bb.0:
	s_load_b32 s20, s[0:1], 0x30
	s_lshr_b32 s12, ttmp7, 16
	s_wait_kmcnt 0x0
	s_cmp_ge_u32 s12, s20
	s_cbranch_scc1 .LBB204_6
; %bb.1:
	s_load_b256 s[4:11], s[0:1], 0x8
	v_bfe_u32 v1, v0, 10, 10
	s_and_b32 s2, ttmp7, 0xffff
	s_mov_b32 s13, 0
	s_delay_alu instid0(VALU_DEP_1)
	v_lshl_add_u32 v4, s2, 4, v1
	s_clause 0x1
	s_load_b64 s[2:3], s[0:1], 0x0
	s_load_b64 s[16:17], s[0:1], 0x28
	s_wait_kmcnt 0x0
	v_mad_co_u64_u32 v[1:2], null, s10, v4, 0
	s_ashr_i32 s15, s2, 31
	s_mov_b32 s14, s2
	v_mad_co_u64_u32 v[2:3], null, s11, v4, v[2:3]
	v_dual_mov_b32 v0, 0 :: v_dual_and_b32 v3, 0x3ff, v0
	s_lshl_b64 s[16:17], s[16:17], 4
	s_delay_alu instid0(VALU_DEP_1) | instskip(NEXT) | instid1(VALU_DEP_2)
	v_lshl_add_u32 v6, ttmp9, 4, v3
	v_mov_b32_e32 v7, v0
	s_delay_alu instid0(VALU_DEP_4) | instskip(SKIP_1) | instid1(VALU_DEP_3)
	v_lshlrev_b64_e32 v[1:2], 4, v[1:2]
	v_mov_b32_e32 v5, v0
	v_cmp_gt_i64_e32 vcc_lo, s[14:15], v[6:7]
	v_lshlrev_b64_e32 v[6:7], 4, v[6:7]
	s_delay_alu instid0(VALU_DEP_4)
	v_add_co_u32 v1, s2, v1, s16
	s_ashr_i32 s15, s3, 31
	s_mov_b32 s14, s3
	v_add_co_ci_u32_e64 v2, null, s17, v2, s2
	v_add_co_u32 v1, s2, v1, v6
	s_wait_alu 0xfffe
	v_cmp_gt_i64_e64 s3, s[14:15], v[4:5]
	s_wait_alu 0xf1ff
	v_add_co_ci_u32_e64 v10, null, v2, v7, s2
	v_or_b32_e32 v11, 8, v1
	s_add_nc_u64 s[16:17], s[0:1], 56
	s_delay_alu instid0(VALU_DEP_3)
	s_and_b32 s1, s3, vcc_lo
	s_lshl_b64 s[2:3], s[10:11], 4
	s_branch .LBB204_3
.LBB204_2:                              ;   in Loop: Header=BB204_3 Depth=1
	s_or_b32 exec_lo, exec_lo, s21
	s_add_co_i32 s12, s12, 0x10000
	s_delay_alu instid0(SALU_CYCLE_1)
	s_cmp_lt_u32 s12, s20
	s_cbranch_scc0 .LBB204_6
.LBB204_3:                              ; =>This Loop Header: Depth=1
                                        ;     Child Loop BB204_5 Depth 2
	s_mul_u64 s[10:11], s[6:7], s[12:13]
	s_wait_alu 0xfffe
	s_lshl_b64 s[10:11], s[10:11], 4
	s_wait_alu 0xfffe
	s_add_nc_u64 s[10:11], s[4:5], s[10:11]
	global_load_b128 v[6:9], v0, s[10:11]
	s_wait_loadcnt 0x0
	v_cmp_eq_f64_e32 vcc_lo, 0, v[6:7]
	v_cmp_eq_f64_e64 s0, 0, v[8:9]
	s_and_b32 s0, vcc_lo, s0
	s_wait_alu 0xfffe
	s_and_b32 s0, s0, s1
	s_wait_alu 0xfffe
	s_and_saveexec_b32 s21, s0
	s_cbranch_execz .LBB204_2
; %bb.4:                                ;   in Loop: Header=BB204_3 Depth=1
	s_lshl_b64 s[10:11], s[12:13], 3
	s_load_b32 s0, s[16:17], 0x4
	s_add_nc_u64 s[10:11], s[8:9], s[10:11]
	v_dual_mov_b32 v9, v5 :: v_dual_mov_b32 v8, v4
	s_load_b64 s[18:19], s[10:11], 0x0
	s_mov_b32 s11, s13
	s_wait_kmcnt 0x0
	s_lshl_b32 s10, s0, 4
	v_add_co_u32 v6, vcc_lo, s18, v11
	s_wait_alu 0xfffd
	v_add_co_ci_u32_e64 v7, null, s19, v10, vcc_lo
	s_wait_alu 0xfffe
	s_mul_u64 s[18:19], s[2:3], s[10:11]
	s_mov_b32 s11, 0
.LBB204_5:                              ;   Parent Loop BB204_3 Depth=1
                                        ; =>  This Inner Loop Header: Depth=2
	v_add_co_u32 v8, vcc_lo, v8, s10
	s_wait_alu 0xfffd
	v_add_co_ci_u32_e64 v9, null, 0, v9, vcc_lo
	v_dual_mov_b32 v1, v0 :: v_dual_mov_b32 v2, v0
	v_mov_b32_e32 v3, v0
	s_delay_alu instid0(VALU_DEP_3)
	v_cmp_le_i64_e32 vcc_lo, s[14:15], v[8:9]
	flat_store_b128 v[6:7], v[0:3] offset:-8
	s_wait_alu 0xfffe
	v_add_co_u32 v6, s0, v6, s18
	s_wait_alu 0xf1ff
	v_add_co_ci_u32_e64 v7, null, s19, v7, s0
	s_or_b32 s11, vcc_lo, s11
	s_wait_alu 0xfffe
	s_and_not1_b32 exec_lo, exec_lo, s11
	s_cbranch_execnz .LBB204_5
	s_branch .LBB204_2
.LBB204_6:
	s_endpgm
	.section	.rodata,"a",@progbits
	.p2align	6, 0x0
	.amdhsa_kernel _ZL44rocblas_set_matrix_zero_if_alpha_zero_kernelILi16ELi16EPK19rocblas_complex_numIdEPKPS1_EviiT1_lT2_lli
		.amdhsa_group_segment_fixed_size 0
		.amdhsa_private_segment_fixed_size 0
		.amdhsa_kernarg_size 312
		.amdhsa_user_sgpr_count 2
		.amdhsa_user_sgpr_dispatch_ptr 0
		.amdhsa_user_sgpr_queue_ptr 0
		.amdhsa_user_sgpr_kernarg_segment_ptr 1
		.amdhsa_user_sgpr_dispatch_id 0
		.amdhsa_user_sgpr_private_segment_size 0
		.amdhsa_wavefront_size32 1
		.amdhsa_uses_dynamic_stack 0
		.amdhsa_enable_private_segment 0
		.amdhsa_system_sgpr_workgroup_id_x 1
		.amdhsa_system_sgpr_workgroup_id_y 1
		.amdhsa_system_sgpr_workgroup_id_z 1
		.amdhsa_system_sgpr_workgroup_info 0
		.amdhsa_system_vgpr_workitem_id 1
		.amdhsa_next_free_vgpr 12
		.amdhsa_next_free_sgpr 22
		.amdhsa_reserve_vcc 1
		.amdhsa_float_round_mode_32 0
		.amdhsa_float_round_mode_16_64 0
		.amdhsa_float_denorm_mode_32 3
		.amdhsa_float_denorm_mode_16_64 3
		.amdhsa_fp16_overflow 0
		.amdhsa_workgroup_processor_mode 1
		.amdhsa_memory_ordered 1
		.amdhsa_forward_progress 1
		.amdhsa_inst_pref_size 5
		.amdhsa_round_robin_scheduling 0
		.amdhsa_exception_fp_ieee_invalid_op 0
		.amdhsa_exception_fp_denorm_src 0
		.amdhsa_exception_fp_ieee_div_zero 0
		.amdhsa_exception_fp_ieee_overflow 0
		.amdhsa_exception_fp_ieee_underflow 0
		.amdhsa_exception_fp_ieee_inexact 0
		.amdhsa_exception_int_div_zero 0
	.end_amdhsa_kernel
	.section	.text._ZL44rocblas_set_matrix_zero_if_alpha_zero_kernelILi16ELi16EPK19rocblas_complex_numIdEPKPS1_EviiT1_lT2_lli,"axG",@progbits,_ZL44rocblas_set_matrix_zero_if_alpha_zero_kernelILi16ELi16EPK19rocblas_complex_numIdEPKPS1_EviiT1_lT2_lli,comdat
.Lfunc_end204:
	.size	_ZL44rocblas_set_matrix_zero_if_alpha_zero_kernelILi16ELi16EPK19rocblas_complex_numIdEPKPS1_EviiT1_lT2_lli, .Lfunc_end204-_ZL44rocblas_set_matrix_zero_if_alpha_zero_kernelILi16ELi16EPK19rocblas_complex_numIdEPKPS1_EviiT1_lT2_lli
                                        ; -- End function
	.set _ZL44rocblas_set_matrix_zero_if_alpha_zero_kernelILi16ELi16EPK19rocblas_complex_numIdEPKPS1_EviiT1_lT2_lli.num_vgpr, 12
	.set _ZL44rocblas_set_matrix_zero_if_alpha_zero_kernelILi16ELi16EPK19rocblas_complex_numIdEPKPS1_EviiT1_lT2_lli.num_agpr, 0
	.set _ZL44rocblas_set_matrix_zero_if_alpha_zero_kernelILi16ELi16EPK19rocblas_complex_numIdEPKPS1_EviiT1_lT2_lli.numbered_sgpr, 22
	.set _ZL44rocblas_set_matrix_zero_if_alpha_zero_kernelILi16ELi16EPK19rocblas_complex_numIdEPKPS1_EviiT1_lT2_lli.num_named_barrier, 0
	.set _ZL44rocblas_set_matrix_zero_if_alpha_zero_kernelILi16ELi16EPK19rocblas_complex_numIdEPKPS1_EviiT1_lT2_lli.private_seg_size, 0
	.set _ZL44rocblas_set_matrix_zero_if_alpha_zero_kernelILi16ELi16EPK19rocblas_complex_numIdEPKPS1_EviiT1_lT2_lli.uses_vcc, 1
	.set _ZL44rocblas_set_matrix_zero_if_alpha_zero_kernelILi16ELi16EPK19rocblas_complex_numIdEPKPS1_EviiT1_lT2_lli.uses_flat_scratch, 0
	.set _ZL44rocblas_set_matrix_zero_if_alpha_zero_kernelILi16ELi16EPK19rocblas_complex_numIdEPKPS1_EviiT1_lT2_lli.has_dyn_sized_stack, 0
	.set _ZL44rocblas_set_matrix_zero_if_alpha_zero_kernelILi16ELi16EPK19rocblas_complex_numIdEPKPS1_EviiT1_lT2_lli.has_recursion, 0
	.set _ZL44rocblas_set_matrix_zero_if_alpha_zero_kernelILi16ELi16EPK19rocblas_complex_numIdEPKPS1_EviiT1_lT2_lli.has_indirect_call, 0
	.section	.AMDGPU.csdata,"",@progbits
; Kernel info:
; codeLenInByte = 520
; TotalNumSgprs: 24
; NumVgprs: 12
; ScratchSize: 0
; MemoryBound: 0
; FloatMode: 240
; IeeeMode: 1
; LDSByteSize: 0 bytes/workgroup (compile time only)
; SGPRBlocks: 0
; VGPRBlocks: 1
; NumSGPRsForWavesPerEU: 24
; NumVGPRsForWavesPerEU: 12
; Occupancy: 16
; WaveLimiterHint : 0
; COMPUTE_PGM_RSRC2:SCRATCH_EN: 0
; COMPUTE_PGM_RSRC2:USER_SGPR: 2
; COMPUTE_PGM_RSRC2:TRAP_HANDLER: 0
; COMPUTE_PGM_RSRC2:TGID_X_EN: 1
; COMPUTE_PGM_RSRC2:TGID_Y_EN: 1
; COMPUTE_PGM_RSRC2:TGID_Z_EN: 1
; COMPUTE_PGM_RSRC2:TIDIG_COMP_CNT: 1
	.section	.text._ZL44rocblas_set_matrix_zero_if_alpha_zero_kernelILi16ELi16E19rocblas_complex_numIdEPKPS1_EviiT1_lT2_lli,"axG",@progbits,_ZL44rocblas_set_matrix_zero_if_alpha_zero_kernelILi16ELi16E19rocblas_complex_numIdEPKPS1_EviiT1_lT2_lli,comdat
	.globl	_ZL44rocblas_set_matrix_zero_if_alpha_zero_kernelILi16ELi16E19rocblas_complex_numIdEPKPS1_EviiT1_lT2_lli ; -- Begin function _ZL44rocblas_set_matrix_zero_if_alpha_zero_kernelILi16ELi16E19rocblas_complex_numIdEPKPS1_EviiT1_lT2_lli
	.p2align	8
	.type	_ZL44rocblas_set_matrix_zero_if_alpha_zero_kernelILi16ELi16E19rocblas_complex_numIdEPKPS1_EviiT1_lT2_lli,@function
_ZL44rocblas_set_matrix_zero_if_alpha_zero_kernelILi16ELi16E19rocblas_complex_numIdEPKPS1_EviiT1_lT2_lli: ; @_ZL44rocblas_set_matrix_zero_if_alpha_zero_kernelILi16ELi16E19rocblas_complex_numIdEPKPS1_EviiT1_lT2_lli
; %bb.0:
	s_load_b32 s16, s[0:1], 0x38
	s_lshr_b32 s8, ttmp7, 16
	s_wait_kmcnt 0x0
	s_cmp_ge_u32 s8, s16
	s_cbranch_scc1 .LBB205_6
; %bb.1:
	s_clause 0x1
	s_load_b128 s[12:15], s[0:1], 0x8
	s_load_b128 s[4:7], s[0:1], 0x20
	v_bfe_u32 v1, v0, 10, 10
	s_and_b32 s2, ttmp7, 0xffff
	v_dual_mov_b32 v0, 0 :: v_dual_and_b32 v5, 0x3ff, v0
	s_delay_alu instid0(VALU_DEP_2) | instskip(SKIP_1) | instid1(VALU_DEP_2)
	v_lshl_add_u32 v4, s2, 4, v1
	s_load_b64 s[2:3], s[0:1], 0x30
	v_lshl_add_u32 v6, ttmp9, 4, v5
	s_delay_alu instid0(VALU_DEP_3) | instskip(SKIP_1) | instid1(VALU_DEP_2)
	v_mov_b32_e32 v7, v0
	v_mov_b32_e32 v5, v0
	v_lshlrev_b64_e32 v[8:9], 4, v[6:7]
	s_wait_kmcnt 0x0
	v_cmp_eq_f64_e64 s9, s[12:13], 0
	v_cmp_eq_f64_e64 s17, s[14:15], 0
	v_mad_co_u64_u32 v[1:2], null, s6, v4, 0
	s_load_b64 s[12:13], s[0:1], 0x0
	v_mad_co_u64_u32 v[2:3], null, s7, v4, v[2:3]
	s_delay_alu instid0(VALU_DEP_1)
	v_lshlrev_b64_e32 v[1:2], 4, v[1:2]
	s_wait_kmcnt 0x0
	s_ashr_i32 s15, s12, 31
	s_mov_b32 s14, s12
	s_ashr_i32 s11, s13, 31
	s_mov_b32 s10, s13
	s_lshl_b64 s[12:13], s[2:3], 4
	v_cmp_gt_i64_e64 s3, s[10:11], v[4:5]
	s_wait_alu 0xfffe
	v_add_co_u32 v1, s2, v1, s12
	s_wait_alu 0xf1ff
	v_add_co_ci_u32_e64 v2, null, s13, v2, s2
	v_cmp_gt_i64_e32 vcc_lo, s[14:15], v[6:7]
	s_delay_alu instid0(VALU_DEP_3) | instskip(SKIP_1) | instid1(VALU_DEP_3)
	v_add_co_u32 v1, s2, v1, v8
	s_wait_alu 0xf1ff
	v_add_co_ci_u32_e64 v10, null, v2, v9, s2
	s_and_b32 s9, s9, s17
	v_or_b32_e32 v11, 8, v1
	s_add_nc_u64 s[12:13], s[0:1], 64
	s_and_b32 s0, s3, s9
	s_lshl_b64 s[2:3], s[6:7], 4
	s_wait_alu 0xfffe
	s_and_b32 s1, s0, vcc_lo
	s_mov_b32 s7, 0
	s_branch .LBB205_3
.LBB205_2:                              ;   in Loop: Header=BB205_3 Depth=1
	s_or_b32 exec_lo, exec_lo, s17
	s_add_co_i32 s8, s8, 0x10000
	s_delay_alu instid0(SALU_CYCLE_1)
	s_cmp_lt_u32 s8, s16
	s_cbranch_scc0 .LBB205_6
.LBB205_3:                              ; =>This Loop Header: Depth=1
                                        ;     Child Loop BB205_5 Depth 2
	s_wait_alu 0xfffe
	s_and_saveexec_b32 s17, s1
	s_cbranch_execz .LBB205_2
; %bb.4:                                ;   in Loop: Header=BB205_3 Depth=1
	s_mov_b32 s9, s7
	s_load_b32 s0, s[12:13], 0x4
	s_lshl_b64 s[14:15], s[8:9], 3
	v_dual_mov_b32 v9, v5 :: v_dual_mov_b32 v8, v4
	s_wait_alu 0xfffe
	s_add_nc_u64 s[14:15], s[4:5], s[14:15]
	s_mov_b32 s9, 0
	s_load_b64 s[14:15], s[14:15], 0x0
	s_wait_kmcnt 0x0
	s_lshl_b32 s6, s0, 4
	v_add_co_u32 v6, vcc_lo, s14, v11
	s_wait_alu 0xfffd
	v_add_co_ci_u32_e64 v7, null, s15, v10, vcc_lo
	s_wait_alu 0xfffe
	s_mul_u64 s[14:15], s[2:3], s[6:7]
.LBB205_5:                              ;   Parent Loop BB205_3 Depth=1
                                        ; =>  This Inner Loop Header: Depth=2
	v_add_co_u32 v8, vcc_lo, v8, s6
	s_wait_alu 0xfffd
	v_add_co_ci_u32_e64 v9, null, 0, v9, vcc_lo
	v_dual_mov_b32 v1, v0 :: v_dual_mov_b32 v2, v0
	v_mov_b32_e32 v3, v0
	s_delay_alu instid0(VALU_DEP_3)
	v_cmp_le_i64_e32 vcc_lo, s[10:11], v[8:9]
	flat_store_b128 v[6:7], v[0:3] offset:-8
	s_wait_alu 0xfffe
	v_add_co_u32 v6, s0, v6, s14
	s_wait_alu 0xf1ff
	v_add_co_ci_u32_e64 v7, null, s15, v7, s0
	s_or_b32 s9, vcc_lo, s9
	s_delay_alu instid0(SALU_CYCLE_1)
	s_and_not1_b32 exec_lo, exec_lo, s9
	s_cbranch_execnz .LBB205_5
	s_branch .LBB205_2
.LBB205_6:
	s_endpgm
	.section	.rodata,"a",@progbits
	.p2align	6, 0x0
	.amdhsa_kernel _ZL44rocblas_set_matrix_zero_if_alpha_zero_kernelILi16ELi16E19rocblas_complex_numIdEPKPS1_EviiT1_lT2_lli
		.amdhsa_group_segment_fixed_size 0
		.amdhsa_private_segment_fixed_size 0
		.amdhsa_kernarg_size 320
		.amdhsa_user_sgpr_count 2
		.amdhsa_user_sgpr_dispatch_ptr 0
		.amdhsa_user_sgpr_queue_ptr 0
		.amdhsa_user_sgpr_kernarg_segment_ptr 1
		.amdhsa_user_sgpr_dispatch_id 0
		.amdhsa_user_sgpr_private_segment_size 0
		.amdhsa_wavefront_size32 1
		.amdhsa_uses_dynamic_stack 0
		.amdhsa_enable_private_segment 0
		.amdhsa_system_sgpr_workgroup_id_x 1
		.amdhsa_system_sgpr_workgroup_id_y 1
		.amdhsa_system_sgpr_workgroup_id_z 1
		.amdhsa_system_sgpr_workgroup_info 0
		.amdhsa_system_vgpr_workitem_id 1
		.amdhsa_next_free_vgpr 12
		.amdhsa_next_free_sgpr 18
		.amdhsa_reserve_vcc 1
		.amdhsa_float_round_mode_32 0
		.amdhsa_float_round_mode_16_64 0
		.amdhsa_float_denorm_mode_32 3
		.amdhsa_float_denorm_mode_16_64 3
		.amdhsa_fp16_overflow 0
		.amdhsa_workgroup_processor_mode 1
		.amdhsa_memory_ordered 1
		.amdhsa_forward_progress 1
		.amdhsa_inst_pref_size 4
		.amdhsa_round_robin_scheduling 0
		.amdhsa_exception_fp_ieee_invalid_op 0
		.amdhsa_exception_fp_denorm_src 0
		.amdhsa_exception_fp_ieee_div_zero 0
		.amdhsa_exception_fp_ieee_overflow 0
		.amdhsa_exception_fp_ieee_underflow 0
		.amdhsa_exception_fp_ieee_inexact 0
		.amdhsa_exception_int_div_zero 0
	.end_amdhsa_kernel
	.section	.text._ZL44rocblas_set_matrix_zero_if_alpha_zero_kernelILi16ELi16E19rocblas_complex_numIdEPKPS1_EviiT1_lT2_lli,"axG",@progbits,_ZL44rocblas_set_matrix_zero_if_alpha_zero_kernelILi16ELi16E19rocblas_complex_numIdEPKPS1_EviiT1_lT2_lli,comdat
.Lfunc_end205:
	.size	_ZL44rocblas_set_matrix_zero_if_alpha_zero_kernelILi16ELi16E19rocblas_complex_numIdEPKPS1_EviiT1_lT2_lli, .Lfunc_end205-_ZL44rocblas_set_matrix_zero_if_alpha_zero_kernelILi16ELi16E19rocblas_complex_numIdEPKPS1_EviiT1_lT2_lli
                                        ; -- End function
	.set _ZL44rocblas_set_matrix_zero_if_alpha_zero_kernelILi16ELi16E19rocblas_complex_numIdEPKPS1_EviiT1_lT2_lli.num_vgpr, 12
	.set _ZL44rocblas_set_matrix_zero_if_alpha_zero_kernelILi16ELi16E19rocblas_complex_numIdEPKPS1_EviiT1_lT2_lli.num_agpr, 0
	.set _ZL44rocblas_set_matrix_zero_if_alpha_zero_kernelILi16ELi16E19rocblas_complex_numIdEPKPS1_EviiT1_lT2_lli.numbered_sgpr, 18
	.set _ZL44rocblas_set_matrix_zero_if_alpha_zero_kernelILi16ELi16E19rocblas_complex_numIdEPKPS1_EviiT1_lT2_lli.num_named_barrier, 0
	.set _ZL44rocblas_set_matrix_zero_if_alpha_zero_kernelILi16ELi16E19rocblas_complex_numIdEPKPS1_EviiT1_lT2_lli.private_seg_size, 0
	.set _ZL44rocblas_set_matrix_zero_if_alpha_zero_kernelILi16ELi16E19rocblas_complex_numIdEPKPS1_EviiT1_lT2_lli.uses_vcc, 1
	.set _ZL44rocblas_set_matrix_zero_if_alpha_zero_kernelILi16ELi16E19rocblas_complex_numIdEPKPS1_EviiT1_lT2_lli.uses_flat_scratch, 0
	.set _ZL44rocblas_set_matrix_zero_if_alpha_zero_kernelILi16ELi16E19rocblas_complex_numIdEPKPS1_EviiT1_lT2_lli.has_dyn_sized_stack, 0
	.set _ZL44rocblas_set_matrix_zero_if_alpha_zero_kernelILi16ELi16E19rocblas_complex_numIdEPKPS1_EviiT1_lT2_lli.has_recursion, 0
	.set _ZL44rocblas_set_matrix_zero_if_alpha_zero_kernelILi16ELi16E19rocblas_complex_numIdEPKPS1_EviiT1_lT2_lli.has_indirect_call, 0
	.section	.AMDGPU.csdata,"",@progbits
; Kernel info:
; codeLenInByte = 504
; TotalNumSgprs: 20
; NumVgprs: 12
; ScratchSize: 0
; MemoryBound: 0
; FloatMode: 240
; IeeeMode: 1
; LDSByteSize: 0 bytes/workgroup (compile time only)
; SGPRBlocks: 0
; VGPRBlocks: 1
; NumSGPRsForWavesPerEU: 20
; NumVGPRsForWavesPerEU: 12
; Occupancy: 16
; WaveLimiterHint : 0
; COMPUTE_PGM_RSRC2:SCRATCH_EN: 0
; COMPUTE_PGM_RSRC2:USER_SGPR: 2
; COMPUTE_PGM_RSRC2:TRAP_HANDLER: 0
; COMPUTE_PGM_RSRC2:TGID_X_EN: 1
; COMPUTE_PGM_RSRC2:TGID_Y_EN: 1
; COMPUTE_PGM_RSRC2:TGID_Z_EN: 1
; COMPUTE_PGM_RSRC2:TIDIG_COMP_CNT: 1
	.section	.text._ZL44rocblas_set_matrix_zero_if_alpha_zero_kernelILi16ELi16EPK19rocblas_complex_numIdEPS1_EviiT1_lT2_lli,"axG",@progbits,_ZL44rocblas_set_matrix_zero_if_alpha_zero_kernelILi16ELi16EPK19rocblas_complex_numIdEPS1_EviiT1_lT2_lli,comdat
	.globl	_ZL44rocblas_set_matrix_zero_if_alpha_zero_kernelILi16ELi16EPK19rocblas_complex_numIdEPS1_EviiT1_lT2_lli ; -- Begin function _ZL44rocblas_set_matrix_zero_if_alpha_zero_kernelILi16ELi16EPK19rocblas_complex_numIdEPS1_EviiT1_lT2_lli
	.p2align	8
	.type	_ZL44rocblas_set_matrix_zero_if_alpha_zero_kernelILi16ELi16EPK19rocblas_complex_numIdEPS1_EviiT1_lT2_lli,@function
_ZL44rocblas_set_matrix_zero_if_alpha_zero_kernelILi16ELi16EPK19rocblas_complex_numIdEPS1_EviiT1_lT2_lli: ; @_ZL44rocblas_set_matrix_zero_if_alpha_zero_kernelILi16ELi16EPK19rocblas_complex_numIdEPS1_EviiT1_lT2_lli
; %bb.0:
	s_load_b32 s20, s[0:1], 0x30
	s_lshr_b32 s12, ttmp7, 16
	s_wait_kmcnt 0x0
	s_cmp_ge_u32 s12, s20
	s_cbranch_scc1 .LBB206_6
; %bb.1:
	s_load_b256 s[4:11], s[0:1], 0x8
	v_bfe_u32 v1, v0, 10, 10
	s_and_b32 s2, ttmp7, 0xffff
	v_dual_mov_b32 v0, 0 :: v_dual_and_b32 v5, 0x3ff, v0
	s_load_b64 s[18:19], s[0:1], 0x28
	s_delay_alu instid0(VALU_DEP_2) | instskip(SKIP_1) | instid1(VALU_DEP_2)
	v_lshl_add_u32 v4, s2, 4, v1
	s_load_b64 s[2:3], s[0:1], 0x0
	v_lshl_add_u32 v6, ttmp9, 4, v5
	v_mov_b32_e32 v7, v0
	v_mov_b32_e32 v5, v0
	s_mov_b32 s13, 0
	s_delay_alu instid0(VALU_DEP_2)
	v_lshlrev_b64_e32 v[8:9], 4, v[6:7]
	s_wait_kmcnt 0x0
	v_mad_co_u64_u32 v[1:2], null, s10, v4, 0
	s_ashr_i32 s15, s3, 31
	v_mad_co_u64_u32 v[2:3], null, s11, v4, v[2:3]
	s_mov_b32 s14, s3
	s_ashr_i32 s17, s2, 31
	s_mov_b32 s16, s2
	v_cmp_gt_i64_e64 s2, s[14:15], v[4:5]
	v_cmp_gt_i64_e32 vcc_lo, s[16:17], v[6:7]
	s_add_nc_u64 s[16:17], s[0:1], 56
	v_lshlrev_b64_e32 v[1:2], 4, v[1:2]
	s_and_b32 s1, s2, vcc_lo
	s_delay_alu instid0(VALU_DEP_1) | instskip(SKIP_1) | instid1(VALU_DEP_2)
	v_add_co_u32 v1, s3, v1, v8
	s_wait_alu 0xf1ff
	v_add_co_ci_u32_e64 v2, null, v2, v9, s3
	s_lshl_b64 s[2:3], s[18:19], 4
	v_add_co_u32 v1, s0, s8, v1
	s_wait_alu 0xf1ff
	v_add_co_ci_u32_e64 v2, null, s9, v2, s0
	s_lshl_b64 s[8:9], s[10:11], 4
	v_add_co_u32 v6, vcc_lo, v1, 8
	s_delay_alu instid0(VALU_DEP_1)
	v_add_co_ci_u32_e64 v7, null, 0, v2, vcc_lo
	s_branch .LBB206_3
.LBB206_2:                              ;   in Loop: Header=BB206_3 Depth=1
	s_or_b32 exec_lo, exec_lo, s21
	s_add_co_i32 s12, s12, 0x10000
	s_wait_alu 0xfffe
	s_cmp_lt_u32 s12, s20
	s_cbranch_scc0 .LBB206_6
.LBB206_3:                              ; =>This Loop Header: Depth=1
                                        ;     Child Loop BB206_5 Depth 2
	s_mul_u64 s[10:11], s[6:7], s[12:13]
	s_wait_alu 0xfffe
	s_lshl_b64 s[10:11], s[10:11], 4
	s_wait_alu 0xfffe
	s_add_nc_u64 s[10:11], s[4:5], s[10:11]
	global_load_b128 v[8:11], v0, s[10:11]
	s_wait_loadcnt 0x0
	v_cmp_eq_f64_e32 vcc_lo, 0, v[8:9]
	v_cmp_eq_f64_e64 s0, 0, v[10:11]
	s_and_b32 s0, vcc_lo, s0
	s_wait_alu 0xfffe
	s_and_b32 s0, s0, s1
	s_wait_alu 0xfffe
	s_and_saveexec_b32 s21, s0
	s_cbranch_execz .LBB206_2
; %bb.4:                                ;   in Loop: Header=BB206_3 Depth=1
	v_mad_co_u64_u32 v[8:9], null, s2, s12, v[6:7]
	s_load_b32 s0, s[16:17], 0x4
	v_mov_b32_e32 v11, v5
	s_mov_b32 s11, s13
	v_dual_mov_b32 v10, v4 :: v_dual_mov_b32 v1, v9
	s_delay_alu instid0(VALU_DEP_1) | instskip(NEXT) | instid1(VALU_DEP_1)
	v_mad_co_u64_u32 v[1:2], null, s3, s12, v[1:2]
	v_mov_b32_e32 v9, v1
	s_wait_kmcnt 0x0
	s_lshl_b32 s10, s0, 4
	s_wait_alu 0xfffe
	s_mul_u64 s[18:19], s[8:9], s[10:11]
	s_mov_b32 s11, 0
.LBB206_5:                              ;   Parent Loop BB206_3 Depth=1
                                        ; =>  This Inner Loop Header: Depth=2
	v_add_co_u32 v10, vcc_lo, v10, s10
	s_wait_alu 0xfffd
	v_add_co_ci_u32_e64 v11, null, 0, v11, vcc_lo
	v_dual_mov_b32 v1, v0 :: v_dual_mov_b32 v2, v0
	v_mov_b32_e32 v3, v0
	s_delay_alu instid0(VALU_DEP_3)
	v_cmp_le_i64_e32 vcc_lo, s[14:15], v[10:11]
	global_store_b128 v[8:9], v[0:3], off offset:-8
	s_wait_alu 0xfffe
	v_add_co_u32 v8, s0, v8, s18
	s_wait_alu 0xf1ff
	v_add_co_ci_u32_e64 v9, null, s19, v9, s0
	s_or_b32 s11, vcc_lo, s11
	s_wait_alu 0xfffe
	s_and_not1_b32 exec_lo, exec_lo, s11
	s_cbranch_execnz .LBB206_5
	s_branch .LBB206_2
.LBB206_6:
	s_endpgm
	.section	.rodata,"a",@progbits
	.p2align	6, 0x0
	.amdhsa_kernel _ZL44rocblas_set_matrix_zero_if_alpha_zero_kernelILi16ELi16EPK19rocblas_complex_numIdEPS1_EviiT1_lT2_lli
		.amdhsa_group_segment_fixed_size 0
		.amdhsa_private_segment_fixed_size 0
		.amdhsa_kernarg_size 312
		.amdhsa_user_sgpr_count 2
		.amdhsa_user_sgpr_dispatch_ptr 0
		.amdhsa_user_sgpr_queue_ptr 0
		.amdhsa_user_sgpr_kernarg_segment_ptr 1
		.amdhsa_user_sgpr_dispatch_id 0
		.amdhsa_user_sgpr_private_segment_size 0
		.amdhsa_wavefront_size32 1
		.amdhsa_uses_dynamic_stack 0
		.amdhsa_enable_private_segment 0
		.amdhsa_system_sgpr_workgroup_id_x 1
		.amdhsa_system_sgpr_workgroup_id_y 1
		.amdhsa_system_sgpr_workgroup_id_z 1
		.amdhsa_system_sgpr_workgroup_info 0
		.amdhsa_system_vgpr_workitem_id 1
		.amdhsa_next_free_vgpr 12
		.amdhsa_next_free_sgpr 22
		.amdhsa_reserve_vcc 1
		.amdhsa_float_round_mode_32 0
		.amdhsa_float_round_mode_16_64 0
		.amdhsa_float_denorm_mode_32 3
		.amdhsa_float_denorm_mode_16_64 3
		.amdhsa_fp16_overflow 0
		.amdhsa_workgroup_processor_mode 1
		.amdhsa_memory_ordered 1
		.amdhsa_forward_progress 1
		.amdhsa_inst_pref_size 5
		.amdhsa_round_robin_scheduling 0
		.amdhsa_exception_fp_ieee_invalid_op 0
		.amdhsa_exception_fp_denorm_src 0
		.amdhsa_exception_fp_ieee_div_zero 0
		.amdhsa_exception_fp_ieee_overflow 0
		.amdhsa_exception_fp_ieee_underflow 0
		.amdhsa_exception_fp_ieee_inexact 0
		.amdhsa_exception_int_div_zero 0
	.end_amdhsa_kernel
	.section	.text._ZL44rocblas_set_matrix_zero_if_alpha_zero_kernelILi16ELi16EPK19rocblas_complex_numIdEPS1_EviiT1_lT2_lli,"axG",@progbits,_ZL44rocblas_set_matrix_zero_if_alpha_zero_kernelILi16ELi16EPK19rocblas_complex_numIdEPS1_EviiT1_lT2_lli,comdat
.Lfunc_end206:
	.size	_ZL44rocblas_set_matrix_zero_if_alpha_zero_kernelILi16ELi16EPK19rocblas_complex_numIdEPS1_EviiT1_lT2_lli, .Lfunc_end206-_ZL44rocblas_set_matrix_zero_if_alpha_zero_kernelILi16ELi16EPK19rocblas_complex_numIdEPS1_EviiT1_lT2_lli
                                        ; -- End function
	.set _ZL44rocblas_set_matrix_zero_if_alpha_zero_kernelILi16ELi16EPK19rocblas_complex_numIdEPS1_EviiT1_lT2_lli.num_vgpr, 12
	.set _ZL44rocblas_set_matrix_zero_if_alpha_zero_kernelILi16ELi16EPK19rocblas_complex_numIdEPS1_EviiT1_lT2_lli.num_agpr, 0
	.set _ZL44rocblas_set_matrix_zero_if_alpha_zero_kernelILi16ELi16EPK19rocblas_complex_numIdEPS1_EviiT1_lT2_lli.numbered_sgpr, 22
	.set _ZL44rocblas_set_matrix_zero_if_alpha_zero_kernelILi16ELi16EPK19rocblas_complex_numIdEPS1_EviiT1_lT2_lli.num_named_barrier, 0
	.set _ZL44rocblas_set_matrix_zero_if_alpha_zero_kernelILi16ELi16EPK19rocblas_complex_numIdEPS1_EviiT1_lT2_lli.private_seg_size, 0
	.set _ZL44rocblas_set_matrix_zero_if_alpha_zero_kernelILi16ELi16EPK19rocblas_complex_numIdEPS1_EviiT1_lT2_lli.uses_vcc, 1
	.set _ZL44rocblas_set_matrix_zero_if_alpha_zero_kernelILi16ELi16EPK19rocblas_complex_numIdEPS1_EviiT1_lT2_lli.uses_flat_scratch, 0
	.set _ZL44rocblas_set_matrix_zero_if_alpha_zero_kernelILi16ELi16EPK19rocblas_complex_numIdEPS1_EviiT1_lT2_lli.has_dyn_sized_stack, 0
	.set _ZL44rocblas_set_matrix_zero_if_alpha_zero_kernelILi16ELi16EPK19rocblas_complex_numIdEPS1_EviiT1_lT2_lli.has_recursion, 0
	.set _ZL44rocblas_set_matrix_zero_if_alpha_zero_kernelILi16ELi16EPK19rocblas_complex_numIdEPS1_EviiT1_lT2_lli.has_indirect_call, 0
	.section	.AMDGPU.csdata,"",@progbits
; Kernel info:
; codeLenInByte = 516
; TotalNumSgprs: 24
; NumVgprs: 12
; ScratchSize: 0
; MemoryBound: 0
; FloatMode: 240
; IeeeMode: 1
; LDSByteSize: 0 bytes/workgroup (compile time only)
; SGPRBlocks: 0
; VGPRBlocks: 1
; NumSGPRsForWavesPerEU: 24
; NumVGPRsForWavesPerEU: 12
; Occupancy: 16
; WaveLimiterHint : 0
; COMPUTE_PGM_RSRC2:SCRATCH_EN: 0
; COMPUTE_PGM_RSRC2:USER_SGPR: 2
; COMPUTE_PGM_RSRC2:TRAP_HANDLER: 0
; COMPUTE_PGM_RSRC2:TGID_X_EN: 1
; COMPUTE_PGM_RSRC2:TGID_Y_EN: 1
; COMPUTE_PGM_RSRC2:TGID_Z_EN: 1
; COMPUTE_PGM_RSRC2:TIDIG_COMP_CNT: 1
	.section	.text._ZL44rocblas_set_matrix_zero_if_alpha_zero_kernelILi16ELi16E19rocblas_complex_numIdEPS1_EviiT1_lT2_lli,"axG",@progbits,_ZL44rocblas_set_matrix_zero_if_alpha_zero_kernelILi16ELi16E19rocblas_complex_numIdEPS1_EviiT1_lT2_lli,comdat
	.globl	_ZL44rocblas_set_matrix_zero_if_alpha_zero_kernelILi16ELi16E19rocblas_complex_numIdEPS1_EviiT1_lT2_lli ; -- Begin function _ZL44rocblas_set_matrix_zero_if_alpha_zero_kernelILi16ELi16E19rocblas_complex_numIdEPS1_EviiT1_lT2_lli
	.p2align	8
	.type	_ZL44rocblas_set_matrix_zero_if_alpha_zero_kernelILi16ELi16E19rocblas_complex_numIdEPS1_EviiT1_lT2_lli,@function
_ZL44rocblas_set_matrix_zero_if_alpha_zero_kernelILi16ELi16E19rocblas_complex_numIdEPS1_EviiT1_lT2_lli: ; @_ZL44rocblas_set_matrix_zero_if_alpha_zero_kernelILi16ELi16E19rocblas_complex_numIdEPS1_EviiT1_lT2_lli
; %bb.0:
	s_load_b32 s14, s[0:1], 0x38
	s_lshr_b32 s15, ttmp7, 16
	s_wait_kmcnt 0x0
	s_cmp_ge_u32 s15, s14
	s_cbranch_scc1 .LBB207_6
; %bb.1:
	s_clause 0x1
	s_load_b128 s[8:11], s[0:1], 0x8
	s_load_b128 s[4:7], s[0:1], 0x20
	v_bfe_u32 v1, v0, 10, 10
	s_and_b32 s2, ttmp7, 0xffff
	v_dual_mov_b32 v0, 0 :: v_dual_and_b32 v5, 0x3ff, v0
	s_load_b64 s[12:13], s[0:1], 0x0
	s_delay_alu instid0(VALU_DEP_2) | instskip(SKIP_1) | instid1(VALU_DEP_2)
	v_lshl_add_u32 v4, s2, 4, v1
	s_add_nc_u64 s[2:3], s[0:1], 64
	v_lshl_add_u32 v6, ttmp9, 4, v5
	v_mov_b32_e32 v7, v0
	v_mov_b32_e32 v5, v0
	s_delay_alu instid0(VALU_DEP_2)
	v_lshlrev_b64_e32 v[8:9], 4, v[6:7]
	s_wait_kmcnt 0x0
	v_cmp_eq_f64_e64 s16, s[8:9], 0
	v_cmp_eq_f64_e64 s17, s[10:11], 0
	s_load_b64 s[10:11], s[0:1], 0x30
	v_mad_co_u64_u32 v[1:2], null, s6, v4, 0
	s_ashr_i32 s1, s12, 31
	s_mov_b32 s0, s12
	s_ashr_i32 s9, s13, 31
	s_mov_b32 s8, s13
	s_wait_alu 0xfffe
	v_cmp_gt_i64_e32 vcc_lo, s[0:1], v[6:7]
	v_mad_co_u64_u32 v[2:3], null, s7, v4, v[2:3]
	v_cmp_gt_i64_e64 s0, s[8:9], v[4:5]
	s_lshl_b64 s[6:7], s[6:7], 4
	v_lshlrev_b64_e32 v[1:2], 4, v[1:2]
	s_delay_alu instid0(VALU_DEP_1) | instskip(SKIP_1) | instid1(VALU_DEP_2)
	v_add_co_u32 v1, s1, v1, v8
	s_wait_alu 0xf1ff
	v_add_co_ci_u32_e64 v2, null, v2, v9, s1
	s_and_b32 s12, s16, s17
	s_delay_alu instid0(SALU_CYCLE_1)
	s_and_b32 s1, s0, s12
	v_add_co_u32 v1, s0, s4, v1
	s_wait_alu 0xf1ff
	v_add_co_ci_u32_e64 v2, null, s5, v2, s0
	s_wait_alu 0xfffe
	s_and_b32 s1, s1, vcc_lo
	v_add_co_u32 v6, vcc_lo, v1, 8
	s_delay_alu instid0(VALU_DEP_1)
	v_add_co_ci_u32_e64 v7, null, 0, v2, vcc_lo
	s_wait_kmcnt 0x0
	s_lshl_b64 s[4:5], s[10:11], 4
	s_mov_b32 s11, 0
	s_branch .LBB207_3
.LBB207_2:                              ;   in Loop: Header=BB207_3 Depth=1
	s_or_b32 exec_lo, exec_lo, s16
	s_add_co_i32 s15, s15, 0x10000
	s_wait_alu 0xfffe
	s_cmp_lt_u32 s15, s14
	s_cbranch_scc0 .LBB207_6
.LBB207_3:                              ; =>This Loop Header: Depth=1
                                        ;     Child Loop BB207_5 Depth 2
	s_wait_alu 0xfffe
	s_and_saveexec_b32 s16, s1
	s_cbranch_execz .LBB207_2
; %bb.4:                                ;   in Loop: Header=BB207_3 Depth=1
	v_mad_co_u64_u32 v[8:9], null, s4, s15, v[6:7]
	s_load_b32 s0, s[2:3], 0x4
	v_mov_b32_e32 v11, v5
	s_mov_b32 s17, 0
	v_dual_mov_b32 v10, v4 :: v_dual_mov_b32 v1, v9
	s_delay_alu instid0(VALU_DEP_1) | instskip(NEXT) | instid1(VALU_DEP_1)
	v_mad_co_u64_u32 v[1:2], null, s5, s15, v[1:2]
	v_mov_b32_e32 v9, v1
	s_wait_kmcnt 0x0
	s_lshl_b32 s10, s0, 4
	s_wait_alu 0xfffe
	s_mul_u64 s[12:13], s[6:7], s[10:11]
.LBB207_5:                              ;   Parent Loop BB207_3 Depth=1
                                        ; =>  This Inner Loop Header: Depth=2
	v_add_co_u32 v10, vcc_lo, v10, s10
	s_wait_alu 0xfffd
	v_add_co_ci_u32_e64 v11, null, 0, v11, vcc_lo
	v_dual_mov_b32 v1, v0 :: v_dual_mov_b32 v2, v0
	v_mov_b32_e32 v3, v0
	s_delay_alu instid0(VALU_DEP_3)
	v_cmp_le_i64_e32 vcc_lo, s[8:9], v[10:11]
	global_store_b128 v[8:9], v[0:3], off offset:-8
	s_wait_alu 0xfffe
	v_add_co_u32 v8, s0, v8, s12
	s_wait_alu 0xf1ff
	v_add_co_ci_u32_e64 v9, null, s13, v9, s0
	s_or_b32 s17, vcc_lo, s17
	s_delay_alu instid0(SALU_CYCLE_1)
	s_and_not1_b32 exec_lo, exec_lo, s17
	s_cbranch_execnz .LBB207_5
	s_branch .LBB207_2
.LBB207_6:
	s_endpgm
	.section	.rodata,"a",@progbits
	.p2align	6, 0x0
	.amdhsa_kernel _ZL44rocblas_set_matrix_zero_if_alpha_zero_kernelILi16ELi16E19rocblas_complex_numIdEPS1_EviiT1_lT2_lli
		.amdhsa_group_segment_fixed_size 0
		.amdhsa_private_segment_fixed_size 0
		.amdhsa_kernarg_size 320
		.amdhsa_user_sgpr_count 2
		.amdhsa_user_sgpr_dispatch_ptr 0
		.amdhsa_user_sgpr_queue_ptr 0
		.amdhsa_user_sgpr_kernarg_segment_ptr 1
		.amdhsa_user_sgpr_dispatch_id 0
		.amdhsa_user_sgpr_private_segment_size 0
		.amdhsa_wavefront_size32 1
		.amdhsa_uses_dynamic_stack 0
		.amdhsa_enable_private_segment 0
		.amdhsa_system_sgpr_workgroup_id_x 1
		.amdhsa_system_sgpr_workgroup_id_y 1
		.amdhsa_system_sgpr_workgroup_id_z 1
		.amdhsa_system_sgpr_workgroup_info 0
		.amdhsa_system_vgpr_workitem_id 1
		.amdhsa_next_free_vgpr 12
		.amdhsa_next_free_sgpr 18
		.amdhsa_reserve_vcc 1
		.amdhsa_float_round_mode_32 0
		.amdhsa_float_round_mode_16_64 0
		.amdhsa_float_denorm_mode_32 3
		.amdhsa_float_denorm_mode_16_64 3
		.amdhsa_fp16_overflow 0
		.amdhsa_workgroup_processor_mode 1
		.amdhsa_memory_ordered 1
		.amdhsa_forward_progress 1
		.amdhsa_inst_pref_size 4
		.amdhsa_round_robin_scheduling 0
		.amdhsa_exception_fp_ieee_invalid_op 0
		.amdhsa_exception_fp_denorm_src 0
		.amdhsa_exception_fp_ieee_div_zero 0
		.amdhsa_exception_fp_ieee_overflow 0
		.amdhsa_exception_fp_ieee_underflow 0
		.amdhsa_exception_fp_ieee_inexact 0
		.amdhsa_exception_int_div_zero 0
	.end_amdhsa_kernel
	.section	.text._ZL44rocblas_set_matrix_zero_if_alpha_zero_kernelILi16ELi16E19rocblas_complex_numIdEPS1_EviiT1_lT2_lli,"axG",@progbits,_ZL44rocblas_set_matrix_zero_if_alpha_zero_kernelILi16ELi16E19rocblas_complex_numIdEPS1_EviiT1_lT2_lli,comdat
.Lfunc_end207:
	.size	_ZL44rocblas_set_matrix_zero_if_alpha_zero_kernelILi16ELi16E19rocblas_complex_numIdEPS1_EviiT1_lT2_lli, .Lfunc_end207-_ZL44rocblas_set_matrix_zero_if_alpha_zero_kernelILi16ELi16E19rocblas_complex_numIdEPS1_EviiT1_lT2_lli
                                        ; -- End function
	.set _ZL44rocblas_set_matrix_zero_if_alpha_zero_kernelILi16ELi16E19rocblas_complex_numIdEPS1_EviiT1_lT2_lli.num_vgpr, 12
	.set _ZL44rocblas_set_matrix_zero_if_alpha_zero_kernelILi16ELi16E19rocblas_complex_numIdEPS1_EviiT1_lT2_lli.num_agpr, 0
	.set _ZL44rocblas_set_matrix_zero_if_alpha_zero_kernelILi16ELi16E19rocblas_complex_numIdEPS1_EviiT1_lT2_lli.numbered_sgpr, 18
	.set _ZL44rocblas_set_matrix_zero_if_alpha_zero_kernelILi16ELi16E19rocblas_complex_numIdEPS1_EviiT1_lT2_lli.num_named_barrier, 0
	.set _ZL44rocblas_set_matrix_zero_if_alpha_zero_kernelILi16ELi16E19rocblas_complex_numIdEPS1_EviiT1_lT2_lli.private_seg_size, 0
	.set _ZL44rocblas_set_matrix_zero_if_alpha_zero_kernelILi16ELi16E19rocblas_complex_numIdEPS1_EviiT1_lT2_lli.uses_vcc, 1
	.set _ZL44rocblas_set_matrix_zero_if_alpha_zero_kernelILi16ELi16E19rocblas_complex_numIdEPS1_EviiT1_lT2_lli.uses_flat_scratch, 0
	.set _ZL44rocblas_set_matrix_zero_if_alpha_zero_kernelILi16ELi16E19rocblas_complex_numIdEPS1_EviiT1_lT2_lli.has_dyn_sized_stack, 0
	.set _ZL44rocblas_set_matrix_zero_if_alpha_zero_kernelILi16ELi16E19rocblas_complex_numIdEPS1_EviiT1_lT2_lli.has_recursion, 0
	.set _ZL44rocblas_set_matrix_zero_if_alpha_zero_kernelILi16ELi16E19rocblas_complex_numIdEPS1_EviiT1_lT2_lli.has_indirect_call, 0
	.section	.AMDGPU.csdata,"",@progbits
; Kernel info:
; codeLenInByte = 504
; TotalNumSgprs: 20
; NumVgprs: 12
; ScratchSize: 0
; MemoryBound: 0
; FloatMode: 240
; IeeeMode: 1
; LDSByteSize: 0 bytes/workgroup (compile time only)
; SGPRBlocks: 0
; VGPRBlocks: 1
; NumSGPRsForWavesPerEU: 20
; NumVGPRsForWavesPerEU: 12
; Occupancy: 16
; WaveLimiterHint : 0
; COMPUTE_PGM_RSRC2:SCRATCH_EN: 0
; COMPUTE_PGM_RSRC2:USER_SGPR: 2
; COMPUTE_PGM_RSRC2:TRAP_HANDLER: 0
; COMPUTE_PGM_RSRC2:TGID_X_EN: 1
; COMPUTE_PGM_RSRC2:TGID_Y_EN: 1
; COMPUTE_PGM_RSRC2:TGID_Z_EN: 1
; COMPUTE_PGM_RSRC2:TIDIG_COMP_CNT: 1
	.section	.AMDGPU.gpr_maximums,"",@progbits
	.set amdgpu.max_num_vgpr, 0
	.set amdgpu.max_num_agpr, 0
	.set amdgpu.max_num_sgpr, 0
	.section	.AMDGPU.csdata,"",@progbits
	.type	__hip_cuid_fcaf4d850985eb57,@object ; @__hip_cuid_fcaf4d850985eb57
	.section	.bss,"aw",@nobits
	.globl	__hip_cuid_fcaf4d850985eb57
__hip_cuid_fcaf4d850985eb57:
	.byte	0                               ; 0x0
	.size	__hip_cuid_fcaf4d850985eb57, 1

	.ident	"AMD clang version 22.0.0git (https://github.com/RadeonOpenCompute/llvm-project roc-7.2.4 26084 f58b06dce1f9c15707c5f808fd002e18c2accf7e)"
	.section	".note.GNU-stack","",@progbits
	.addrsig
	.addrsig_sym __hip_cuid_fcaf4d850985eb57
	.amdgpu_metadata
---
amdhsa.kernels:
  - .args:
      - .offset:         0
        .size:           4
        .value_kind:     by_value
      - .offset:         4
        .size:           4
        .value_kind:     by_value
      - .offset:         8
        .size:           4
        .value_kind:     by_value
      - .address_space:  global
        .offset:         16
        .size:           8
        .value_kind:     global_buffer
      - .offset:         24
        .size:           8
        .value_kind:     by_value
      - .address_space:  global
        .offset:         32
        .size:           8
        .value_kind:     global_buffer
      - .offset:         40
        .size:           8
        .value_kind:     by_value
      - .offset:         48
        .size:           8
        .value_kind:     by_value
      - .offset:         56
        .size:           8
        .value_kind:     by_value
      - .address_space:  global
        .offset:         64
        .size:           8
        .value_kind:     global_buffer
      - .offset:         72
        .size:           8
        .value_kind:     by_value
      - .offset:         80
        .size:           8
        .value_kind:     by_value
      - .offset:         88
        .size:           8
        .value_kind:     by_value
      - .address_space:  global
        .offset:         96
        .size:           8
        .value_kind:     global_buffer
      - .offset:         104
        .size:           8
        .value_kind:     by_value
      - .offset:         112
        .size:           8
        .value_kind:     by_value
      - .offset:         120
        .size:           8
        .value_kind:     by_value
      - .offset:         128
        .size:           4
        .value_kind:     by_value
      - .offset:         136
        .size:           4
        .value_kind:     hidden_block_count_x
      - .offset:         140
        .size:           4
        .value_kind:     hidden_block_count_y
      - .offset:         144
        .size:           4
        .value_kind:     hidden_block_count_z
      - .offset:         148
        .size:           2
        .value_kind:     hidden_group_size_x
      - .offset:         150
        .size:           2
        .value_kind:     hidden_group_size_y
      - .offset:         152
        .size:           2
        .value_kind:     hidden_group_size_z
      - .offset:         154
        .size:           2
        .value_kind:     hidden_remainder_x
      - .offset:         156
        .size:           2
        .value_kind:     hidden_remainder_y
      - .offset:         158
        .size:           2
        .value_kind:     hidden_remainder_z
      - .offset:         176
        .size:           8
        .value_kind:     hidden_global_offset_x
      - .offset:         184
        .size:           8
        .value_kind:     hidden_global_offset_y
      - .offset:         192
        .size:           8
        .value_kind:     hidden_global_offset_z
      - .offset:         200
        .size:           2
        .value_kind:     hidden_grid_dims
    .group_segment_fixed_size: 8192
    .kernarg_segment_align: 8
    .kernarg_segment_size: 392
    .language:       OpenCL C
    .language_version:
      - 2
      - 0
    .max_flat_workgroup_size: 1024
    .name:           _ZL30rocblas_trmm_outofplace_kernelIfLi32ELi2ELb1ELb0ELb0ELb0EPKfS0_fEv17rocblas_diagonal_iiT6_lPT7_lllS5_lllPT8_llli
    .private_segment_fixed_size: 0
    .sgpr_count:     59
    .sgpr_spill_count: 0
    .symbol:         _ZL30rocblas_trmm_outofplace_kernelIfLi32ELi2ELb1ELb0ELb0ELb0EPKfS0_fEv17rocblas_diagonal_iiT6_lPT7_lllS5_lllPT8_llli.kd
    .uniform_work_group_size: 1
    .uses_dynamic_stack: false
    .vgpr_count:     76
    .vgpr_spill_count: 0
    .wavefront_size: 32
    .workgroup_processor_mode: 1
  - .args:
      - .offset:         0
        .size:           4
        .value_kind:     by_value
      - .offset:         4
        .size:           4
        .value_kind:     by_value
      - .offset:         8
        .size:           4
        .value_kind:     by_value
      - .offset:         12
        .size:           4
        .value_kind:     by_value
      - .offset:         16
        .size:           8
        .value_kind:     by_value
      - .address_space:  global
        .offset:         24
        .size:           8
        .value_kind:     global_buffer
      - .offset:         32
        .size:           8
        .value_kind:     by_value
      - .offset:         40
        .size:           8
        .value_kind:     by_value
      - .offset:         48
        .size:           8
        .value_kind:     by_value
      - .address_space:  global
        .offset:         56
        .size:           8
        .value_kind:     global_buffer
      - .offset:         64
        .size:           8
        .value_kind:     by_value
      - .offset:         72
        .size:           8
        .value_kind:     by_value
      - .offset:         80
        .size:           8
        .value_kind:     by_value
      - .address_space:  global
        .offset:         88
        .size:           8
        .value_kind:     global_buffer
      - .offset:         96
        .size:           8
        .value_kind:     by_value
      - .offset:         104
        .size:           8
        .value_kind:     by_value
      - .offset:         112
        .size:           8
        .value_kind:     by_value
      - .offset:         120
        .size:           4
        .value_kind:     by_value
      - .offset:         128
        .size:           4
        .value_kind:     hidden_block_count_x
      - .offset:         132
        .size:           4
        .value_kind:     hidden_block_count_y
      - .offset:         136
        .size:           4
        .value_kind:     hidden_block_count_z
      - .offset:         140
        .size:           2
        .value_kind:     hidden_group_size_x
      - .offset:         142
        .size:           2
        .value_kind:     hidden_group_size_y
      - .offset:         144
        .size:           2
        .value_kind:     hidden_group_size_z
      - .offset:         146
        .size:           2
        .value_kind:     hidden_remainder_x
      - .offset:         148
        .size:           2
        .value_kind:     hidden_remainder_y
      - .offset:         150
        .size:           2
        .value_kind:     hidden_remainder_z
      - .offset:         168
        .size:           8
        .value_kind:     hidden_global_offset_x
      - .offset:         176
        .size:           8
        .value_kind:     hidden_global_offset_y
      - .offset:         184
        .size:           8
        .value_kind:     hidden_global_offset_z
      - .offset:         192
        .size:           2
        .value_kind:     hidden_grid_dims
    .group_segment_fixed_size: 8192
    .kernarg_segment_align: 8
    .kernarg_segment_size: 384
    .language:       OpenCL C
    .language_version:
      - 2
      - 0
    .max_flat_workgroup_size: 1024
    .name:           _ZL30rocblas_trmm_outofplace_kernelIfLi32ELi2ELb1ELb0ELb0ELb0EfKffEv17rocblas_diagonal_iiT6_lPT7_lllS4_lllPT8_llli
    .private_segment_fixed_size: 0
    .sgpr_count:     56
    .sgpr_spill_count: 0
    .symbol:         _ZL30rocblas_trmm_outofplace_kernelIfLi32ELi2ELb1ELb0ELb0ELb0EfKffEv17rocblas_diagonal_iiT6_lPT7_lllS4_lllPT8_llli.kd
    .uniform_work_group_size: 1
    .uses_dynamic_stack: false
    .vgpr_count:     75
    .vgpr_spill_count: 0
    .wavefront_size: 32
    .workgroup_processor_mode: 1
  - .args:
      - .offset:         0
        .size:           4
        .value_kind:     by_value
      - .offset:         4
        .size:           4
        .value_kind:     by_value
      - .offset:         8
        .size:           4
        .value_kind:     by_value
      - .address_space:  global
        .offset:         16
        .size:           8
        .value_kind:     global_buffer
      - .offset:         24
        .size:           8
        .value_kind:     by_value
      - .address_space:  global
        .offset:         32
        .size:           8
        .value_kind:     global_buffer
      - .offset:         40
        .size:           8
        .value_kind:     by_value
      - .offset:         48
        .size:           8
        .value_kind:     by_value
      - .offset:         56
        .size:           8
        .value_kind:     by_value
      - .address_space:  global
        .offset:         64
        .size:           8
        .value_kind:     global_buffer
      - .offset:         72
        .size:           8
        .value_kind:     by_value
      - .offset:         80
        .size:           8
        .value_kind:     by_value
      - .offset:         88
        .size:           8
        .value_kind:     by_value
      - .address_space:  global
        .offset:         96
        .size:           8
        .value_kind:     global_buffer
      - .offset:         104
        .size:           8
        .value_kind:     by_value
      - .offset:         112
        .size:           8
        .value_kind:     by_value
      - .offset:         120
        .size:           8
        .value_kind:     by_value
      - .offset:         128
        .size:           4
        .value_kind:     by_value
      - .offset:         136
        .size:           4
        .value_kind:     hidden_block_count_x
      - .offset:         140
        .size:           4
        .value_kind:     hidden_block_count_y
      - .offset:         144
        .size:           4
        .value_kind:     hidden_block_count_z
      - .offset:         148
        .size:           2
        .value_kind:     hidden_group_size_x
      - .offset:         150
        .size:           2
        .value_kind:     hidden_group_size_y
      - .offset:         152
        .size:           2
        .value_kind:     hidden_group_size_z
      - .offset:         154
        .size:           2
        .value_kind:     hidden_remainder_x
      - .offset:         156
        .size:           2
        .value_kind:     hidden_remainder_y
      - .offset:         158
        .size:           2
        .value_kind:     hidden_remainder_z
      - .offset:         176
        .size:           8
        .value_kind:     hidden_global_offset_x
      - .offset:         184
        .size:           8
        .value_kind:     hidden_global_offset_y
      - .offset:         192
        .size:           8
        .value_kind:     hidden_global_offset_z
      - .offset:         200
        .size:           2
        .value_kind:     hidden_grid_dims
    .group_segment_fixed_size: 8192
    .kernarg_segment_align: 8
    .kernarg_segment_size: 392
    .language:       OpenCL C
    .language_version:
      - 2
      - 0
    .max_flat_workgroup_size: 1024
    .name:           _ZL30rocblas_trmm_outofplace_kernelIfLi32ELi2ELb1ELb1ELb0ELb0EPKfS0_fEv17rocblas_diagonal_iiT6_lPT7_lllS5_lllPT8_llli
    .private_segment_fixed_size: 0
    .sgpr_count:     63
    .sgpr_spill_count: 0
    .symbol:         _ZL30rocblas_trmm_outofplace_kernelIfLi32ELi2ELb1ELb1ELb0ELb0EPKfS0_fEv17rocblas_diagonal_iiT6_lPT7_lllS5_lllPT8_llli.kd
    .uniform_work_group_size: 1
    .uses_dynamic_stack: false
    .vgpr_count:     73
    .vgpr_spill_count: 0
    .wavefront_size: 32
    .workgroup_processor_mode: 1
  - .args:
      - .offset:         0
        .size:           4
        .value_kind:     by_value
      - .offset:         4
        .size:           4
        .value_kind:     by_value
      - .offset:         8
        .size:           4
        .value_kind:     by_value
      - .offset:         12
        .size:           4
        .value_kind:     by_value
      - .offset:         16
        .size:           8
        .value_kind:     by_value
      - .address_space:  global
        .offset:         24
        .size:           8
        .value_kind:     global_buffer
      - .offset:         32
        .size:           8
        .value_kind:     by_value
      - .offset:         40
        .size:           8
        .value_kind:     by_value
      - .offset:         48
        .size:           8
        .value_kind:     by_value
      - .address_space:  global
        .offset:         56
        .size:           8
        .value_kind:     global_buffer
      - .offset:         64
        .size:           8
        .value_kind:     by_value
      - .offset:         72
        .size:           8
        .value_kind:     by_value
      - .offset:         80
        .size:           8
        .value_kind:     by_value
      - .address_space:  global
        .offset:         88
        .size:           8
        .value_kind:     global_buffer
      - .offset:         96
        .size:           8
        .value_kind:     by_value
      - .offset:         104
        .size:           8
        .value_kind:     by_value
      - .offset:         112
        .size:           8
        .value_kind:     by_value
      - .offset:         120
        .size:           4
        .value_kind:     by_value
      - .offset:         128
        .size:           4
        .value_kind:     hidden_block_count_x
      - .offset:         132
        .size:           4
        .value_kind:     hidden_block_count_y
      - .offset:         136
        .size:           4
        .value_kind:     hidden_block_count_z
      - .offset:         140
        .size:           2
        .value_kind:     hidden_group_size_x
      - .offset:         142
        .size:           2
        .value_kind:     hidden_group_size_y
      - .offset:         144
        .size:           2
        .value_kind:     hidden_group_size_z
      - .offset:         146
        .size:           2
        .value_kind:     hidden_remainder_x
      - .offset:         148
        .size:           2
        .value_kind:     hidden_remainder_y
      - .offset:         150
        .size:           2
        .value_kind:     hidden_remainder_z
      - .offset:         168
        .size:           8
        .value_kind:     hidden_global_offset_x
      - .offset:         176
        .size:           8
        .value_kind:     hidden_global_offset_y
      - .offset:         184
        .size:           8
        .value_kind:     hidden_global_offset_z
      - .offset:         192
        .size:           2
        .value_kind:     hidden_grid_dims
    .group_segment_fixed_size: 8192
    .kernarg_segment_align: 8
    .kernarg_segment_size: 384
    .language:       OpenCL C
    .language_version:
      - 2
      - 0
    .max_flat_workgroup_size: 1024
    .name:           _ZL30rocblas_trmm_outofplace_kernelIfLi32ELi2ELb1ELb1ELb0ELb0EfKffEv17rocblas_diagonal_iiT6_lPT7_lllS4_lllPT8_llli
    .private_segment_fixed_size: 0
    .sgpr_count:     60
    .sgpr_spill_count: 0
    .symbol:         _ZL30rocblas_trmm_outofplace_kernelIfLi32ELi2ELb1ELb1ELb0ELb0EfKffEv17rocblas_diagonal_iiT6_lPT7_lllS4_lllPT8_llli.kd
    .uniform_work_group_size: 1
    .uses_dynamic_stack: false
    .vgpr_count:     94
    .vgpr_spill_count: 0
    .wavefront_size: 32
    .workgroup_processor_mode: 1
  - .args:
      - .offset:         0
        .size:           4
        .value_kind:     by_value
      - .offset:         4
        .size:           4
        .value_kind:     by_value
      - .offset:         8
        .size:           4
        .value_kind:     by_value
      - .address_space:  global
        .offset:         16
        .size:           8
        .value_kind:     global_buffer
      - .offset:         24
        .size:           8
        .value_kind:     by_value
      - .address_space:  global
        .offset:         32
        .size:           8
        .value_kind:     global_buffer
      - .offset:         40
        .size:           8
        .value_kind:     by_value
      - .offset:         48
        .size:           8
        .value_kind:     by_value
      - .offset:         56
        .size:           8
        .value_kind:     by_value
      - .address_space:  global
        .offset:         64
        .size:           8
        .value_kind:     global_buffer
      - .offset:         72
        .size:           8
        .value_kind:     by_value
      - .offset:         80
        .size:           8
        .value_kind:     by_value
      - .offset:         88
        .size:           8
        .value_kind:     by_value
      - .address_space:  global
        .offset:         96
        .size:           8
        .value_kind:     global_buffer
      - .offset:         104
        .size:           8
        .value_kind:     by_value
      - .offset:         112
        .size:           8
        .value_kind:     by_value
      - .offset:         120
        .size:           8
        .value_kind:     by_value
      - .offset:         128
        .size:           4
        .value_kind:     by_value
      - .offset:         136
        .size:           4
        .value_kind:     hidden_block_count_x
      - .offset:         140
        .size:           4
        .value_kind:     hidden_block_count_y
      - .offset:         144
        .size:           4
        .value_kind:     hidden_block_count_z
      - .offset:         148
        .size:           2
        .value_kind:     hidden_group_size_x
      - .offset:         150
        .size:           2
        .value_kind:     hidden_group_size_y
      - .offset:         152
        .size:           2
        .value_kind:     hidden_group_size_z
      - .offset:         154
        .size:           2
        .value_kind:     hidden_remainder_x
      - .offset:         156
        .size:           2
        .value_kind:     hidden_remainder_y
      - .offset:         158
        .size:           2
        .value_kind:     hidden_remainder_z
      - .offset:         176
        .size:           8
        .value_kind:     hidden_global_offset_x
      - .offset:         184
        .size:           8
        .value_kind:     hidden_global_offset_y
      - .offset:         192
        .size:           8
        .value_kind:     hidden_global_offset_z
      - .offset:         200
        .size:           2
        .value_kind:     hidden_grid_dims
    .group_segment_fixed_size: 8192
    .kernarg_segment_align: 8
    .kernarg_segment_size: 392
    .language:       OpenCL C
    .language_version:
      - 2
      - 0
    .max_flat_workgroup_size: 1024
    .name:           _ZL30rocblas_trmm_outofplace_kernelIfLi32ELi2ELb1ELb0ELb1ELb0EPKfS0_fEv17rocblas_diagonal_iiT6_lPT7_lllS5_lllPT8_llli
    .private_segment_fixed_size: 0
    .sgpr_count:     59
    .sgpr_spill_count: 0
    .symbol:         _ZL30rocblas_trmm_outofplace_kernelIfLi32ELi2ELb1ELb0ELb1ELb0EPKfS0_fEv17rocblas_diagonal_iiT6_lPT7_lllS5_lllPT8_llli.kd
    .uniform_work_group_size: 1
    .uses_dynamic_stack: false
    .vgpr_count:     73
    .vgpr_spill_count: 0
    .wavefront_size: 32
    .workgroup_processor_mode: 1
  - .args:
      - .offset:         0
        .size:           4
        .value_kind:     by_value
      - .offset:         4
        .size:           4
        .value_kind:     by_value
      - .offset:         8
        .size:           4
        .value_kind:     by_value
      - .offset:         12
        .size:           4
        .value_kind:     by_value
      - .offset:         16
        .size:           8
        .value_kind:     by_value
      - .address_space:  global
        .offset:         24
        .size:           8
        .value_kind:     global_buffer
      - .offset:         32
        .size:           8
        .value_kind:     by_value
      - .offset:         40
        .size:           8
        .value_kind:     by_value
      - .offset:         48
        .size:           8
        .value_kind:     by_value
      - .address_space:  global
        .offset:         56
        .size:           8
        .value_kind:     global_buffer
      - .offset:         64
        .size:           8
        .value_kind:     by_value
      - .offset:         72
        .size:           8
        .value_kind:     by_value
      - .offset:         80
        .size:           8
        .value_kind:     by_value
      - .address_space:  global
        .offset:         88
        .size:           8
        .value_kind:     global_buffer
      - .offset:         96
        .size:           8
        .value_kind:     by_value
      - .offset:         104
        .size:           8
        .value_kind:     by_value
      - .offset:         112
        .size:           8
        .value_kind:     by_value
      - .offset:         120
        .size:           4
        .value_kind:     by_value
      - .offset:         128
        .size:           4
        .value_kind:     hidden_block_count_x
      - .offset:         132
        .size:           4
        .value_kind:     hidden_block_count_y
      - .offset:         136
        .size:           4
        .value_kind:     hidden_block_count_z
      - .offset:         140
        .size:           2
        .value_kind:     hidden_group_size_x
      - .offset:         142
        .size:           2
        .value_kind:     hidden_group_size_y
      - .offset:         144
        .size:           2
        .value_kind:     hidden_group_size_z
      - .offset:         146
        .size:           2
        .value_kind:     hidden_remainder_x
      - .offset:         148
        .size:           2
        .value_kind:     hidden_remainder_y
      - .offset:         150
        .size:           2
        .value_kind:     hidden_remainder_z
      - .offset:         168
        .size:           8
        .value_kind:     hidden_global_offset_x
      - .offset:         176
        .size:           8
        .value_kind:     hidden_global_offset_y
      - .offset:         184
        .size:           8
        .value_kind:     hidden_global_offset_z
      - .offset:         192
        .size:           2
        .value_kind:     hidden_grid_dims
    .group_segment_fixed_size: 8192
    .kernarg_segment_align: 8
    .kernarg_segment_size: 384
    .language:       OpenCL C
    .language_version:
      - 2
      - 0
    .max_flat_workgroup_size: 1024
    .name:           _ZL30rocblas_trmm_outofplace_kernelIfLi32ELi2ELb1ELb0ELb1ELb0EfKffEv17rocblas_diagonal_iiT6_lPT7_lllS4_lllPT8_llli
    .private_segment_fixed_size: 0
    .sgpr_count:     56
    .sgpr_spill_count: 0
    .symbol:         _ZL30rocblas_trmm_outofplace_kernelIfLi32ELi2ELb1ELb0ELb1ELb0EfKffEv17rocblas_diagonal_iiT6_lPT7_lllS4_lllPT8_llli.kd
    .uniform_work_group_size: 1
    .uses_dynamic_stack: false
    .vgpr_count:     94
    .vgpr_spill_count: 0
    .wavefront_size: 32
    .workgroup_processor_mode: 1
  - .args:
      - .offset:         0
        .size:           4
        .value_kind:     by_value
      - .offset:         4
        .size:           4
        .value_kind:     by_value
      - .offset:         8
        .size:           4
        .value_kind:     by_value
      - .address_space:  global
        .offset:         16
        .size:           8
        .value_kind:     global_buffer
      - .offset:         24
        .size:           8
        .value_kind:     by_value
      - .address_space:  global
        .offset:         32
        .size:           8
        .value_kind:     global_buffer
      - .offset:         40
        .size:           8
        .value_kind:     by_value
      - .offset:         48
        .size:           8
        .value_kind:     by_value
      - .offset:         56
        .size:           8
        .value_kind:     by_value
      - .address_space:  global
        .offset:         64
        .size:           8
        .value_kind:     global_buffer
      - .offset:         72
        .size:           8
        .value_kind:     by_value
      - .offset:         80
        .size:           8
        .value_kind:     by_value
      - .offset:         88
        .size:           8
        .value_kind:     by_value
      - .address_space:  global
        .offset:         96
        .size:           8
        .value_kind:     global_buffer
      - .offset:         104
        .size:           8
        .value_kind:     by_value
      - .offset:         112
        .size:           8
        .value_kind:     by_value
      - .offset:         120
        .size:           8
        .value_kind:     by_value
      - .offset:         128
        .size:           4
        .value_kind:     by_value
      - .offset:         136
        .size:           4
        .value_kind:     hidden_block_count_x
      - .offset:         140
        .size:           4
        .value_kind:     hidden_block_count_y
      - .offset:         144
        .size:           4
        .value_kind:     hidden_block_count_z
      - .offset:         148
        .size:           2
        .value_kind:     hidden_group_size_x
      - .offset:         150
        .size:           2
        .value_kind:     hidden_group_size_y
      - .offset:         152
        .size:           2
        .value_kind:     hidden_group_size_z
      - .offset:         154
        .size:           2
        .value_kind:     hidden_remainder_x
      - .offset:         156
        .size:           2
        .value_kind:     hidden_remainder_y
      - .offset:         158
        .size:           2
        .value_kind:     hidden_remainder_z
      - .offset:         176
        .size:           8
        .value_kind:     hidden_global_offset_x
      - .offset:         184
        .size:           8
        .value_kind:     hidden_global_offset_y
      - .offset:         192
        .size:           8
        .value_kind:     hidden_global_offset_z
      - .offset:         200
        .size:           2
        .value_kind:     hidden_grid_dims
    .group_segment_fixed_size: 8192
    .kernarg_segment_align: 8
    .kernarg_segment_size: 392
    .language:       OpenCL C
    .language_version:
      - 2
      - 0
    .max_flat_workgroup_size: 1024
    .name:           _ZL30rocblas_trmm_outofplace_kernelIfLi32ELi2ELb1ELb1ELb1ELb0EPKfS0_fEv17rocblas_diagonal_iiT6_lPT7_lllS5_lllPT8_llli
    .private_segment_fixed_size: 0
    .sgpr_count:     59
    .sgpr_spill_count: 0
    .symbol:         _ZL30rocblas_trmm_outofplace_kernelIfLi32ELi2ELb1ELb1ELb1ELb0EPKfS0_fEv17rocblas_diagonal_iiT6_lPT7_lllS5_lllPT8_llli.kd
    .uniform_work_group_size: 1
    .uses_dynamic_stack: false
    .vgpr_count:     94
    .vgpr_spill_count: 0
    .wavefront_size: 32
    .workgroup_processor_mode: 1
  - .args:
      - .offset:         0
        .size:           4
        .value_kind:     by_value
      - .offset:         4
        .size:           4
        .value_kind:     by_value
      - .offset:         8
        .size:           4
        .value_kind:     by_value
      - .offset:         12
        .size:           4
        .value_kind:     by_value
      - .offset:         16
        .size:           8
        .value_kind:     by_value
      - .address_space:  global
        .offset:         24
        .size:           8
        .value_kind:     global_buffer
      - .offset:         32
        .size:           8
        .value_kind:     by_value
      - .offset:         40
        .size:           8
        .value_kind:     by_value
      - .offset:         48
        .size:           8
        .value_kind:     by_value
      - .address_space:  global
        .offset:         56
        .size:           8
        .value_kind:     global_buffer
      - .offset:         64
        .size:           8
        .value_kind:     by_value
      - .offset:         72
        .size:           8
        .value_kind:     by_value
      - .offset:         80
        .size:           8
        .value_kind:     by_value
      - .address_space:  global
        .offset:         88
        .size:           8
        .value_kind:     global_buffer
      - .offset:         96
        .size:           8
        .value_kind:     by_value
      - .offset:         104
        .size:           8
        .value_kind:     by_value
      - .offset:         112
        .size:           8
        .value_kind:     by_value
      - .offset:         120
        .size:           4
        .value_kind:     by_value
      - .offset:         128
        .size:           4
        .value_kind:     hidden_block_count_x
      - .offset:         132
        .size:           4
        .value_kind:     hidden_block_count_y
      - .offset:         136
        .size:           4
        .value_kind:     hidden_block_count_z
      - .offset:         140
        .size:           2
        .value_kind:     hidden_group_size_x
      - .offset:         142
        .size:           2
        .value_kind:     hidden_group_size_y
      - .offset:         144
        .size:           2
        .value_kind:     hidden_group_size_z
      - .offset:         146
        .size:           2
        .value_kind:     hidden_remainder_x
      - .offset:         148
        .size:           2
        .value_kind:     hidden_remainder_y
      - .offset:         150
        .size:           2
        .value_kind:     hidden_remainder_z
      - .offset:         168
        .size:           8
        .value_kind:     hidden_global_offset_x
      - .offset:         176
        .size:           8
        .value_kind:     hidden_global_offset_y
      - .offset:         184
        .size:           8
        .value_kind:     hidden_global_offset_z
      - .offset:         192
        .size:           2
        .value_kind:     hidden_grid_dims
    .group_segment_fixed_size: 8192
    .kernarg_segment_align: 8
    .kernarg_segment_size: 384
    .language:       OpenCL C
    .language_version:
      - 2
      - 0
    .max_flat_workgroup_size: 1024
    .name:           _ZL30rocblas_trmm_outofplace_kernelIfLi32ELi2ELb1ELb1ELb1ELb0EfKffEv17rocblas_diagonal_iiT6_lPT7_lllS4_lllPT8_llli
    .private_segment_fixed_size: 0
    .sgpr_count:     56
    .sgpr_spill_count: 0
    .symbol:         _ZL30rocblas_trmm_outofplace_kernelIfLi32ELi2ELb1ELb1ELb1ELb0EfKffEv17rocblas_diagonal_iiT6_lPT7_lllS4_lllPT8_llli.kd
    .uniform_work_group_size: 1
    .uses_dynamic_stack: false
    .vgpr_count:     93
    .vgpr_spill_count: 0
    .wavefront_size: 32
    .workgroup_processor_mode: 1
  - .args:
      - .offset:         0
        .size:           4
        .value_kind:     by_value
      - .offset:         4
        .size:           4
        .value_kind:     by_value
      - .offset:         8
        .size:           4
        .value_kind:     by_value
      - .address_space:  global
        .offset:         16
        .size:           8
        .value_kind:     global_buffer
      - .offset:         24
        .size:           8
        .value_kind:     by_value
      - .address_space:  global
        .offset:         32
        .size:           8
        .value_kind:     global_buffer
      - .offset:         40
        .size:           8
        .value_kind:     by_value
      - .offset:         48
        .size:           8
        .value_kind:     by_value
      - .offset:         56
        .size:           8
        .value_kind:     by_value
      - .address_space:  global
        .offset:         64
        .size:           8
        .value_kind:     global_buffer
      - .offset:         72
        .size:           8
        .value_kind:     by_value
      - .offset:         80
        .size:           8
        .value_kind:     by_value
      - .offset:         88
        .size:           8
        .value_kind:     by_value
      - .address_space:  global
        .offset:         96
        .size:           8
        .value_kind:     global_buffer
      - .offset:         104
        .size:           8
        .value_kind:     by_value
      - .offset:         112
        .size:           8
        .value_kind:     by_value
      - .offset:         120
        .size:           8
        .value_kind:     by_value
      - .offset:         128
        .size:           4
        .value_kind:     by_value
      - .offset:         136
        .size:           4
        .value_kind:     hidden_block_count_x
      - .offset:         140
        .size:           4
        .value_kind:     hidden_block_count_y
      - .offset:         144
        .size:           4
        .value_kind:     hidden_block_count_z
      - .offset:         148
        .size:           2
        .value_kind:     hidden_group_size_x
      - .offset:         150
        .size:           2
        .value_kind:     hidden_group_size_y
      - .offset:         152
        .size:           2
        .value_kind:     hidden_group_size_z
      - .offset:         154
        .size:           2
        .value_kind:     hidden_remainder_x
      - .offset:         156
        .size:           2
        .value_kind:     hidden_remainder_y
      - .offset:         158
        .size:           2
        .value_kind:     hidden_remainder_z
      - .offset:         176
        .size:           8
        .value_kind:     hidden_global_offset_x
      - .offset:         184
        .size:           8
        .value_kind:     hidden_global_offset_y
      - .offset:         192
        .size:           8
        .value_kind:     hidden_global_offset_z
      - .offset:         200
        .size:           2
        .value_kind:     hidden_grid_dims
    .group_segment_fixed_size: 8192
    .kernarg_segment_align: 8
    .kernarg_segment_size: 392
    .language:       OpenCL C
    .language_version:
      - 2
      - 0
    .max_flat_workgroup_size: 1024
    .name:           _ZL30rocblas_trmm_outofplace_kernelIfLi32ELi2ELb1ELb0ELb1ELb1EPKfS0_fEv17rocblas_diagonal_iiT6_lPT7_lllS5_lllPT8_llli
    .private_segment_fixed_size: 0
    .sgpr_count:     59
    .sgpr_spill_count: 0
    .symbol:         _ZL30rocblas_trmm_outofplace_kernelIfLi32ELi2ELb1ELb0ELb1ELb1EPKfS0_fEv17rocblas_diagonal_iiT6_lPT7_lllS5_lllPT8_llli.kd
    .uniform_work_group_size: 1
    .uses_dynamic_stack: false
    .vgpr_count:     73
    .vgpr_spill_count: 0
    .wavefront_size: 32
    .workgroup_processor_mode: 1
  - .args:
      - .offset:         0
        .size:           4
        .value_kind:     by_value
      - .offset:         4
        .size:           4
        .value_kind:     by_value
      - .offset:         8
        .size:           4
        .value_kind:     by_value
      - .offset:         12
        .size:           4
        .value_kind:     by_value
      - .offset:         16
        .size:           8
        .value_kind:     by_value
      - .address_space:  global
        .offset:         24
        .size:           8
        .value_kind:     global_buffer
      - .offset:         32
        .size:           8
        .value_kind:     by_value
      - .offset:         40
        .size:           8
        .value_kind:     by_value
      - .offset:         48
        .size:           8
        .value_kind:     by_value
      - .address_space:  global
        .offset:         56
        .size:           8
        .value_kind:     global_buffer
      - .offset:         64
        .size:           8
        .value_kind:     by_value
      - .offset:         72
        .size:           8
        .value_kind:     by_value
      - .offset:         80
        .size:           8
        .value_kind:     by_value
      - .address_space:  global
        .offset:         88
        .size:           8
        .value_kind:     global_buffer
      - .offset:         96
        .size:           8
        .value_kind:     by_value
      - .offset:         104
        .size:           8
        .value_kind:     by_value
      - .offset:         112
        .size:           8
        .value_kind:     by_value
      - .offset:         120
        .size:           4
        .value_kind:     by_value
      - .offset:         128
        .size:           4
        .value_kind:     hidden_block_count_x
      - .offset:         132
        .size:           4
        .value_kind:     hidden_block_count_y
      - .offset:         136
        .size:           4
        .value_kind:     hidden_block_count_z
      - .offset:         140
        .size:           2
        .value_kind:     hidden_group_size_x
      - .offset:         142
        .size:           2
        .value_kind:     hidden_group_size_y
      - .offset:         144
        .size:           2
        .value_kind:     hidden_group_size_z
      - .offset:         146
        .size:           2
        .value_kind:     hidden_remainder_x
      - .offset:         148
        .size:           2
        .value_kind:     hidden_remainder_y
      - .offset:         150
        .size:           2
        .value_kind:     hidden_remainder_z
      - .offset:         168
        .size:           8
        .value_kind:     hidden_global_offset_x
      - .offset:         176
        .size:           8
        .value_kind:     hidden_global_offset_y
      - .offset:         184
        .size:           8
        .value_kind:     hidden_global_offset_z
      - .offset:         192
        .size:           2
        .value_kind:     hidden_grid_dims
    .group_segment_fixed_size: 8192
    .kernarg_segment_align: 8
    .kernarg_segment_size: 384
    .language:       OpenCL C
    .language_version:
      - 2
      - 0
    .max_flat_workgroup_size: 1024
    .name:           _ZL30rocblas_trmm_outofplace_kernelIfLi32ELi2ELb1ELb0ELb1ELb1EfKffEv17rocblas_diagonal_iiT6_lPT7_lllS4_lllPT8_llli
    .private_segment_fixed_size: 0
    .sgpr_count:     56
    .sgpr_spill_count: 0
    .symbol:         _ZL30rocblas_trmm_outofplace_kernelIfLi32ELi2ELb1ELb0ELb1ELb1EfKffEv17rocblas_diagonal_iiT6_lPT7_lllS4_lllPT8_llli.kd
    .uniform_work_group_size: 1
    .uses_dynamic_stack: false
    .vgpr_count:     94
    .vgpr_spill_count: 0
    .wavefront_size: 32
    .workgroup_processor_mode: 1
  - .args:
      - .offset:         0
        .size:           4
        .value_kind:     by_value
      - .offset:         4
        .size:           4
        .value_kind:     by_value
      - .offset:         8
        .size:           4
        .value_kind:     by_value
      - .address_space:  global
        .offset:         16
        .size:           8
        .value_kind:     global_buffer
      - .offset:         24
        .size:           8
        .value_kind:     by_value
      - .address_space:  global
        .offset:         32
        .size:           8
        .value_kind:     global_buffer
      - .offset:         40
        .size:           8
        .value_kind:     by_value
      - .offset:         48
        .size:           8
        .value_kind:     by_value
      - .offset:         56
        .size:           8
        .value_kind:     by_value
      - .address_space:  global
        .offset:         64
        .size:           8
        .value_kind:     global_buffer
      - .offset:         72
        .size:           8
        .value_kind:     by_value
      - .offset:         80
        .size:           8
        .value_kind:     by_value
      - .offset:         88
        .size:           8
        .value_kind:     by_value
      - .address_space:  global
        .offset:         96
        .size:           8
        .value_kind:     global_buffer
      - .offset:         104
        .size:           8
        .value_kind:     by_value
      - .offset:         112
        .size:           8
        .value_kind:     by_value
      - .offset:         120
        .size:           8
        .value_kind:     by_value
      - .offset:         128
        .size:           4
        .value_kind:     by_value
      - .offset:         136
        .size:           4
        .value_kind:     hidden_block_count_x
      - .offset:         140
        .size:           4
        .value_kind:     hidden_block_count_y
      - .offset:         144
        .size:           4
        .value_kind:     hidden_block_count_z
      - .offset:         148
        .size:           2
        .value_kind:     hidden_group_size_x
      - .offset:         150
        .size:           2
        .value_kind:     hidden_group_size_y
      - .offset:         152
        .size:           2
        .value_kind:     hidden_group_size_z
      - .offset:         154
        .size:           2
        .value_kind:     hidden_remainder_x
      - .offset:         156
        .size:           2
        .value_kind:     hidden_remainder_y
      - .offset:         158
        .size:           2
        .value_kind:     hidden_remainder_z
      - .offset:         176
        .size:           8
        .value_kind:     hidden_global_offset_x
      - .offset:         184
        .size:           8
        .value_kind:     hidden_global_offset_y
      - .offset:         192
        .size:           8
        .value_kind:     hidden_global_offset_z
      - .offset:         200
        .size:           2
        .value_kind:     hidden_grid_dims
    .group_segment_fixed_size: 8192
    .kernarg_segment_align: 8
    .kernarg_segment_size: 392
    .language:       OpenCL C
    .language_version:
      - 2
      - 0
    .max_flat_workgroup_size: 1024
    .name:           _ZL30rocblas_trmm_outofplace_kernelIfLi32ELi2ELb1ELb1ELb1ELb1EPKfS0_fEv17rocblas_diagonal_iiT6_lPT7_lllS5_lllPT8_llli
    .private_segment_fixed_size: 0
    .sgpr_count:     59
    .sgpr_spill_count: 0
    .symbol:         _ZL30rocblas_trmm_outofplace_kernelIfLi32ELi2ELb1ELb1ELb1ELb1EPKfS0_fEv17rocblas_diagonal_iiT6_lPT7_lllS5_lllPT8_llli.kd
    .uniform_work_group_size: 1
    .uses_dynamic_stack: false
    .vgpr_count:     94
    .vgpr_spill_count: 0
    .wavefront_size: 32
    .workgroup_processor_mode: 1
  - .args:
      - .offset:         0
        .size:           4
        .value_kind:     by_value
      - .offset:         4
        .size:           4
        .value_kind:     by_value
      - .offset:         8
        .size:           4
        .value_kind:     by_value
      - .offset:         12
        .size:           4
        .value_kind:     by_value
      - .offset:         16
        .size:           8
        .value_kind:     by_value
      - .address_space:  global
        .offset:         24
        .size:           8
        .value_kind:     global_buffer
      - .offset:         32
        .size:           8
        .value_kind:     by_value
      - .offset:         40
        .size:           8
        .value_kind:     by_value
      - .offset:         48
        .size:           8
        .value_kind:     by_value
      - .address_space:  global
        .offset:         56
        .size:           8
        .value_kind:     global_buffer
      - .offset:         64
        .size:           8
        .value_kind:     by_value
      - .offset:         72
        .size:           8
        .value_kind:     by_value
      - .offset:         80
        .size:           8
        .value_kind:     by_value
      - .address_space:  global
        .offset:         88
        .size:           8
        .value_kind:     global_buffer
      - .offset:         96
        .size:           8
        .value_kind:     by_value
      - .offset:         104
        .size:           8
        .value_kind:     by_value
      - .offset:         112
        .size:           8
        .value_kind:     by_value
      - .offset:         120
        .size:           4
        .value_kind:     by_value
      - .offset:         128
        .size:           4
        .value_kind:     hidden_block_count_x
      - .offset:         132
        .size:           4
        .value_kind:     hidden_block_count_y
      - .offset:         136
        .size:           4
        .value_kind:     hidden_block_count_z
      - .offset:         140
        .size:           2
        .value_kind:     hidden_group_size_x
      - .offset:         142
        .size:           2
        .value_kind:     hidden_group_size_y
      - .offset:         144
        .size:           2
        .value_kind:     hidden_group_size_z
      - .offset:         146
        .size:           2
        .value_kind:     hidden_remainder_x
      - .offset:         148
        .size:           2
        .value_kind:     hidden_remainder_y
      - .offset:         150
        .size:           2
        .value_kind:     hidden_remainder_z
      - .offset:         168
        .size:           8
        .value_kind:     hidden_global_offset_x
      - .offset:         176
        .size:           8
        .value_kind:     hidden_global_offset_y
      - .offset:         184
        .size:           8
        .value_kind:     hidden_global_offset_z
      - .offset:         192
        .size:           2
        .value_kind:     hidden_grid_dims
    .group_segment_fixed_size: 8192
    .kernarg_segment_align: 8
    .kernarg_segment_size: 384
    .language:       OpenCL C
    .language_version:
      - 2
      - 0
    .max_flat_workgroup_size: 1024
    .name:           _ZL30rocblas_trmm_outofplace_kernelIfLi32ELi2ELb1ELb1ELb1ELb1EfKffEv17rocblas_diagonal_iiT6_lPT7_lllS4_lllPT8_llli
    .private_segment_fixed_size: 0
    .sgpr_count:     56
    .sgpr_spill_count: 0
    .symbol:         _ZL30rocblas_trmm_outofplace_kernelIfLi32ELi2ELb1ELb1ELb1ELb1EfKffEv17rocblas_diagonal_iiT6_lPT7_lllS4_lllPT8_llli.kd
    .uniform_work_group_size: 1
    .uses_dynamic_stack: false
    .vgpr_count:     93
    .vgpr_spill_count: 0
    .wavefront_size: 32
    .workgroup_processor_mode: 1
  - .args:
      - .offset:         0
        .size:           4
        .value_kind:     by_value
      - .offset:         4
        .size:           4
        .value_kind:     by_value
      - .offset:         8
        .size:           4
        .value_kind:     by_value
      - .address_space:  global
        .offset:         16
        .size:           8
        .value_kind:     global_buffer
      - .offset:         24
        .size:           8
        .value_kind:     by_value
      - .address_space:  global
        .offset:         32
        .size:           8
        .value_kind:     global_buffer
      - .offset:         40
        .size:           8
        .value_kind:     by_value
      - .offset:         48
        .size:           8
        .value_kind:     by_value
      - .offset:         56
        .size:           8
        .value_kind:     by_value
      - .address_space:  global
        .offset:         64
        .size:           8
        .value_kind:     global_buffer
      - .offset:         72
        .size:           8
        .value_kind:     by_value
      - .offset:         80
        .size:           8
        .value_kind:     by_value
      - .offset:         88
        .size:           8
        .value_kind:     by_value
      - .address_space:  global
        .offset:         96
        .size:           8
        .value_kind:     global_buffer
      - .offset:         104
        .size:           8
        .value_kind:     by_value
      - .offset:         112
        .size:           8
        .value_kind:     by_value
      - .offset:         120
        .size:           8
        .value_kind:     by_value
      - .offset:         128
        .size:           4
        .value_kind:     by_value
      - .offset:         136
        .size:           4
        .value_kind:     hidden_block_count_x
      - .offset:         140
        .size:           4
        .value_kind:     hidden_block_count_y
      - .offset:         144
        .size:           4
        .value_kind:     hidden_block_count_z
      - .offset:         148
        .size:           2
        .value_kind:     hidden_group_size_x
      - .offset:         150
        .size:           2
        .value_kind:     hidden_group_size_y
      - .offset:         152
        .size:           2
        .value_kind:     hidden_group_size_z
      - .offset:         154
        .size:           2
        .value_kind:     hidden_remainder_x
      - .offset:         156
        .size:           2
        .value_kind:     hidden_remainder_y
      - .offset:         158
        .size:           2
        .value_kind:     hidden_remainder_z
      - .offset:         176
        .size:           8
        .value_kind:     hidden_global_offset_x
      - .offset:         184
        .size:           8
        .value_kind:     hidden_global_offset_y
      - .offset:         192
        .size:           8
        .value_kind:     hidden_global_offset_z
      - .offset:         200
        .size:           2
        .value_kind:     hidden_grid_dims
    .group_segment_fixed_size: 8192
    .kernarg_segment_align: 8
    .kernarg_segment_size: 392
    .language:       OpenCL C
    .language_version:
      - 2
      - 0
    .max_flat_workgroup_size: 1024
    .name:           _ZL30rocblas_trmm_outofplace_kernelIfLi32ELi2ELb0ELb0ELb0ELb0EPKfS0_fEv17rocblas_diagonal_iiT6_lPT7_lllS5_lllPT8_llli
    .private_segment_fixed_size: 0
    .sgpr_count:     65
    .sgpr_spill_count: 0
    .symbol:         _ZL30rocblas_trmm_outofplace_kernelIfLi32ELi2ELb0ELb0ELb0ELb0EPKfS0_fEv17rocblas_diagonal_iiT6_lPT7_lllS5_lllPT8_llli.kd
    .uniform_work_group_size: 1
    .uses_dynamic_stack: false
    .vgpr_count:     95
    .vgpr_spill_count: 0
    .wavefront_size: 32
    .workgroup_processor_mode: 1
  - .args:
      - .offset:         0
        .size:           4
        .value_kind:     by_value
      - .offset:         4
        .size:           4
        .value_kind:     by_value
      - .offset:         8
        .size:           4
        .value_kind:     by_value
      - .offset:         12
        .size:           4
        .value_kind:     by_value
      - .offset:         16
        .size:           8
        .value_kind:     by_value
      - .address_space:  global
        .offset:         24
        .size:           8
        .value_kind:     global_buffer
      - .offset:         32
        .size:           8
        .value_kind:     by_value
      - .offset:         40
        .size:           8
        .value_kind:     by_value
      - .offset:         48
        .size:           8
        .value_kind:     by_value
      - .address_space:  global
        .offset:         56
        .size:           8
        .value_kind:     global_buffer
      - .offset:         64
        .size:           8
        .value_kind:     by_value
      - .offset:         72
        .size:           8
        .value_kind:     by_value
      - .offset:         80
        .size:           8
        .value_kind:     by_value
      - .address_space:  global
        .offset:         88
        .size:           8
        .value_kind:     global_buffer
      - .offset:         96
        .size:           8
        .value_kind:     by_value
      - .offset:         104
        .size:           8
        .value_kind:     by_value
      - .offset:         112
        .size:           8
        .value_kind:     by_value
      - .offset:         120
        .size:           4
        .value_kind:     by_value
      - .offset:         128
        .size:           4
        .value_kind:     hidden_block_count_x
      - .offset:         132
        .size:           4
        .value_kind:     hidden_block_count_y
      - .offset:         136
        .size:           4
        .value_kind:     hidden_block_count_z
      - .offset:         140
        .size:           2
        .value_kind:     hidden_group_size_x
      - .offset:         142
        .size:           2
        .value_kind:     hidden_group_size_y
      - .offset:         144
        .size:           2
        .value_kind:     hidden_group_size_z
      - .offset:         146
        .size:           2
        .value_kind:     hidden_remainder_x
      - .offset:         148
        .size:           2
        .value_kind:     hidden_remainder_y
      - .offset:         150
        .size:           2
        .value_kind:     hidden_remainder_z
      - .offset:         168
        .size:           8
        .value_kind:     hidden_global_offset_x
      - .offset:         176
        .size:           8
        .value_kind:     hidden_global_offset_y
      - .offset:         184
        .size:           8
        .value_kind:     hidden_global_offset_z
      - .offset:         192
        .size:           2
        .value_kind:     hidden_grid_dims
    .group_segment_fixed_size: 8192
    .kernarg_segment_align: 8
    .kernarg_segment_size: 384
    .language:       OpenCL C
    .language_version:
      - 2
      - 0
    .max_flat_workgroup_size: 1024
    .name:           _ZL30rocblas_trmm_outofplace_kernelIfLi32ELi2ELb0ELb0ELb0ELb0EfKffEv17rocblas_diagonal_iiT6_lPT7_lllS4_lllPT8_llli
    .private_segment_fixed_size: 0
    .sgpr_count:     62
    .sgpr_spill_count: 0
    .symbol:         _ZL30rocblas_trmm_outofplace_kernelIfLi32ELi2ELb0ELb0ELb0ELb0EfKffEv17rocblas_diagonal_iiT6_lPT7_lllS4_lllPT8_llli.kd
    .uniform_work_group_size: 1
    .uses_dynamic_stack: false
    .vgpr_count:     94
    .vgpr_spill_count: 0
    .wavefront_size: 32
    .workgroup_processor_mode: 1
  - .args:
      - .offset:         0
        .size:           4
        .value_kind:     by_value
      - .offset:         4
        .size:           4
        .value_kind:     by_value
      - .offset:         8
        .size:           4
        .value_kind:     by_value
      - .address_space:  global
        .offset:         16
        .size:           8
        .value_kind:     global_buffer
      - .offset:         24
        .size:           8
        .value_kind:     by_value
      - .address_space:  global
        .offset:         32
        .size:           8
        .value_kind:     global_buffer
      - .offset:         40
        .size:           8
        .value_kind:     by_value
      - .offset:         48
        .size:           8
        .value_kind:     by_value
      - .offset:         56
        .size:           8
        .value_kind:     by_value
      - .address_space:  global
        .offset:         64
        .size:           8
        .value_kind:     global_buffer
      - .offset:         72
        .size:           8
        .value_kind:     by_value
      - .offset:         80
        .size:           8
        .value_kind:     by_value
      - .offset:         88
        .size:           8
        .value_kind:     by_value
      - .address_space:  global
        .offset:         96
        .size:           8
        .value_kind:     global_buffer
      - .offset:         104
        .size:           8
        .value_kind:     by_value
      - .offset:         112
        .size:           8
        .value_kind:     by_value
      - .offset:         120
        .size:           8
        .value_kind:     by_value
      - .offset:         128
        .size:           4
        .value_kind:     by_value
      - .offset:         136
        .size:           4
        .value_kind:     hidden_block_count_x
      - .offset:         140
        .size:           4
        .value_kind:     hidden_block_count_y
      - .offset:         144
        .size:           4
        .value_kind:     hidden_block_count_z
      - .offset:         148
        .size:           2
        .value_kind:     hidden_group_size_x
      - .offset:         150
        .size:           2
        .value_kind:     hidden_group_size_y
      - .offset:         152
        .size:           2
        .value_kind:     hidden_group_size_z
      - .offset:         154
        .size:           2
        .value_kind:     hidden_remainder_x
      - .offset:         156
        .size:           2
        .value_kind:     hidden_remainder_y
      - .offset:         158
        .size:           2
        .value_kind:     hidden_remainder_z
      - .offset:         176
        .size:           8
        .value_kind:     hidden_global_offset_x
      - .offset:         184
        .size:           8
        .value_kind:     hidden_global_offset_y
      - .offset:         192
        .size:           8
        .value_kind:     hidden_global_offset_z
      - .offset:         200
        .size:           2
        .value_kind:     hidden_grid_dims
    .group_segment_fixed_size: 8192
    .kernarg_segment_align: 8
    .kernarg_segment_size: 392
    .language:       OpenCL C
    .language_version:
      - 2
      - 0
    .max_flat_workgroup_size: 1024
    .name:           _ZL30rocblas_trmm_outofplace_kernelIfLi32ELi2ELb0ELb1ELb0ELb0EPKfS0_fEv17rocblas_diagonal_iiT6_lPT7_lllS5_lllPT8_llli
    .private_segment_fixed_size: 0
    .sgpr_count:     61
    .sgpr_spill_count: 0
    .symbol:         _ZL30rocblas_trmm_outofplace_kernelIfLi32ELi2ELb0ELb1ELb0ELb0EPKfS0_fEv17rocblas_diagonal_iiT6_lPT7_lllS5_lllPT8_llli.kd
    .uniform_work_group_size: 1
    .uses_dynamic_stack: false
    .vgpr_count:     93
    .vgpr_spill_count: 0
    .wavefront_size: 32
    .workgroup_processor_mode: 1
  - .args:
      - .offset:         0
        .size:           4
        .value_kind:     by_value
      - .offset:         4
        .size:           4
        .value_kind:     by_value
      - .offset:         8
        .size:           4
        .value_kind:     by_value
      - .offset:         12
        .size:           4
        .value_kind:     by_value
      - .offset:         16
        .size:           8
        .value_kind:     by_value
      - .address_space:  global
        .offset:         24
        .size:           8
        .value_kind:     global_buffer
      - .offset:         32
        .size:           8
        .value_kind:     by_value
      - .offset:         40
        .size:           8
        .value_kind:     by_value
      - .offset:         48
        .size:           8
        .value_kind:     by_value
      - .address_space:  global
        .offset:         56
        .size:           8
        .value_kind:     global_buffer
      - .offset:         64
        .size:           8
        .value_kind:     by_value
      - .offset:         72
        .size:           8
        .value_kind:     by_value
      - .offset:         80
        .size:           8
        .value_kind:     by_value
      - .address_space:  global
        .offset:         88
        .size:           8
        .value_kind:     global_buffer
      - .offset:         96
        .size:           8
        .value_kind:     by_value
      - .offset:         104
        .size:           8
        .value_kind:     by_value
      - .offset:         112
        .size:           8
        .value_kind:     by_value
      - .offset:         120
        .size:           4
        .value_kind:     by_value
      - .offset:         128
        .size:           4
        .value_kind:     hidden_block_count_x
      - .offset:         132
        .size:           4
        .value_kind:     hidden_block_count_y
      - .offset:         136
        .size:           4
        .value_kind:     hidden_block_count_z
      - .offset:         140
        .size:           2
        .value_kind:     hidden_group_size_x
      - .offset:         142
        .size:           2
        .value_kind:     hidden_group_size_y
      - .offset:         144
        .size:           2
        .value_kind:     hidden_group_size_z
      - .offset:         146
        .size:           2
        .value_kind:     hidden_remainder_x
      - .offset:         148
        .size:           2
        .value_kind:     hidden_remainder_y
      - .offset:         150
        .size:           2
        .value_kind:     hidden_remainder_z
      - .offset:         168
        .size:           8
        .value_kind:     hidden_global_offset_x
      - .offset:         176
        .size:           8
        .value_kind:     hidden_global_offset_y
      - .offset:         184
        .size:           8
        .value_kind:     hidden_global_offset_z
      - .offset:         192
        .size:           2
        .value_kind:     hidden_grid_dims
    .group_segment_fixed_size: 8192
    .kernarg_segment_align: 8
    .kernarg_segment_size: 384
    .language:       OpenCL C
    .language_version:
      - 2
      - 0
    .max_flat_workgroup_size: 1024
    .name:           _ZL30rocblas_trmm_outofplace_kernelIfLi32ELi2ELb0ELb1ELb0ELb0EfKffEv17rocblas_diagonal_iiT6_lPT7_lllS4_lllPT8_llli
    .private_segment_fixed_size: 0
    .sgpr_count:     58
    .sgpr_spill_count: 0
    .symbol:         _ZL30rocblas_trmm_outofplace_kernelIfLi32ELi2ELb0ELb1ELb0ELb0EfKffEv17rocblas_diagonal_iiT6_lPT7_lllS4_lllPT8_llli.kd
    .uniform_work_group_size: 1
    .uses_dynamic_stack: false
    .vgpr_count:     92
    .vgpr_spill_count: 0
    .wavefront_size: 32
    .workgroup_processor_mode: 1
  - .args:
      - .offset:         0
        .size:           4
        .value_kind:     by_value
      - .offset:         4
        .size:           4
        .value_kind:     by_value
      - .offset:         8
        .size:           4
        .value_kind:     by_value
      - .address_space:  global
        .offset:         16
        .size:           8
        .value_kind:     global_buffer
      - .offset:         24
        .size:           8
        .value_kind:     by_value
      - .address_space:  global
        .offset:         32
        .size:           8
        .value_kind:     global_buffer
      - .offset:         40
        .size:           8
        .value_kind:     by_value
      - .offset:         48
        .size:           8
        .value_kind:     by_value
      - .offset:         56
        .size:           8
        .value_kind:     by_value
      - .address_space:  global
        .offset:         64
        .size:           8
        .value_kind:     global_buffer
      - .offset:         72
        .size:           8
        .value_kind:     by_value
      - .offset:         80
        .size:           8
        .value_kind:     by_value
      - .offset:         88
        .size:           8
        .value_kind:     by_value
      - .address_space:  global
        .offset:         96
        .size:           8
        .value_kind:     global_buffer
      - .offset:         104
        .size:           8
        .value_kind:     by_value
      - .offset:         112
        .size:           8
        .value_kind:     by_value
      - .offset:         120
        .size:           8
        .value_kind:     by_value
      - .offset:         128
        .size:           4
        .value_kind:     by_value
      - .offset:         136
        .size:           4
        .value_kind:     hidden_block_count_x
      - .offset:         140
        .size:           4
        .value_kind:     hidden_block_count_y
      - .offset:         144
        .size:           4
        .value_kind:     hidden_block_count_z
      - .offset:         148
        .size:           2
        .value_kind:     hidden_group_size_x
      - .offset:         150
        .size:           2
        .value_kind:     hidden_group_size_y
      - .offset:         152
        .size:           2
        .value_kind:     hidden_group_size_z
      - .offset:         154
        .size:           2
        .value_kind:     hidden_remainder_x
      - .offset:         156
        .size:           2
        .value_kind:     hidden_remainder_y
      - .offset:         158
        .size:           2
        .value_kind:     hidden_remainder_z
      - .offset:         176
        .size:           8
        .value_kind:     hidden_global_offset_x
      - .offset:         184
        .size:           8
        .value_kind:     hidden_global_offset_y
      - .offset:         192
        .size:           8
        .value_kind:     hidden_global_offset_z
      - .offset:         200
        .size:           2
        .value_kind:     hidden_grid_dims
    .group_segment_fixed_size: 8192
    .kernarg_segment_align: 8
    .kernarg_segment_size: 392
    .language:       OpenCL C
    .language_version:
      - 2
      - 0
    .max_flat_workgroup_size: 1024
    .name:           _ZL30rocblas_trmm_outofplace_kernelIfLi32ELi2ELb0ELb0ELb1ELb0EPKfS0_fEv17rocblas_diagonal_iiT6_lPT7_lllS5_lllPT8_llli
    .private_segment_fixed_size: 0
    .sgpr_count:     55
    .sgpr_spill_count: 0
    .symbol:         _ZL30rocblas_trmm_outofplace_kernelIfLi32ELi2ELb0ELb0ELb1ELb0EPKfS0_fEv17rocblas_diagonal_iiT6_lPT7_lllS5_lllPT8_llli.kd
    .uniform_work_group_size: 1
    .uses_dynamic_stack: false
    .vgpr_count:     80
    .vgpr_spill_count: 0
    .wavefront_size: 32
    .workgroup_processor_mode: 1
  - .args:
      - .offset:         0
        .size:           4
        .value_kind:     by_value
      - .offset:         4
        .size:           4
        .value_kind:     by_value
      - .offset:         8
        .size:           4
        .value_kind:     by_value
      - .offset:         12
        .size:           4
        .value_kind:     by_value
      - .offset:         16
        .size:           8
        .value_kind:     by_value
      - .address_space:  global
        .offset:         24
        .size:           8
        .value_kind:     global_buffer
      - .offset:         32
        .size:           8
        .value_kind:     by_value
      - .offset:         40
        .size:           8
        .value_kind:     by_value
      - .offset:         48
        .size:           8
        .value_kind:     by_value
      - .address_space:  global
        .offset:         56
        .size:           8
        .value_kind:     global_buffer
      - .offset:         64
        .size:           8
        .value_kind:     by_value
      - .offset:         72
        .size:           8
        .value_kind:     by_value
      - .offset:         80
        .size:           8
        .value_kind:     by_value
      - .address_space:  global
        .offset:         88
        .size:           8
        .value_kind:     global_buffer
      - .offset:         96
        .size:           8
        .value_kind:     by_value
      - .offset:         104
        .size:           8
        .value_kind:     by_value
      - .offset:         112
        .size:           8
        .value_kind:     by_value
      - .offset:         120
        .size:           4
        .value_kind:     by_value
      - .offset:         128
        .size:           4
        .value_kind:     hidden_block_count_x
      - .offset:         132
        .size:           4
        .value_kind:     hidden_block_count_y
      - .offset:         136
        .size:           4
        .value_kind:     hidden_block_count_z
      - .offset:         140
        .size:           2
        .value_kind:     hidden_group_size_x
      - .offset:         142
        .size:           2
        .value_kind:     hidden_group_size_y
      - .offset:         144
        .size:           2
        .value_kind:     hidden_group_size_z
      - .offset:         146
        .size:           2
        .value_kind:     hidden_remainder_x
      - .offset:         148
        .size:           2
        .value_kind:     hidden_remainder_y
      - .offset:         150
        .size:           2
        .value_kind:     hidden_remainder_z
      - .offset:         168
        .size:           8
        .value_kind:     hidden_global_offset_x
      - .offset:         176
        .size:           8
        .value_kind:     hidden_global_offset_y
      - .offset:         184
        .size:           8
        .value_kind:     hidden_global_offset_z
      - .offset:         192
        .size:           2
        .value_kind:     hidden_grid_dims
    .group_segment_fixed_size: 8192
    .kernarg_segment_align: 8
    .kernarg_segment_size: 384
    .language:       OpenCL C
    .language_version:
      - 2
      - 0
    .max_flat_workgroup_size: 1024
    .name:           _ZL30rocblas_trmm_outofplace_kernelIfLi32ELi2ELb0ELb0ELb1ELb0EfKffEv17rocblas_diagonal_iiT6_lPT7_lllS4_lllPT8_llli
    .private_segment_fixed_size: 0
    .sgpr_count:     52
    .sgpr_spill_count: 0
    .symbol:         _ZL30rocblas_trmm_outofplace_kernelIfLi32ELi2ELb0ELb0ELb1ELb0EfKffEv17rocblas_diagonal_iiT6_lPT7_lllS4_lllPT8_llli.kd
    .uniform_work_group_size: 1
    .uses_dynamic_stack: false
    .vgpr_count:     79
    .vgpr_spill_count: 0
    .wavefront_size: 32
    .workgroup_processor_mode: 1
  - .args:
      - .offset:         0
        .size:           4
        .value_kind:     by_value
      - .offset:         4
        .size:           4
        .value_kind:     by_value
      - .offset:         8
        .size:           4
        .value_kind:     by_value
      - .address_space:  global
        .offset:         16
        .size:           8
        .value_kind:     global_buffer
      - .offset:         24
        .size:           8
        .value_kind:     by_value
      - .address_space:  global
        .offset:         32
        .size:           8
        .value_kind:     global_buffer
      - .offset:         40
        .size:           8
        .value_kind:     by_value
      - .offset:         48
        .size:           8
        .value_kind:     by_value
      - .offset:         56
        .size:           8
        .value_kind:     by_value
      - .address_space:  global
        .offset:         64
        .size:           8
        .value_kind:     global_buffer
      - .offset:         72
        .size:           8
        .value_kind:     by_value
      - .offset:         80
        .size:           8
        .value_kind:     by_value
      - .offset:         88
        .size:           8
        .value_kind:     by_value
      - .address_space:  global
        .offset:         96
        .size:           8
        .value_kind:     global_buffer
      - .offset:         104
        .size:           8
        .value_kind:     by_value
      - .offset:         112
        .size:           8
        .value_kind:     by_value
      - .offset:         120
        .size:           8
        .value_kind:     by_value
      - .offset:         128
        .size:           4
        .value_kind:     by_value
      - .offset:         136
        .size:           4
        .value_kind:     hidden_block_count_x
      - .offset:         140
        .size:           4
        .value_kind:     hidden_block_count_y
      - .offset:         144
        .size:           4
        .value_kind:     hidden_block_count_z
      - .offset:         148
        .size:           2
        .value_kind:     hidden_group_size_x
      - .offset:         150
        .size:           2
        .value_kind:     hidden_group_size_y
      - .offset:         152
        .size:           2
        .value_kind:     hidden_group_size_z
      - .offset:         154
        .size:           2
        .value_kind:     hidden_remainder_x
      - .offset:         156
        .size:           2
        .value_kind:     hidden_remainder_y
      - .offset:         158
        .size:           2
        .value_kind:     hidden_remainder_z
      - .offset:         176
        .size:           8
        .value_kind:     hidden_global_offset_x
      - .offset:         184
        .size:           8
        .value_kind:     hidden_global_offset_y
      - .offset:         192
        .size:           8
        .value_kind:     hidden_global_offset_z
      - .offset:         200
        .size:           2
        .value_kind:     hidden_grid_dims
    .group_segment_fixed_size: 8192
    .kernarg_segment_align: 8
    .kernarg_segment_size: 392
    .language:       OpenCL C
    .language_version:
      - 2
      - 0
    .max_flat_workgroup_size: 1024
    .name:           _ZL30rocblas_trmm_outofplace_kernelIfLi32ELi2ELb0ELb1ELb1ELb0EPKfS0_fEv17rocblas_diagonal_iiT6_lPT7_lllS5_lllPT8_llli
    .private_segment_fixed_size: 0
    .sgpr_count:     67
    .sgpr_spill_count: 0
    .symbol:         _ZL30rocblas_trmm_outofplace_kernelIfLi32ELi2ELb0ELb1ELb1ELb0EPKfS0_fEv17rocblas_diagonal_iiT6_lPT7_lllS5_lllPT8_llli.kd
    .uniform_work_group_size: 1
    .uses_dynamic_stack: false
    .vgpr_count:     95
    .vgpr_spill_count: 0
    .wavefront_size: 32
    .workgroup_processor_mode: 1
  - .args:
      - .offset:         0
        .size:           4
        .value_kind:     by_value
      - .offset:         4
        .size:           4
        .value_kind:     by_value
      - .offset:         8
        .size:           4
        .value_kind:     by_value
      - .offset:         12
        .size:           4
        .value_kind:     by_value
      - .offset:         16
        .size:           8
        .value_kind:     by_value
      - .address_space:  global
        .offset:         24
        .size:           8
        .value_kind:     global_buffer
      - .offset:         32
        .size:           8
        .value_kind:     by_value
      - .offset:         40
        .size:           8
        .value_kind:     by_value
      - .offset:         48
        .size:           8
        .value_kind:     by_value
      - .address_space:  global
        .offset:         56
        .size:           8
        .value_kind:     global_buffer
      - .offset:         64
        .size:           8
        .value_kind:     by_value
      - .offset:         72
        .size:           8
        .value_kind:     by_value
      - .offset:         80
        .size:           8
        .value_kind:     by_value
      - .address_space:  global
        .offset:         88
        .size:           8
        .value_kind:     global_buffer
      - .offset:         96
        .size:           8
        .value_kind:     by_value
      - .offset:         104
        .size:           8
        .value_kind:     by_value
      - .offset:         112
        .size:           8
        .value_kind:     by_value
      - .offset:         120
        .size:           4
        .value_kind:     by_value
      - .offset:         128
        .size:           4
        .value_kind:     hidden_block_count_x
      - .offset:         132
        .size:           4
        .value_kind:     hidden_block_count_y
      - .offset:         136
        .size:           4
        .value_kind:     hidden_block_count_z
      - .offset:         140
        .size:           2
        .value_kind:     hidden_group_size_x
      - .offset:         142
        .size:           2
        .value_kind:     hidden_group_size_y
      - .offset:         144
        .size:           2
        .value_kind:     hidden_group_size_z
      - .offset:         146
        .size:           2
        .value_kind:     hidden_remainder_x
      - .offset:         148
        .size:           2
        .value_kind:     hidden_remainder_y
      - .offset:         150
        .size:           2
        .value_kind:     hidden_remainder_z
      - .offset:         168
        .size:           8
        .value_kind:     hidden_global_offset_x
      - .offset:         176
        .size:           8
        .value_kind:     hidden_global_offset_y
      - .offset:         184
        .size:           8
        .value_kind:     hidden_global_offset_z
      - .offset:         192
        .size:           2
        .value_kind:     hidden_grid_dims
    .group_segment_fixed_size: 8192
    .kernarg_segment_align: 8
    .kernarg_segment_size: 384
    .language:       OpenCL C
    .language_version:
      - 2
      - 0
    .max_flat_workgroup_size: 1024
    .name:           _ZL30rocblas_trmm_outofplace_kernelIfLi32ELi2ELb0ELb1ELb1ELb0EfKffEv17rocblas_diagonal_iiT6_lPT7_lllS4_lllPT8_llli
    .private_segment_fixed_size: 0
    .sgpr_count:     64
    .sgpr_spill_count: 0
    .symbol:         _ZL30rocblas_trmm_outofplace_kernelIfLi32ELi2ELb0ELb1ELb1ELb0EfKffEv17rocblas_diagonal_iiT6_lPT7_lllS4_lllPT8_llli.kd
    .uniform_work_group_size: 1
    .uses_dynamic_stack: false
    .vgpr_count:     94
    .vgpr_spill_count: 0
    .wavefront_size: 32
    .workgroup_processor_mode: 1
  - .args:
      - .offset:         0
        .size:           4
        .value_kind:     by_value
      - .offset:         4
        .size:           4
        .value_kind:     by_value
      - .offset:         8
        .size:           4
        .value_kind:     by_value
      - .address_space:  global
        .offset:         16
        .size:           8
        .value_kind:     global_buffer
      - .offset:         24
        .size:           8
        .value_kind:     by_value
      - .address_space:  global
        .offset:         32
        .size:           8
        .value_kind:     global_buffer
      - .offset:         40
        .size:           8
        .value_kind:     by_value
      - .offset:         48
        .size:           8
        .value_kind:     by_value
      - .offset:         56
        .size:           8
        .value_kind:     by_value
      - .address_space:  global
        .offset:         64
        .size:           8
        .value_kind:     global_buffer
      - .offset:         72
        .size:           8
        .value_kind:     by_value
      - .offset:         80
        .size:           8
        .value_kind:     by_value
      - .offset:         88
        .size:           8
        .value_kind:     by_value
      - .address_space:  global
        .offset:         96
        .size:           8
        .value_kind:     global_buffer
      - .offset:         104
        .size:           8
        .value_kind:     by_value
      - .offset:         112
        .size:           8
        .value_kind:     by_value
      - .offset:         120
        .size:           8
        .value_kind:     by_value
      - .offset:         128
        .size:           4
        .value_kind:     by_value
      - .offset:         136
        .size:           4
        .value_kind:     hidden_block_count_x
      - .offset:         140
        .size:           4
        .value_kind:     hidden_block_count_y
      - .offset:         144
        .size:           4
        .value_kind:     hidden_block_count_z
      - .offset:         148
        .size:           2
        .value_kind:     hidden_group_size_x
      - .offset:         150
        .size:           2
        .value_kind:     hidden_group_size_y
      - .offset:         152
        .size:           2
        .value_kind:     hidden_group_size_z
      - .offset:         154
        .size:           2
        .value_kind:     hidden_remainder_x
      - .offset:         156
        .size:           2
        .value_kind:     hidden_remainder_y
      - .offset:         158
        .size:           2
        .value_kind:     hidden_remainder_z
      - .offset:         176
        .size:           8
        .value_kind:     hidden_global_offset_x
      - .offset:         184
        .size:           8
        .value_kind:     hidden_global_offset_y
      - .offset:         192
        .size:           8
        .value_kind:     hidden_global_offset_z
      - .offset:         200
        .size:           2
        .value_kind:     hidden_grid_dims
    .group_segment_fixed_size: 8192
    .kernarg_segment_align: 8
    .kernarg_segment_size: 392
    .language:       OpenCL C
    .language_version:
      - 2
      - 0
    .max_flat_workgroup_size: 1024
    .name:           _ZL30rocblas_trmm_outofplace_kernelIfLi32ELi2ELb0ELb0ELb1ELb1EPKfS0_fEv17rocblas_diagonal_iiT6_lPT7_lllS5_lllPT8_llli
    .private_segment_fixed_size: 0
    .sgpr_count:     55
    .sgpr_spill_count: 0
    .symbol:         _ZL30rocblas_trmm_outofplace_kernelIfLi32ELi2ELb0ELb0ELb1ELb1EPKfS0_fEv17rocblas_diagonal_iiT6_lPT7_lllS5_lllPT8_llli.kd
    .uniform_work_group_size: 1
    .uses_dynamic_stack: false
    .vgpr_count:     80
    .vgpr_spill_count: 0
    .wavefront_size: 32
    .workgroup_processor_mode: 1
  - .args:
      - .offset:         0
        .size:           4
        .value_kind:     by_value
      - .offset:         4
        .size:           4
        .value_kind:     by_value
      - .offset:         8
        .size:           4
        .value_kind:     by_value
      - .offset:         12
        .size:           4
        .value_kind:     by_value
      - .offset:         16
        .size:           8
        .value_kind:     by_value
      - .address_space:  global
        .offset:         24
        .size:           8
        .value_kind:     global_buffer
      - .offset:         32
        .size:           8
        .value_kind:     by_value
      - .offset:         40
        .size:           8
        .value_kind:     by_value
      - .offset:         48
        .size:           8
        .value_kind:     by_value
      - .address_space:  global
        .offset:         56
        .size:           8
        .value_kind:     global_buffer
      - .offset:         64
        .size:           8
        .value_kind:     by_value
      - .offset:         72
        .size:           8
        .value_kind:     by_value
      - .offset:         80
        .size:           8
        .value_kind:     by_value
      - .address_space:  global
        .offset:         88
        .size:           8
        .value_kind:     global_buffer
      - .offset:         96
        .size:           8
        .value_kind:     by_value
      - .offset:         104
        .size:           8
        .value_kind:     by_value
      - .offset:         112
        .size:           8
        .value_kind:     by_value
      - .offset:         120
        .size:           4
        .value_kind:     by_value
      - .offset:         128
        .size:           4
        .value_kind:     hidden_block_count_x
      - .offset:         132
        .size:           4
        .value_kind:     hidden_block_count_y
      - .offset:         136
        .size:           4
        .value_kind:     hidden_block_count_z
      - .offset:         140
        .size:           2
        .value_kind:     hidden_group_size_x
      - .offset:         142
        .size:           2
        .value_kind:     hidden_group_size_y
      - .offset:         144
        .size:           2
        .value_kind:     hidden_group_size_z
      - .offset:         146
        .size:           2
        .value_kind:     hidden_remainder_x
      - .offset:         148
        .size:           2
        .value_kind:     hidden_remainder_y
      - .offset:         150
        .size:           2
        .value_kind:     hidden_remainder_z
      - .offset:         168
        .size:           8
        .value_kind:     hidden_global_offset_x
      - .offset:         176
        .size:           8
        .value_kind:     hidden_global_offset_y
      - .offset:         184
        .size:           8
        .value_kind:     hidden_global_offset_z
      - .offset:         192
        .size:           2
        .value_kind:     hidden_grid_dims
    .group_segment_fixed_size: 8192
    .kernarg_segment_align: 8
    .kernarg_segment_size: 384
    .language:       OpenCL C
    .language_version:
      - 2
      - 0
    .max_flat_workgroup_size: 1024
    .name:           _ZL30rocblas_trmm_outofplace_kernelIfLi32ELi2ELb0ELb0ELb1ELb1EfKffEv17rocblas_diagonal_iiT6_lPT7_lllS4_lllPT8_llli
    .private_segment_fixed_size: 0
    .sgpr_count:     52
    .sgpr_spill_count: 0
    .symbol:         _ZL30rocblas_trmm_outofplace_kernelIfLi32ELi2ELb0ELb0ELb1ELb1EfKffEv17rocblas_diagonal_iiT6_lPT7_lllS4_lllPT8_llli.kd
    .uniform_work_group_size: 1
    .uses_dynamic_stack: false
    .vgpr_count:     79
    .vgpr_spill_count: 0
    .wavefront_size: 32
    .workgroup_processor_mode: 1
  - .args:
      - .offset:         0
        .size:           4
        .value_kind:     by_value
      - .offset:         4
        .size:           4
        .value_kind:     by_value
      - .offset:         8
        .size:           4
        .value_kind:     by_value
      - .address_space:  global
        .offset:         16
        .size:           8
        .value_kind:     global_buffer
      - .offset:         24
        .size:           8
        .value_kind:     by_value
      - .address_space:  global
        .offset:         32
        .size:           8
        .value_kind:     global_buffer
      - .offset:         40
        .size:           8
        .value_kind:     by_value
      - .offset:         48
        .size:           8
        .value_kind:     by_value
      - .offset:         56
        .size:           8
        .value_kind:     by_value
      - .address_space:  global
        .offset:         64
        .size:           8
        .value_kind:     global_buffer
      - .offset:         72
        .size:           8
        .value_kind:     by_value
      - .offset:         80
        .size:           8
        .value_kind:     by_value
      - .offset:         88
        .size:           8
        .value_kind:     by_value
      - .address_space:  global
        .offset:         96
        .size:           8
        .value_kind:     global_buffer
      - .offset:         104
        .size:           8
        .value_kind:     by_value
      - .offset:         112
        .size:           8
        .value_kind:     by_value
      - .offset:         120
        .size:           8
        .value_kind:     by_value
      - .offset:         128
        .size:           4
        .value_kind:     by_value
      - .offset:         136
        .size:           4
        .value_kind:     hidden_block_count_x
      - .offset:         140
        .size:           4
        .value_kind:     hidden_block_count_y
      - .offset:         144
        .size:           4
        .value_kind:     hidden_block_count_z
      - .offset:         148
        .size:           2
        .value_kind:     hidden_group_size_x
      - .offset:         150
        .size:           2
        .value_kind:     hidden_group_size_y
      - .offset:         152
        .size:           2
        .value_kind:     hidden_group_size_z
      - .offset:         154
        .size:           2
        .value_kind:     hidden_remainder_x
      - .offset:         156
        .size:           2
        .value_kind:     hidden_remainder_y
      - .offset:         158
        .size:           2
        .value_kind:     hidden_remainder_z
      - .offset:         176
        .size:           8
        .value_kind:     hidden_global_offset_x
      - .offset:         184
        .size:           8
        .value_kind:     hidden_global_offset_y
      - .offset:         192
        .size:           8
        .value_kind:     hidden_global_offset_z
      - .offset:         200
        .size:           2
        .value_kind:     hidden_grid_dims
    .group_segment_fixed_size: 8192
    .kernarg_segment_align: 8
    .kernarg_segment_size: 392
    .language:       OpenCL C
    .language_version:
      - 2
      - 0
    .max_flat_workgroup_size: 1024
    .name:           _ZL30rocblas_trmm_outofplace_kernelIfLi32ELi2ELb0ELb1ELb1ELb1EPKfS0_fEv17rocblas_diagonal_iiT6_lPT7_lllS5_lllPT8_llli
    .private_segment_fixed_size: 0
    .sgpr_count:     67
    .sgpr_spill_count: 0
    .symbol:         _ZL30rocblas_trmm_outofplace_kernelIfLi32ELi2ELb0ELb1ELb1ELb1EPKfS0_fEv17rocblas_diagonal_iiT6_lPT7_lllS5_lllPT8_llli.kd
    .uniform_work_group_size: 1
    .uses_dynamic_stack: false
    .vgpr_count:     95
    .vgpr_spill_count: 0
    .wavefront_size: 32
    .workgroup_processor_mode: 1
  - .args:
      - .offset:         0
        .size:           4
        .value_kind:     by_value
      - .offset:         4
        .size:           4
        .value_kind:     by_value
      - .offset:         8
        .size:           4
        .value_kind:     by_value
      - .offset:         12
        .size:           4
        .value_kind:     by_value
      - .offset:         16
        .size:           8
        .value_kind:     by_value
      - .address_space:  global
        .offset:         24
        .size:           8
        .value_kind:     global_buffer
      - .offset:         32
        .size:           8
        .value_kind:     by_value
      - .offset:         40
        .size:           8
        .value_kind:     by_value
      - .offset:         48
        .size:           8
        .value_kind:     by_value
      - .address_space:  global
        .offset:         56
        .size:           8
        .value_kind:     global_buffer
      - .offset:         64
        .size:           8
        .value_kind:     by_value
      - .offset:         72
        .size:           8
        .value_kind:     by_value
      - .offset:         80
        .size:           8
        .value_kind:     by_value
      - .address_space:  global
        .offset:         88
        .size:           8
        .value_kind:     global_buffer
      - .offset:         96
        .size:           8
        .value_kind:     by_value
      - .offset:         104
        .size:           8
        .value_kind:     by_value
      - .offset:         112
        .size:           8
        .value_kind:     by_value
      - .offset:         120
        .size:           4
        .value_kind:     by_value
      - .offset:         128
        .size:           4
        .value_kind:     hidden_block_count_x
      - .offset:         132
        .size:           4
        .value_kind:     hidden_block_count_y
      - .offset:         136
        .size:           4
        .value_kind:     hidden_block_count_z
      - .offset:         140
        .size:           2
        .value_kind:     hidden_group_size_x
      - .offset:         142
        .size:           2
        .value_kind:     hidden_group_size_y
      - .offset:         144
        .size:           2
        .value_kind:     hidden_group_size_z
      - .offset:         146
        .size:           2
        .value_kind:     hidden_remainder_x
      - .offset:         148
        .size:           2
        .value_kind:     hidden_remainder_y
      - .offset:         150
        .size:           2
        .value_kind:     hidden_remainder_z
      - .offset:         168
        .size:           8
        .value_kind:     hidden_global_offset_x
      - .offset:         176
        .size:           8
        .value_kind:     hidden_global_offset_y
      - .offset:         184
        .size:           8
        .value_kind:     hidden_global_offset_z
      - .offset:         192
        .size:           2
        .value_kind:     hidden_grid_dims
    .group_segment_fixed_size: 8192
    .kernarg_segment_align: 8
    .kernarg_segment_size: 384
    .language:       OpenCL C
    .language_version:
      - 2
      - 0
    .max_flat_workgroup_size: 1024
    .name:           _ZL30rocblas_trmm_outofplace_kernelIfLi32ELi2ELb0ELb1ELb1ELb1EfKffEv17rocblas_diagonal_iiT6_lPT7_lllS4_lllPT8_llli
    .private_segment_fixed_size: 0
    .sgpr_count:     64
    .sgpr_spill_count: 0
    .symbol:         _ZL30rocblas_trmm_outofplace_kernelIfLi32ELi2ELb0ELb1ELb1ELb1EfKffEv17rocblas_diagonal_iiT6_lPT7_lllS4_lllPT8_llli.kd
    .uniform_work_group_size: 1
    .uses_dynamic_stack: false
    .vgpr_count:     94
    .vgpr_spill_count: 0
    .wavefront_size: 32
    .workgroup_processor_mode: 1
  - .args:
      - .offset:         0
        .size:           4
        .value_kind:     by_value
      - .offset:         4
        .size:           4
        .value_kind:     by_value
      - .offset:         8
        .size:           4
        .value_kind:     by_value
      - .offset:         12
        .size:           4
        .value_kind:     by_value
      - .address_space:  global
        .offset:         16
        .size:           8
        .value_kind:     global_buffer
      - .offset:         24
        .size:           8
        .value_kind:     by_value
      - .address_space:  global
        .offset:         32
        .size:           8
        .value_kind:     global_buffer
      - .offset:         40
        .size:           8
        .value_kind:     by_value
      - .offset:         48
        .size:           8
        .value_kind:     by_value
      - .address_space:  global
        .offset:         56
        .size:           8
        .value_kind:     global_buffer
      - .offset:         64
        .size:           8
        .value_kind:     by_value
      - .offset:         72
        .size:           8
        .value_kind:     by_value
      - .address_space:  global
        .offset:         80
        .size:           8
        .value_kind:     global_buffer
      - .offset:         88
        .size:           8
        .value_kind:     by_value
      - .offset:         96
        .size:           8
        .value_kind:     by_value
      - .offset:         104
        .size:           4
        .value_kind:     by_value
    .group_segment_fixed_size: 8192
    .kernarg_segment_align: 8
    .kernarg_segment_size: 108
    .language:       OpenCL C
    .language_version:
      - 2
      - 0
    .max_flat_workgroup_size: 1024
    .name:           _ZL23rocblas_trmm_lNx_kernelILi32EfPKfS0_fEv13rocblas_fill_17rocblas_diagonal_iiT1_lPT2_llS6_llPT3_lli
    .private_segment_fixed_size: 0
    .sgpr_count:     33
    .sgpr_spill_count: 0
    .symbol:         _ZL23rocblas_trmm_lNx_kernelILi32EfPKfS0_fEv13rocblas_fill_17rocblas_diagonal_iiT1_lPT2_llS6_llPT3_lli.kd
    .uniform_work_group_size: 1
    .uses_dynamic_stack: false
    .vgpr_count:     31
    .vgpr_spill_count: 0
    .wavefront_size: 32
    .workgroup_processor_mode: 1
  - .args:
      - .offset:         0
        .size:           4
        .value_kind:     by_value
      - .offset:         4
        .size:           4
        .value_kind:     by_value
      - .offset:         8
        .size:           4
        .value_kind:     by_value
      - .offset:         12
        .size:           4
        .value_kind:     by_value
      - .offset:         16
        .size:           4
        .value_kind:     by_value
      - .offset:         24
        .size:           8
        .value_kind:     by_value
      - .address_space:  global
        .offset:         32
        .size:           8
        .value_kind:     global_buffer
      - .offset:         40
        .size:           8
        .value_kind:     by_value
      - .offset:         48
        .size:           8
        .value_kind:     by_value
      - .address_space:  global
        .offset:         56
        .size:           8
        .value_kind:     global_buffer
      - .offset:         64
        .size:           8
        .value_kind:     by_value
      - .offset:         72
        .size:           8
        .value_kind:     by_value
      - .address_space:  global
        .offset:         80
        .size:           8
        .value_kind:     global_buffer
      - .offset:         88
        .size:           8
        .value_kind:     by_value
      - .offset:         96
        .size:           8
        .value_kind:     by_value
      - .offset:         104
        .size:           4
        .value_kind:     by_value
    .group_segment_fixed_size: 8192
    .kernarg_segment_align: 8
    .kernarg_segment_size: 108
    .language:       OpenCL C
    .language_version:
      - 2
      - 0
    .max_flat_workgroup_size: 1024
    .name:           _ZL23rocblas_trmm_lNx_kernelILi32EffKffEv13rocblas_fill_17rocblas_diagonal_iiT1_lPT2_llS5_llPT3_lli
    .private_segment_fixed_size: 0
    .sgpr_count:     30
    .sgpr_spill_count: 0
    .symbol:         _ZL23rocblas_trmm_lNx_kernelILi32EffKffEv13rocblas_fill_17rocblas_diagonal_iiT1_lPT2_llS5_llPT3_lli.kd
    .uniform_work_group_size: 1
    .uses_dynamic_stack: false
    .vgpr_count:     30
    .vgpr_spill_count: 0
    .wavefront_size: 32
    .workgroup_processor_mode: 1
  - .args:
      - .offset:         0
        .size:           4
        .value_kind:     by_value
      - .offset:         4
        .size:           4
        .value_kind:     by_value
      - .offset:         8
        .size:           4
        .value_kind:     by_value
      - .offset:         12
        .size:           4
        .value_kind:     by_value
      - .address_space:  global
        .offset:         16
        .size:           8
        .value_kind:     global_buffer
      - .offset:         24
        .size:           8
        .value_kind:     by_value
      - .address_space:  global
        .offset:         32
        .size:           8
        .value_kind:     global_buffer
      - .offset:         40
        .size:           8
        .value_kind:     by_value
      - .offset:         48
        .size:           8
        .value_kind:     by_value
      - .address_space:  global
        .offset:         56
        .size:           8
        .value_kind:     global_buffer
      - .offset:         64
        .size:           8
        .value_kind:     by_value
      - .offset:         72
        .size:           8
        .value_kind:     by_value
      - .address_space:  global
        .offset:         80
        .size:           8
        .value_kind:     global_buffer
      - .offset:         88
        .size:           8
        .value_kind:     by_value
      - .offset:         96
        .size:           8
        .value_kind:     by_value
      - .offset:         104
        .size:           4
        .value_kind:     by_value
    .group_segment_fixed_size: 8192
    .kernarg_segment_align: 8
    .kernarg_segment_size: 108
    .language:       OpenCL C
    .language_version:
      - 2
      - 0
    .max_flat_workgroup_size: 1024
    .name:           _ZL23rocblas_trmm_lTx_kernelILi32ELb0EfPKfS0_fEv13rocblas_fill_17rocblas_diagonal_iiT2_lPT3_llS6_llPT4_lli
    .private_segment_fixed_size: 0
    .sgpr_count:     33
    .sgpr_spill_count: 0
    .symbol:         _ZL23rocblas_trmm_lTx_kernelILi32ELb0EfPKfS0_fEv13rocblas_fill_17rocblas_diagonal_iiT2_lPT3_llS6_llPT4_lli.kd
    .uniform_work_group_size: 1
    .uses_dynamic_stack: false
    .vgpr_count:     32
    .vgpr_spill_count: 0
    .wavefront_size: 32
    .workgroup_processor_mode: 1
  - .args:
      - .offset:         0
        .size:           4
        .value_kind:     by_value
      - .offset:         4
        .size:           4
        .value_kind:     by_value
      - .offset:         8
        .size:           4
        .value_kind:     by_value
      - .offset:         12
        .size:           4
        .value_kind:     by_value
      - .offset:         16
        .size:           4
        .value_kind:     by_value
      - .offset:         24
        .size:           8
        .value_kind:     by_value
      - .address_space:  global
        .offset:         32
        .size:           8
        .value_kind:     global_buffer
      - .offset:         40
        .size:           8
        .value_kind:     by_value
      - .offset:         48
        .size:           8
        .value_kind:     by_value
      - .address_space:  global
        .offset:         56
        .size:           8
        .value_kind:     global_buffer
      - .offset:         64
        .size:           8
        .value_kind:     by_value
      - .offset:         72
        .size:           8
        .value_kind:     by_value
      - .address_space:  global
        .offset:         80
        .size:           8
        .value_kind:     global_buffer
      - .offset:         88
        .size:           8
        .value_kind:     by_value
      - .offset:         96
        .size:           8
        .value_kind:     by_value
      - .offset:         104
        .size:           4
        .value_kind:     by_value
    .group_segment_fixed_size: 8192
    .kernarg_segment_align: 8
    .kernarg_segment_size: 108
    .language:       OpenCL C
    .language_version:
      - 2
      - 0
    .max_flat_workgroup_size: 1024
    .name:           _ZL23rocblas_trmm_lTx_kernelILi32ELb0EffKffEv13rocblas_fill_17rocblas_diagonal_iiT2_lPT3_llS5_llPT4_lli
    .private_segment_fixed_size: 0
    .sgpr_count:     30
    .sgpr_spill_count: 0
    .symbol:         _ZL23rocblas_trmm_lTx_kernelILi32ELb0EffKffEv13rocblas_fill_17rocblas_diagonal_iiT2_lPT3_llS5_llPT4_lli.kd
    .uniform_work_group_size: 1
    .uses_dynamic_stack: false
    .vgpr_count:     31
    .vgpr_spill_count: 0
    .wavefront_size: 32
    .workgroup_processor_mode: 1
  - .args:
      - .offset:         0
        .size:           4
        .value_kind:     by_value
      - .offset:         4
        .size:           4
        .value_kind:     by_value
      - .offset:         8
        .size:           4
        .value_kind:     by_value
      - .offset:         12
        .size:           4
        .value_kind:     by_value
      - .address_space:  global
        .offset:         16
        .size:           8
        .value_kind:     global_buffer
      - .offset:         24
        .size:           8
        .value_kind:     by_value
      - .address_space:  global
        .offset:         32
        .size:           8
        .value_kind:     global_buffer
      - .offset:         40
        .size:           8
        .value_kind:     by_value
      - .offset:         48
        .size:           8
        .value_kind:     by_value
      - .address_space:  global
        .offset:         56
        .size:           8
        .value_kind:     global_buffer
      - .offset:         64
        .size:           8
        .value_kind:     by_value
      - .offset:         72
        .size:           8
        .value_kind:     by_value
      - .address_space:  global
        .offset:         80
        .size:           8
        .value_kind:     global_buffer
      - .offset:         88
        .size:           8
        .value_kind:     by_value
      - .offset:         96
        .size:           8
        .value_kind:     by_value
      - .offset:         104
        .size:           4
        .value_kind:     by_value
    .group_segment_fixed_size: 8192
    .kernarg_segment_align: 8
    .kernarg_segment_size: 108
    .language:       OpenCL C
    .language_version:
      - 2
      - 0
    .max_flat_workgroup_size: 1024
    .name:           _ZL23rocblas_trmm_lTx_kernelILi32ELb1EfPKfS0_fEv13rocblas_fill_17rocblas_diagonal_iiT2_lPT3_llS6_llPT4_lli
    .private_segment_fixed_size: 0
    .sgpr_count:     33
    .sgpr_spill_count: 0
    .symbol:         _ZL23rocblas_trmm_lTx_kernelILi32ELb1EfPKfS0_fEv13rocblas_fill_17rocblas_diagonal_iiT2_lPT3_llS6_llPT4_lli.kd
    .uniform_work_group_size: 1
    .uses_dynamic_stack: false
    .vgpr_count:     32
    .vgpr_spill_count: 0
    .wavefront_size: 32
    .workgroup_processor_mode: 1
  - .args:
      - .offset:         0
        .size:           4
        .value_kind:     by_value
      - .offset:         4
        .size:           4
        .value_kind:     by_value
      - .offset:         8
        .size:           4
        .value_kind:     by_value
      - .offset:         12
        .size:           4
        .value_kind:     by_value
      - .offset:         16
        .size:           4
        .value_kind:     by_value
      - .offset:         24
        .size:           8
        .value_kind:     by_value
      - .address_space:  global
        .offset:         32
        .size:           8
        .value_kind:     global_buffer
      - .offset:         40
        .size:           8
        .value_kind:     by_value
      - .offset:         48
        .size:           8
        .value_kind:     by_value
      - .address_space:  global
        .offset:         56
        .size:           8
        .value_kind:     global_buffer
      - .offset:         64
        .size:           8
        .value_kind:     by_value
      - .offset:         72
        .size:           8
        .value_kind:     by_value
      - .address_space:  global
        .offset:         80
        .size:           8
        .value_kind:     global_buffer
      - .offset:         88
        .size:           8
        .value_kind:     by_value
      - .offset:         96
        .size:           8
        .value_kind:     by_value
      - .offset:         104
        .size:           4
        .value_kind:     by_value
    .group_segment_fixed_size: 8192
    .kernarg_segment_align: 8
    .kernarg_segment_size: 108
    .language:       OpenCL C
    .language_version:
      - 2
      - 0
    .max_flat_workgroup_size: 1024
    .name:           _ZL23rocblas_trmm_lTx_kernelILi32ELb1EffKffEv13rocblas_fill_17rocblas_diagonal_iiT2_lPT3_llS5_llPT4_lli
    .private_segment_fixed_size: 0
    .sgpr_count:     30
    .sgpr_spill_count: 0
    .symbol:         _ZL23rocblas_trmm_lTx_kernelILi32ELb1EffKffEv13rocblas_fill_17rocblas_diagonal_iiT2_lPT3_llS5_llPT4_lli.kd
    .uniform_work_group_size: 1
    .uses_dynamic_stack: false
    .vgpr_count:     31
    .vgpr_spill_count: 0
    .wavefront_size: 32
    .workgroup_processor_mode: 1
  - .args:
      - .offset:         0
        .size:           4
        .value_kind:     by_value
      - .offset:         4
        .size:           4
        .value_kind:     by_value
      - .offset:         8
        .size:           4
        .value_kind:     by_value
      - .offset:         12
        .size:           4
        .value_kind:     by_value
      - .address_space:  global
        .offset:         16
        .size:           8
        .value_kind:     global_buffer
      - .offset:         24
        .size:           8
        .value_kind:     by_value
      - .address_space:  global
        .offset:         32
        .size:           8
        .value_kind:     global_buffer
      - .offset:         40
        .size:           8
        .value_kind:     by_value
      - .offset:         48
        .size:           8
        .value_kind:     by_value
      - .address_space:  global
        .offset:         56
        .size:           8
        .value_kind:     global_buffer
      - .offset:         64
        .size:           8
        .value_kind:     by_value
      - .offset:         72
        .size:           8
        .value_kind:     by_value
      - .address_space:  global
        .offset:         80
        .size:           8
        .value_kind:     global_buffer
      - .offset:         88
        .size:           8
        .value_kind:     by_value
      - .offset:         96
        .size:           8
        .value_kind:     by_value
      - .offset:         104
        .size:           4
        .value_kind:     by_value
    .group_segment_fixed_size: 8192
    .kernarg_segment_align: 8
    .kernarg_segment_size: 108
    .language:       OpenCL C
    .language_version:
      - 2
      - 0
    .max_flat_workgroup_size: 1024
    .name:           _ZL23rocblas_trmm_rNx_kernelILi32EfPKfS0_fEv13rocblas_fill_17rocblas_diagonal_iiT1_lPT2_llS6_llPT3_lli
    .private_segment_fixed_size: 0
    .sgpr_count:     33
    .sgpr_spill_count: 0
    .symbol:         _ZL23rocblas_trmm_rNx_kernelILi32EfPKfS0_fEv13rocblas_fill_17rocblas_diagonal_iiT1_lPT2_llS6_llPT3_lli.kd
    .uniform_work_group_size: 1
    .uses_dynamic_stack: false
    .vgpr_count:     31
    .vgpr_spill_count: 0
    .wavefront_size: 32
    .workgroup_processor_mode: 1
  - .args:
      - .offset:         0
        .size:           4
        .value_kind:     by_value
      - .offset:         4
        .size:           4
        .value_kind:     by_value
      - .offset:         8
        .size:           4
        .value_kind:     by_value
      - .offset:         12
        .size:           4
        .value_kind:     by_value
      - .offset:         16
        .size:           4
        .value_kind:     by_value
      - .offset:         24
        .size:           8
        .value_kind:     by_value
      - .address_space:  global
        .offset:         32
        .size:           8
        .value_kind:     global_buffer
      - .offset:         40
        .size:           8
        .value_kind:     by_value
      - .offset:         48
        .size:           8
        .value_kind:     by_value
      - .address_space:  global
        .offset:         56
        .size:           8
        .value_kind:     global_buffer
      - .offset:         64
        .size:           8
        .value_kind:     by_value
      - .offset:         72
        .size:           8
        .value_kind:     by_value
      - .address_space:  global
        .offset:         80
        .size:           8
        .value_kind:     global_buffer
      - .offset:         88
        .size:           8
        .value_kind:     by_value
      - .offset:         96
        .size:           8
        .value_kind:     by_value
      - .offset:         104
        .size:           4
        .value_kind:     by_value
    .group_segment_fixed_size: 8192
    .kernarg_segment_align: 8
    .kernarg_segment_size: 108
    .language:       OpenCL C
    .language_version:
      - 2
      - 0
    .max_flat_workgroup_size: 1024
    .name:           _ZL23rocblas_trmm_rNx_kernelILi32EffKffEv13rocblas_fill_17rocblas_diagonal_iiT1_lPT2_llS5_llPT3_lli
    .private_segment_fixed_size: 0
    .sgpr_count:     30
    .sgpr_spill_count: 0
    .symbol:         _ZL23rocblas_trmm_rNx_kernelILi32EffKffEv13rocblas_fill_17rocblas_diagonal_iiT1_lPT2_llS5_llPT3_lli.kd
    .uniform_work_group_size: 1
    .uses_dynamic_stack: false
    .vgpr_count:     30
    .vgpr_spill_count: 0
    .wavefront_size: 32
    .workgroup_processor_mode: 1
  - .args:
      - .offset:         0
        .size:           4
        .value_kind:     by_value
      - .offset:         4
        .size:           4
        .value_kind:     by_value
      - .offset:         8
        .size:           4
        .value_kind:     by_value
      - .offset:         12
        .size:           4
        .value_kind:     by_value
      - .address_space:  global
        .offset:         16
        .size:           8
        .value_kind:     global_buffer
      - .offset:         24
        .size:           8
        .value_kind:     by_value
      - .address_space:  global
        .offset:         32
        .size:           8
        .value_kind:     global_buffer
      - .offset:         40
        .size:           8
        .value_kind:     by_value
      - .offset:         48
        .size:           8
        .value_kind:     by_value
      - .address_space:  global
        .offset:         56
        .size:           8
        .value_kind:     global_buffer
      - .offset:         64
        .size:           8
        .value_kind:     by_value
      - .offset:         72
        .size:           8
        .value_kind:     by_value
      - .address_space:  global
        .offset:         80
        .size:           8
        .value_kind:     global_buffer
      - .offset:         88
        .size:           8
        .value_kind:     by_value
      - .offset:         96
        .size:           8
        .value_kind:     by_value
      - .offset:         104
        .size:           4
        .value_kind:     by_value
    .group_segment_fixed_size: 8192
    .kernarg_segment_align: 8
    .kernarg_segment_size: 108
    .language:       OpenCL C
    .language_version:
      - 2
      - 0
    .max_flat_workgroup_size: 1024
    .name:           _ZL23rocblas_trmm_rTx_kernelILi32ELb0EfPKfS0_fEv13rocblas_fill_17rocblas_diagonal_iiT2_lPT3_llS6_llPT4_lli
    .private_segment_fixed_size: 0
    .sgpr_count:     33
    .sgpr_spill_count: 0
    .symbol:         _ZL23rocblas_trmm_rTx_kernelILi32ELb0EfPKfS0_fEv13rocblas_fill_17rocblas_diagonal_iiT2_lPT3_llS6_llPT4_lli.kd
    .uniform_work_group_size: 1
    .uses_dynamic_stack: false
    .vgpr_count:     32
    .vgpr_spill_count: 0
    .wavefront_size: 32
    .workgroup_processor_mode: 1
  - .args:
      - .offset:         0
        .size:           4
        .value_kind:     by_value
      - .offset:         4
        .size:           4
        .value_kind:     by_value
      - .offset:         8
        .size:           4
        .value_kind:     by_value
      - .offset:         12
        .size:           4
        .value_kind:     by_value
      - .offset:         16
        .size:           4
        .value_kind:     by_value
      - .offset:         24
        .size:           8
        .value_kind:     by_value
      - .address_space:  global
        .offset:         32
        .size:           8
        .value_kind:     global_buffer
      - .offset:         40
        .size:           8
        .value_kind:     by_value
      - .offset:         48
        .size:           8
        .value_kind:     by_value
      - .address_space:  global
        .offset:         56
        .size:           8
        .value_kind:     global_buffer
      - .offset:         64
        .size:           8
        .value_kind:     by_value
      - .offset:         72
        .size:           8
        .value_kind:     by_value
      - .address_space:  global
        .offset:         80
        .size:           8
        .value_kind:     global_buffer
      - .offset:         88
        .size:           8
        .value_kind:     by_value
      - .offset:         96
        .size:           8
        .value_kind:     by_value
      - .offset:         104
        .size:           4
        .value_kind:     by_value
    .group_segment_fixed_size: 8192
    .kernarg_segment_align: 8
    .kernarg_segment_size: 108
    .language:       OpenCL C
    .language_version:
      - 2
      - 0
    .max_flat_workgroup_size: 1024
    .name:           _ZL23rocblas_trmm_rTx_kernelILi32ELb0EffKffEv13rocblas_fill_17rocblas_diagonal_iiT2_lPT3_llS5_llPT4_lli
    .private_segment_fixed_size: 0
    .sgpr_count:     30
    .sgpr_spill_count: 0
    .symbol:         _ZL23rocblas_trmm_rTx_kernelILi32ELb0EffKffEv13rocblas_fill_17rocblas_diagonal_iiT2_lPT3_llS5_llPT4_lli.kd
    .uniform_work_group_size: 1
    .uses_dynamic_stack: false
    .vgpr_count:     31
    .vgpr_spill_count: 0
    .wavefront_size: 32
    .workgroup_processor_mode: 1
  - .args:
      - .offset:         0
        .size:           4
        .value_kind:     by_value
      - .offset:         4
        .size:           4
        .value_kind:     by_value
      - .offset:         8
        .size:           4
        .value_kind:     by_value
      - .offset:         12
        .size:           4
        .value_kind:     by_value
      - .address_space:  global
        .offset:         16
        .size:           8
        .value_kind:     global_buffer
      - .offset:         24
        .size:           8
        .value_kind:     by_value
      - .address_space:  global
        .offset:         32
        .size:           8
        .value_kind:     global_buffer
      - .offset:         40
        .size:           8
        .value_kind:     by_value
      - .offset:         48
        .size:           8
        .value_kind:     by_value
      - .address_space:  global
        .offset:         56
        .size:           8
        .value_kind:     global_buffer
      - .offset:         64
        .size:           8
        .value_kind:     by_value
      - .offset:         72
        .size:           8
        .value_kind:     by_value
      - .address_space:  global
        .offset:         80
        .size:           8
        .value_kind:     global_buffer
      - .offset:         88
        .size:           8
        .value_kind:     by_value
      - .offset:         96
        .size:           8
        .value_kind:     by_value
      - .offset:         104
        .size:           4
        .value_kind:     by_value
    .group_segment_fixed_size: 8192
    .kernarg_segment_align: 8
    .kernarg_segment_size: 108
    .language:       OpenCL C
    .language_version:
      - 2
      - 0
    .max_flat_workgroup_size: 1024
    .name:           _ZL23rocblas_trmm_rTx_kernelILi32ELb1EfPKfS0_fEv13rocblas_fill_17rocblas_diagonal_iiT2_lPT3_llS6_llPT4_lli
    .private_segment_fixed_size: 0
    .sgpr_count:     33
    .sgpr_spill_count: 0
    .symbol:         _ZL23rocblas_trmm_rTx_kernelILi32ELb1EfPKfS0_fEv13rocblas_fill_17rocblas_diagonal_iiT2_lPT3_llS6_llPT4_lli.kd
    .uniform_work_group_size: 1
    .uses_dynamic_stack: false
    .vgpr_count:     32
    .vgpr_spill_count: 0
    .wavefront_size: 32
    .workgroup_processor_mode: 1
  - .args:
      - .offset:         0
        .size:           4
        .value_kind:     by_value
      - .offset:         4
        .size:           4
        .value_kind:     by_value
      - .offset:         8
        .size:           4
        .value_kind:     by_value
      - .offset:         12
        .size:           4
        .value_kind:     by_value
      - .offset:         16
        .size:           4
        .value_kind:     by_value
      - .offset:         24
        .size:           8
        .value_kind:     by_value
      - .address_space:  global
        .offset:         32
        .size:           8
        .value_kind:     global_buffer
      - .offset:         40
        .size:           8
        .value_kind:     by_value
      - .offset:         48
        .size:           8
        .value_kind:     by_value
      - .address_space:  global
        .offset:         56
        .size:           8
        .value_kind:     global_buffer
      - .offset:         64
        .size:           8
        .value_kind:     by_value
      - .offset:         72
        .size:           8
        .value_kind:     by_value
      - .address_space:  global
        .offset:         80
        .size:           8
        .value_kind:     global_buffer
      - .offset:         88
        .size:           8
        .value_kind:     by_value
      - .offset:         96
        .size:           8
        .value_kind:     by_value
      - .offset:         104
        .size:           4
        .value_kind:     by_value
    .group_segment_fixed_size: 8192
    .kernarg_segment_align: 8
    .kernarg_segment_size: 108
    .language:       OpenCL C
    .language_version:
      - 2
      - 0
    .max_flat_workgroup_size: 1024
    .name:           _ZL23rocblas_trmm_rTx_kernelILi32ELb1EffKffEv13rocblas_fill_17rocblas_diagonal_iiT2_lPT3_llS5_llPT4_lli
    .private_segment_fixed_size: 0
    .sgpr_count:     30
    .sgpr_spill_count: 0
    .symbol:         _ZL23rocblas_trmm_rTx_kernelILi32ELb1EffKffEv13rocblas_fill_17rocblas_diagonal_iiT2_lPT3_llS5_llPT4_lli.kd
    .uniform_work_group_size: 1
    .uses_dynamic_stack: false
    .vgpr_count:     31
    .vgpr_spill_count: 0
    .wavefront_size: 32
    .workgroup_processor_mode: 1
  - .args:
      - .offset:         0
        .size:           4
        .value_kind:     by_value
      - .offset:         4
        .size:           4
        .value_kind:     by_value
      - .offset:         8
        .size:           4
        .value_kind:     by_value
      - .address_space:  global
        .offset:         16
        .size:           8
        .value_kind:     global_buffer
      - .offset:         24
        .size:           8
        .value_kind:     by_value
      - .address_space:  global
        .offset:         32
        .size:           8
        .value_kind:     global_buffer
      - .offset:         40
        .size:           8
        .value_kind:     by_value
      - .offset:         48
        .size:           8
        .value_kind:     by_value
      - .offset:         56
        .size:           8
        .value_kind:     by_value
      - .address_space:  global
        .offset:         64
        .size:           8
        .value_kind:     global_buffer
      - .offset:         72
        .size:           8
        .value_kind:     by_value
      - .offset:         80
        .size:           8
        .value_kind:     by_value
      - .offset:         88
        .size:           8
        .value_kind:     by_value
      - .address_space:  global
        .offset:         96
        .size:           8
        .value_kind:     global_buffer
      - .offset:         104
        .size:           8
        .value_kind:     by_value
      - .offset:         112
        .size:           8
        .value_kind:     by_value
      - .offset:         120
        .size:           8
        .value_kind:     by_value
      - .offset:         128
        .size:           4
        .value_kind:     by_value
      - .offset:         136
        .size:           4
        .value_kind:     hidden_block_count_x
      - .offset:         140
        .size:           4
        .value_kind:     hidden_block_count_y
      - .offset:         144
        .size:           4
        .value_kind:     hidden_block_count_z
      - .offset:         148
        .size:           2
        .value_kind:     hidden_group_size_x
      - .offset:         150
        .size:           2
        .value_kind:     hidden_group_size_y
      - .offset:         152
        .size:           2
        .value_kind:     hidden_group_size_z
      - .offset:         154
        .size:           2
        .value_kind:     hidden_remainder_x
      - .offset:         156
        .size:           2
        .value_kind:     hidden_remainder_y
      - .offset:         158
        .size:           2
        .value_kind:     hidden_remainder_z
      - .offset:         176
        .size:           8
        .value_kind:     hidden_global_offset_x
      - .offset:         184
        .size:           8
        .value_kind:     hidden_global_offset_y
      - .offset:         192
        .size:           8
        .value_kind:     hidden_global_offset_z
      - .offset:         200
        .size:           2
        .value_kind:     hidden_grid_dims
    .group_segment_fixed_size: 16384
    .kernarg_segment_align: 8
    .kernarg_segment_size: 392
    .language:       OpenCL C
    .language_version:
      - 2
      - 0
    .max_flat_workgroup_size: 1024
    .name:           _ZL30rocblas_trmm_outofplace_kernelIdLi32ELi2ELb1ELb0ELb0ELb0EPKdS0_dEv17rocblas_diagonal_iiT6_lPT7_lllS5_lllPT8_llli
    .private_segment_fixed_size: 0
    .sgpr_count:     59
    .sgpr_spill_count: 0
    .symbol:         _ZL30rocblas_trmm_outofplace_kernelIdLi32ELi2ELb1ELb0ELb0ELb0EPKdS0_dEv17rocblas_diagonal_iiT6_lPT7_lllS5_lllPT8_llli.kd
    .uniform_work_group_size: 1
    .uses_dynamic_stack: false
    .vgpr_count:     83
    .vgpr_spill_count: 0
    .wavefront_size: 32
    .workgroup_processor_mode: 1
  - .args:
      - .offset:         0
        .size:           4
        .value_kind:     by_value
      - .offset:         4
        .size:           4
        .value_kind:     by_value
      - .offset:         8
        .size:           4
        .value_kind:     by_value
      - .offset:         16
        .size:           8
        .value_kind:     by_value
      - .offset:         24
        .size:           8
        .value_kind:     by_value
      - .address_space:  global
        .offset:         32
        .size:           8
        .value_kind:     global_buffer
      - .offset:         40
        .size:           8
        .value_kind:     by_value
      - .offset:         48
        .size:           8
        .value_kind:     by_value
      - .offset:         56
        .size:           8
        .value_kind:     by_value
      - .address_space:  global
        .offset:         64
        .size:           8
        .value_kind:     global_buffer
      - .offset:         72
        .size:           8
        .value_kind:     by_value
      - .offset:         80
        .size:           8
        .value_kind:     by_value
      - .offset:         88
        .size:           8
        .value_kind:     by_value
      - .address_space:  global
        .offset:         96
        .size:           8
        .value_kind:     global_buffer
      - .offset:         104
        .size:           8
        .value_kind:     by_value
      - .offset:         112
        .size:           8
        .value_kind:     by_value
      - .offset:         120
        .size:           8
        .value_kind:     by_value
      - .offset:         128
        .size:           4
        .value_kind:     by_value
      - .offset:         136
        .size:           4
        .value_kind:     hidden_block_count_x
      - .offset:         140
        .size:           4
        .value_kind:     hidden_block_count_y
      - .offset:         144
        .size:           4
        .value_kind:     hidden_block_count_z
      - .offset:         148
        .size:           2
        .value_kind:     hidden_group_size_x
      - .offset:         150
        .size:           2
        .value_kind:     hidden_group_size_y
      - .offset:         152
        .size:           2
        .value_kind:     hidden_group_size_z
      - .offset:         154
        .size:           2
        .value_kind:     hidden_remainder_x
      - .offset:         156
        .size:           2
        .value_kind:     hidden_remainder_y
      - .offset:         158
        .size:           2
        .value_kind:     hidden_remainder_z
      - .offset:         176
        .size:           8
        .value_kind:     hidden_global_offset_x
      - .offset:         184
        .size:           8
        .value_kind:     hidden_global_offset_y
      - .offset:         192
        .size:           8
        .value_kind:     hidden_global_offset_z
      - .offset:         200
        .size:           2
        .value_kind:     hidden_grid_dims
    .group_segment_fixed_size: 16384
    .kernarg_segment_align: 8
    .kernarg_segment_size: 392
    .language:       OpenCL C
    .language_version:
      - 2
      - 0
    .max_flat_workgroup_size: 1024
    .name:           _ZL30rocblas_trmm_outofplace_kernelIdLi32ELi2ELb1ELb0ELb0ELb0EdKddEv17rocblas_diagonal_iiT6_lPT7_lllS4_lllPT8_llli
    .private_segment_fixed_size: 0
    .sgpr_count:     57
    .sgpr_spill_count: 0
    .symbol:         _ZL30rocblas_trmm_outofplace_kernelIdLi32ELi2ELb1ELb0ELb0ELb0EdKddEv17rocblas_diagonal_iiT6_lPT7_lllS4_lllPT8_llli.kd
    .uniform_work_group_size: 1
    .uses_dynamic_stack: false
    .vgpr_count:     81
    .vgpr_spill_count: 0
    .wavefront_size: 32
    .workgroup_processor_mode: 1
  - .args:
      - .offset:         0
        .size:           4
        .value_kind:     by_value
      - .offset:         4
        .size:           4
        .value_kind:     by_value
      - .offset:         8
        .size:           4
        .value_kind:     by_value
      - .address_space:  global
        .offset:         16
        .size:           8
        .value_kind:     global_buffer
      - .offset:         24
        .size:           8
        .value_kind:     by_value
      - .address_space:  global
        .offset:         32
        .size:           8
        .value_kind:     global_buffer
      - .offset:         40
        .size:           8
        .value_kind:     by_value
      - .offset:         48
        .size:           8
        .value_kind:     by_value
      - .offset:         56
        .size:           8
        .value_kind:     by_value
      - .address_space:  global
        .offset:         64
        .size:           8
        .value_kind:     global_buffer
      - .offset:         72
        .size:           8
        .value_kind:     by_value
      - .offset:         80
        .size:           8
        .value_kind:     by_value
      - .offset:         88
        .size:           8
        .value_kind:     by_value
      - .address_space:  global
        .offset:         96
        .size:           8
        .value_kind:     global_buffer
      - .offset:         104
        .size:           8
        .value_kind:     by_value
      - .offset:         112
        .size:           8
        .value_kind:     by_value
      - .offset:         120
        .size:           8
        .value_kind:     by_value
      - .offset:         128
        .size:           4
        .value_kind:     by_value
      - .offset:         136
        .size:           4
        .value_kind:     hidden_block_count_x
      - .offset:         140
        .size:           4
        .value_kind:     hidden_block_count_y
      - .offset:         144
        .size:           4
        .value_kind:     hidden_block_count_z
      - .offset:         148
        .size:           2
        .value_kind:     hidden_group_size_x
      - .offset:         150
        .size:           2
        .value_kind:     hidden_group_size_y
      - .offset:         152
        .size:           2
        .value_kind:     hidden_group_size_z
      - .offset:         154
        .size:           2
        .value_kind:     hidden_remainder_x
      - .offset:         156
        .size:           2
        .value_kind:     hidden_remainder_y
      - .offset:         158
        .size:           2
        .value_kind:     hidden_remainder_z
      - .offset:         176
        .size:           8
        .value_kind:     hidden_global_offset_x
      - .offset:         184
        .size:           8
        .value_kind:     hidden_global_offset_y
      - .offset:         192
        .size:           8
        .value_kind:     hidden_global_offset_z
      - .offset:         200
        .size:           2
        .value_kind:     hidden_grid_dims
    .group_segment_fixed_size: 16384
    .kernarg_segment_align: 8
    .kernarg_segment_size: 392
    .language:       OpenCL C
    .language_version:
      - 2
      - 0
    .max_flat_workgroup_size: 1024
    .name:           _ZL30rocblas_trmm_outofplace_kernelIdLi32ELi2ELb1ELb1ELb0ELb0EPKdS0_dEv17rocblas_diagonal_iiT6_lPT7_lllS5_lllPT8_llli
    .private_segment_fixed_size: 0
    .sgpr_count:     63
    .sgpr_spill_count: 0
    .symbol:         _ZL30rocblas_trmm_outofplace_kernelIdLi32ELi2ELb1ELb1ELb0ELb0EPKdS0_dEv17rocblas_diagonal_iiT6_lPT7_lllS5_lllPT8_llli.kd
    .uniform_work_group_size: 1
    .uses_dynamic_stack: false
    .vgpr_count:     80
    .vgpr_spill_count: 0
    .wavefront_size: 32
    .workgroup_processor_mode: 1
  - .args:
      - .offset:         0
        .size:           4
        .value_kind:     by_value
      - .offset:         4
        .size:           4
        .value_kind:     by_value
      - .offset:         8
        .size:           4
        .value_kind:     by_value
      - .offset:         16
        .size:           8
        .value_kind:     by_value
      - .offset:         24
        .size:           8
        .value_kind:     by_value
      - .address_space:  global
        .offset:         32
        .size:           8
        .value_kind:     global_buffer
      - .offset:         40
        .size:           8
        .value_kind:     by_value
      - .offset:         48
        .size:           8
        .value_kind:     by_value
      - .offset:         56
        .size:           8
        .value_kind:     by_value
      - .address_space:  global
        .offset:         64
        .size:           8
        .value_kind:     global_buffer
      - .offset:         72
        .size:           8
        .value_kind:     by_value
      - .offset:         80
        .size:           8
        .value_kind:     by_value
      - .offset:         88
        .size:           8
        .value_kind:     by_value
      - .address_space:  global
        .offset:         96
        .size:           8
        .value_kind:     global_buffer
      - .offset:         104
        .size:           8
        .value_kind:     by_value
      - .offset:         112
        .size:           8
        .value_kind:     by_value
      - .offset:         120
        .size:           8
        .value_kind:     by_value
      - .offset:         128
        .size:           4
        .value_kind:     by_value
      - .offset:         136
        .size:           4
        .value_kind:     hidden_block_count_x
      - .offset:         140
        .size:           4
        .value_kind:     hidden_block_count_y
      - .offset:         144
        .size:           4
        .value_kind:     hidden_block_count_z
      - .offset:         148
        .size:           2
        .value_kind:     hidden_group_size_x
      - .offset:         150
        .size:           2
        .value_kind:     hidden_group_size_y
      - .offset:         152
        .size:           2
        .value_kind:     hidden_group_size_z
      - .offset:         154
        .size:           2
        .value_kind:     hidden_remainder_x
      - .offset:         156
        .size:           2
        .value_kind:     hidden_remainder_y
      - .offset:         158
        .size:           2
        .value_kind:     hidden_remainder_z
      - .offset:         176
        .size:           8
        .value_kind:     hidden_global_offset_x
      - .offset:         184
        .size:           8
        .value_kind:     hidden_global_offset_y
      - .offset:         192
        .size:           8
        .value_kind:     hidden_global_offset_z
      - .offset:         200
        .size:           2
        .value_kind:     hidden_grid_dims
    .group_segment_fixed_size: 16384
    .kernarg_segment_align: 8
    .kernarg_segment_size: 392
    .language:       OpenCL C
    .language_version:
      - 2
      - 0
    .max_flat_workgroup_size: 1024
    .name:           _ZL30rocblas_trmm_outofplace_kernelIdLi32ELi2ELb1ELb1ELb0ELb0EdKddEv17rocblas_diagonal_iiT6_lPT7_lllS4_lllPT8_llli
    .private_segment_fixed_size: 0
    .sgpr_count:     61
    .sgpr_spill_count: 0
    .symbol:         _ZL30rocblas_trmm_outofplace_kernelIdLi32ELi2ELb1ELb1ELb0ELb0EdKddEv17rocblas_diagonal_iiT6_lPT7_lllS4_lllPT8_llli.kd
    .uniform_work_group_size: 1
    .uses_dynamic_stack: false
    .vgpr_count:     78
    .vgpr_spill_count: 0
    .wavefront_size: 32
    .workgroup_processor_mode: 1
  - .args:
      - .offset:         0
        .size:           4
        .value_kind:     by_value
      - .offset:         4
        .size:           4
        .value_kind:     by_value
      - .offset:         8
        .size:           4
        .value_kind:     by_value
      - .address_space:  global
        .offset:         16
        .size:           8
        .value_kind:     global_buffer
      - .offset:         24
        .size:           8
        .value_kind:     by_value
      - .address_space:  global
        .offset:         32
        .size:           8
        .value_kind:     global_buffer
      - .offset:         40
        .size:           8
        .value_kind:     by_value
      - .offset:         48
        .size:           8
        .value_kind:     by_value
      - .offset:         56
        .size:           8
        .value_kind:     by_value
      - .address_space:  global
        .offset:         64
        .size:           8
        .value_kind:     global_buffer
      - .offset:         72
        .size:           8
        .value_kind:     by_value
      - .offset:         80
        .size:           8
        .value_kind:     by_value
      - .offset:         88
        .size:           8
        .value_kind:     by_value
      - .address_space:  global
        .offset:         96
        .size:           8
        .value_kind:     global_buffer
      - .offset:         104
        .size:           8
        .value_kind:     by_value
      - .offset:         112
        .size:           8
        .value_kind:     by_value
      - .offset:         120
        .size:           8
        .value_kind:     by_value
      - .offset:         128
        .size:           4
        .value_kind:     by_value
      - .offset:         136
        .size:           4
        .value_kind:     hidden_block_count_x
      - .offset:         140
        .size:           4
        .value_kind:     hidden_block_count_y
      - .offset:         144
        .size:           4
        .value_kind:     hidden_block_count_z
      - .offset:         148
        .size:           2
        .value_kind:     hidden_group_size_x
      - .offset:         150
        .size:           2
        .value_kind:     hidden_group_size_y
      - .offset:         152
        .size:           2
        .value_kind:     hidden_group_size_z
      - .offset:         154
        .size:           2
        .value_kind:     hidden_remainder_x
      - .offset:         156
        .size:           2
        .value_kind:     hidden_remainder_y
      - .offset:         158
        .size:           2
        .value_kind:     hidden_remainder_z
      - .offset:         176
        .size:           8
        .value_kind:     hidden_global_offset_x
      - .offset:         184
        .size:           8
        .value_kind:     hidden_global_offset_y
      - .offset:         192
        .size:           8
        .value_kind:     hidden_global_offset_z
      - .offset:         200
        .size:           2
        .value_kind:     hidden_grid_dims
    .group_segment_fixed_size: 16384
    .kernarg_segment_align: 8
    .kernarg_segment_size: 392
    .language:       OpenCL C
    .language_version:
      - 2
      - 0
    .max_flat_workgroup_size: 1024
    .name:           _ZL30rocblas_trmm_outofplace_kernelIdLi32ELi2ELb1ELb0ELb1ELb0EPKdS0_dEv17rocblas_diagonal_iiT6_lPT7_lllS5_lllPT8_llli
    .private_segment_fixed_size: 0
    .sgpr_count:     59
    .sgpr_spill_count: 0
    .symbol:         _ZL30rocblas_trmm_outofplace_kernelIdLi32ELi2ELb1ELb0ELb1ELb0EPKdS0_dEv17rocblas_diagonal_iiT6_lPT7_lllS5_lllPT8_llli.kd
    .uniform_work_group_size: 1
    .uses_dynamic_stack: false
    .vgpr_count:     80
    .vgpr_spill_count: 0
    .wavefront_size: 32
    .workgroup_processor_mode: 1
  - .args:
      - .offset:         0
        .size:           4
        .value_kind:     by_value
      - .offset:         4
        .size:           4
        .value_kind:     by_value
      - .offset:         8
        .size:           4
        .value_kind:     by_value
      - .offset:         16
        .size:           8
        .value_kind:     by_value
      - .offset:         24
        .size:           8
        .value_kind:     by_value
      - .address_space:  global
        .offset:         32
        .size:           8
        .value_kind:     global_buffer
      - .offset:         40
        .size:           8
        .value_kind:     by_value
      - .offset:         48
        .size:           8
        .value_kind:     by_value
      - .offset:         56
        .size:           8
        .value_kind:     by_value
      - .address_space:  global
        .offset:         64
        .size:           8
        .value_kind:     global_buffer
      - .offset:         72
        .size:           8
        .value_kind:     by_value
      - .offset:         80
        .size:           8
        .value_kind:     by_value
      - .offset:         88
        .size:           8
        .value_kind:     by_value
      - .address_space:  global
        .offset:         96
        .size:           8
        .value_kind:     global_buffer
      - .offset:         104
        .size:           8
        .value_kind:     by_value
      - .offset:         112
        .size:           8
        .value_kind:     by_value
      - .offset:         120
        .size:           8
        .value_kind:     by_value
      - .offset:         128
        .size:           4
        .value_kind:     by_value
      - .offset:         136
        .size:           4
        .value_kind:     hidden_block_count_x
      - .offset:         140
        .size:           4
        .value_kind:     hidden_block_count_y
      - .offset:         144
        .size:           4
        .value_kind:     hidden_block_count_z
      - .offset:         148
        .size:           2
        .value_kind:     hidden_group_size_x
      - .offset:         150
        .size:           2
        .value_kind:     hidden_group_size_y
      - .offset:         152
        .size:           2
        .value_kind:     hidden_group_size_z
      - .offset:         154
        .size:           2
        .value_kind:     hidden_remainder_x
      - .offset:         156
        .size:           2
        .value_kind:     hidden_remainder_y
      - .offset:         158
        .size:           2
        .value_kind:     hidden_remainder_z
      - .offset:         176
        .size:           8
        .value_kind:     hidden_global_offset_x
      - .offset:         184
        .size:           8
        .value_kind:     hidden_global_offset_y
      - .offset:         192
        .size:           8
        .value_kind:     hidden_global_offset_z
      - .offset:         200
        .size:           2
        .value_kind:     hidden_grid_dims
    .group_segment_fixed_size: 16384
    .kernarg_segment_align: 8
    .kernarg_segment_size: 392
    .language:       OpenCL C
    .language_version:
      - 2
      - 0
    .max_flat_workgroup_size: 1024
    .name:           _ZL30rocblas_trmm_outofplace_kernelIdLi32ELi2ELb1ELb0ELb1ELb0EdKddEv17rocblas_diagonal_iiT6_lPT7_lllS4_lllPT8_llli
    .private_segment_fixed_size: 0
    .sgpr_count:     57
    .sgpr_spill_count: 0
    .symbol:         _ZL30rocblas_trmm_outofplace_kernelIdLi32ELi2ELb1ELb0ELb1ELb0EdKddEv17rocblas_diagonal_iiT6_lPT7_lllS4_lllPT8_llli.kd
    .uniform_work_group_size: 1
    .uses_dynamic_stack: false
    .vgpr_count:     78
    .vgpr_spill_count: 0
    .wavefront_size: 32
    .workgroup_processor_mode: 1
  - .args:
      - .offset:         0
        .size:           4
        .value_kind:     by_value
      - .offset:         4
        .size:           4
        .value_kind:     by_value
      - .offset:         8
        .size:           4
        .value_kind:     by_value
      - .address_space:  global
        .offset:         16
        .size:           8
        .value_kind:     global_buffer
      - .offset:         24
        .size:           8
        .value_kind:     by_value
      - .address_space:  global
        .offset:         32
        .size:           8
        .value_kind:     global_buffer
      - .offset:         40
        .size:           8
        .value_kind:     by_value
      - .offset:         48
        .size:           8
        .value_kind:     by_value
      - .offset:         56
        .size:           8
        .value_kind:     by_value
      - .address_space:  global
        .offset:         64
        .size:           8
        .value_kind:     global_buffer
      - .offset:         72
        .size:           8
        .value_kind:     by_value
      - .offset:         80
        .size:           8
        .value_kind:     by_value
      - .offset:         88
        .size:           8
        .value_kind:     by_value
      - .address_space:  global
        .offset:         96
        .size:           8
        .value_kind:     global_buffer
      - .offset:         104
        .size:           8
        .value_kind:     by_value
      - .offset:         112
        .size:           8
        .value_kind:     by_value
      - .offset:         120
        .size:           8
        .value_kind:     by_value
      - .offset:         128
        .size:           4
        .value_kind:     by_value
      - .offset:         136
        .size:           4
        .value_kind:     hidden_block_count_x
      - .offset:         140
        .size:           4
        .value_kind:     hidden_block_count_y
      - .offset:         144
        .size:           4
        .value_kind:     hidden_block_count_z
      - .offset:         148
        .size:           2
        .value_kind:     hidden_group_size_x
      - .offset:         150
        .size:           2
        .value_kind:     hidden_group_size_y
      - .offset:         152
        .size:           2
        .value_kind:     hidden_group_size_z
      - .offset:         154
        .size:           2
        .value_kind:     hidden_remainder_x
      - .offset:         156
        .size:           2
        .value_kind:     hidden_remainder_y
      - .offset:         158
        .size:           2
        .value_kind:     hidden_remainder_z
      - .offset:         176
        .size:           8
        .value_kind:     hidden_global_offset_x
      - .offset:         184
        .size:           8
        .value_kind:     hidden_global_offset_y
      - .offset:         192
        .size:           8
        .value_kind:     hidden_global_offset_z
      - .offset:         200
        .size:           2
        .value_kind:     hidden_grid_dims
    .group_segment_fixed_size: 16384
    .kernarg_segment_align: 8
    .kernarg_segment_size: 392
    .language:       OpenCL C
    .language_version:
      - 2
      - 0
    .max_flat_workgroup_size: 1024
    .name:           _ZL30rocblas_trmm_outofplace_kernelIdLi32ELi2ELb1ELb1ELb1ELb0EPKdS0_dEv17rocblas_diagonal_iiT6_lPT7_lllS5_lllPT8_llli
    .private_segment_fixed_size: 0
    .sgpr_count:     59
    .sgpr_spill_count: 0
    .symbol:         _ZL30rocblas_trmm_outofplace_kernelIdLi32ELi2ELb1ELb1ELb1ELb0EPKdS0_dEv17rocblas_diagonal_iiT6_lPT7_lllS5_lllPT8_llli.kd
    .uniform_work_group_size: 1
    .uses_dynamic_stack: false
    .vgpr_count:     79
    .vgpr_spill_count: 0
    .wavefront_size: 32
    .workgroup_processor_mode: 1
  - .args:
      - .offset:         0
        .size:           4
        .value_kind:     by_value
      - .offset:         4
        .size:           4
        .value_kind:     by_value
      - .offset:         8
        .size:           4
        .value_kind:     by_value
      - .offset:         16
        .size:           8
        .value_kind:     by_value
      - .offset:         24
        .size:           8
        .value_kind:     by_value
      - .address_space:  global
        .offset:         32
        .size:           8
        .value_kind:     global_buffer
      - .offset:         40
        .size:           8
        .value_kind:     by_value
      - .offset:         48
        .size:           8
        .value_kind:     by_value
      - .offset:         56
        .size:           8
        .value_kind:     by_value
      - .address_space:  global
        .offset:         64
        .size:           8
        .value_kind:     global_buffer
      - .offset:         72
        .size:           8
        .value_kind:     by_value
      - .offset:         80
        .size:           8
        .value_kind:     by_value
      - .offset:         88
        .size:           8
        .value_kind:     by_value
      - .address_space:  global
        .offset:         96
        .size:           8
        .value_kind:     global_buffer
      - .offset:         104
        .size:           8
        .value_kind:     by_value
      - .offset:         112
        .size:           8
        .value_kind:     by_value
      - .offset:         120
        .size:           8
        .value_kind:     by_value
      - .offset:         128
        .size:           4
        .value_kind:     by_value
      - .offset:         136
        .size:           4
        .value_kind:     hidden_block_count_x
      - .offset:         140
        .size:           4
        .value_kind:     hidden_block_count_y
      - .offset:         144
        .size:           4
        .value_kind:     hidden_block_count_z
      - .offset:         148
        .size:           2
        .value_kind:     hidden_group_size_x
      - .offset:         150
        .size:           2
        .value_kind:     hidden_group_size_y
      - .offset:         152
        .size:           2
        .value_kind:     hidden_group_size_z
      - .offset:         154
        .size:           2
        .value_kind:     hidden_remainder_x
      - .offset:         156
        .size:           2
        .value_kind:     hidden_remainder_y
      - .offset:         158
        .size:           2
        .value_kind:     hidden_remainder_z
      - .offset:         176
        .size:           8
        .value_kind:     hidden_global_offset_x
      - .offset:         184
        .size:           8
        .value_kind:     hidden_global_offset_y
      - .offset:         192
        .size:           8
        .value_kind:     hidden_global_offset_z
      - .offset:         200
        .size:           2
        .value_kind:     hidden_grid_dims
    .group_segment_fixed_size: 16384
    .kernarg_segment_align: 8
    .kernarg_segment_size: 392
    .language:       OpenCL C
    .language_version:
      - 2
      - 0
    .max_flat_workgroup_size: 1024
    .name:           _ZL30rocblas_trmm_outofplace_kernelIdLi32ELi2ELb1ELb1ELb1ELb0EdKddEv17rocblas_diagonal_iiT6_lPT7_lllS4_lllPT8_llli
    .private_segment_fixed_size: 0
    .sgpr_count:     57
    .sgpr_spill_count: 0
    .symbol:         _ZL30rocblas_trmm_outofplace_kernelIdLi32ELi2ELb1ELb1ELb1ELb0EdKddEv17rocblas_diagonal_iiT6_lPT7_lllS4_lllPT8_llli.kd
    .uniform_work_group_size: 1
    .uses_dynamic_stack: false
    .vgpr_count:     77
    .vgpr_spill_count: 0
    .wavefront_size: 32
    .workgroup_processor_mode: 1
  - .args:
      - .offset:         0
        .size:           4
        .value_kind:     by_value
      - .offset:         4
        .size:           4
        .value_kind:     by_value
      - .offset:         8
        .size:           4
        .value_kind:     by_value
      - .address_space:  global
        .offset:         16
        .size:           8
        .value_kind:     global_buffer
      - .offset:         24
        .size:           8
        .value_kind:     by_value
      - .address_space:  global
        .offset:         32
        .size:           8
        .value_kind:     global_buffer
      - .offset:         40
        .size:           8
        .value_kind:     by_value
      - .offset:         48
        .size:           8
        .value_kind:     by_value
      - .offset:         56
        .size:           8
        .value_kind:     by_value
      - .address_space:  global
        .offset:         64
        .size:           8
        .value_kind:     global_buffer
      - .offset:         72
        .size:           8
        .value_kind:     by_value
      - .offset:         80
        .size:           8
        .value_kind:     by_value
      - .offset:         88
        .size:           8
        .value_kind:     by_value
      - .address_space:  global
        .offset:         96
        .size:           8
        .value_kind:     global_buffer
      - .offset:         104
        .size:           8
        .value_kind:     by_value
      - .offset:         112
        .size:           8
        .value_kind:     by_value
      - .offset:         120
        .size:           8
        .value_kind:     by_value
      - .offset:         128
        .size:           4
        .value_kind:     by_value
      - .offset:         136
        .size:           4
        .value_kind:     hidden_block_count_x
      - .offset:         140
        .size:           4
        .value_kind:     hidden_block_count_y
      - .offset:         144
        .size:           4
        .value_kind:     hidden_block_count_z
      - .offset:         148
        .size:           2
        .value_kind:     hidden_group_size_x
      - .offset:         150
        .size:           2
        .value_kind:     hidden_group_size_y
      - .offset:         152
        .size:           2
        .value_kind:     hidden_group_size_z
      - .offset:         154
        .size:           2
        .value_kind:     hidden_remainder_x
      - .offset:         156
        .size:           2
        .value_kind:     hidden_remainder_y
      - .offset:         158
        .size:           2
        .value_kind:     hidden_remainder_z
      - .offset:         176
        .size:           8
        .value_kind:     hidden_global_offset_x
      - .offset:         184
        .size:           8
        .value_kind:     hidden_global_offset_y
      - .offset:         192
        .size:           8
        .value_kind:     hidden_global_offset_z
      - .offset:         200
        .size:           2
        .value_kind:     hidden_grid_dims
    .group_segment_fixed_size: 16384
    .kernarg_segment_align: 8
    .kernarg_segment_size: 392
    .language:       OpenCL C
    .language_version:
      - 2
      - 0
    .max_flat_workgroup_size: 1024
    .name:           _ZL30rocblas_trmm_outofplace_kernelIdLi32ELi2ELb1ELb0ELb1ELb1EPKdS0_dEv17rocblas_diagonal_iiT6_lPT7_lllS5_lllPT8_llli
    .private_segment_fixed_size: 0
    .sgpr_count:     59
    .sgpr_spill_count: 0
    .symbol:         _ZL30rocblas_trmm_outofplace_kernelIdLi32ELi2ELb1ELb0ELb1ELb1EPKdS0_dEv17rocblas_diagonal_iiT6_lPT7_lllS5_lllPT8_llli.kd
    .uniform_work_group_size: 1
    .uses_dynamic_stack: false
    .vgpr_count:     80
    .vgpr_spill_count: 0
    .wavefront_size: 32
    .workgroup_processor_mode: 1
  - .args:
      - .offset:         0
        .size:           4
        .value_kind:     by_value
      - .offset:         4
        .size:           4
        .value_kind:     by_value
      - .offset:         8
        .size:           4
        .value_kind:     by_value
      - .offset:         16
        .size:           8
        .value_kind:     by_value
      - .offset:         24
        .size:           8
        .value_kind:     by_value
      - .address_space:  global
        .offset:         32
        .size:           8
        .value_kind:     global_buffer
      - .offset:         40
        .size:           8
        .value_kind:     by_value
      - .offset:         48
        .size:           8
        .value_kind:     by_value
      - .offset:         56
        .size:           8
        .value_kind:     by_value
      - .address_space:  global
        .offset:         64
        .size:           8
        .value_kind:     global_buffer
      - .offset:         72
        .size:           8
        .value_kind:     by_value
      - .offset:         80
        .size:           8
        .value_kind:     by_value
      - .offset:         88
        .size:           8
        .value_kind:     by_value
      - .address_space:  global
        .offset:         96
        .size:           8
        .value_kind:     global_buffer
      - .offset:         104
        .size:           8
        .value_kind:     by_value
      - .offset:         112
        .size:           8
        .value_kind:     by_value
      - .offset:         120
        .size:           8
        .value_kind:     by_value
      - .offset:         128
        .size:           4
        .value_kind:     by_value
      - .offset:         136
        .size:           4
        .value_kind:     hidden_block_count_x
      - .offset:         140
        .size:           4
        .value_kind:     hidden_block_count_y
      - .offset:         144
        .size:           4
        .value_kind:     hidden_block_count_z
      - .offset:         148
        .size:           2
        .value_kind:     hidden_group_size_x
      - .offset:         150
        .size:           2
        .value_kind:     hidden_group_size_y
      - .offset:         152
        .size:           2
        .value_kind:     hidden_group_size_z
      - .offset:         154
        .size:           2
        .value_kind:     hidden_remainder_x
      - .offset:         156
        .size:           2
        .value_kind:     hidden_remainder_y
      - .offset:         158
        .size:           2
        .value_kind:     hidden_remainder_z
      - .offset:         176
        .size:           8
        .value_kind:     hidden_global_offset_x
      - .offset:         184
        .size:           8
        .value_kind:     hidden_global_offset_y
      - .offset:         192
        .size:           8
        .value_kind:     hidden_global_offset_z
      - .offset:         200
        .size:           2
        .value_kind:     hidden_grid_dims
    .group_segment_fixed_size: 16384
    .kernarg_segment_align: 8
    .kernarg_segment_size: 392
    .language:       OpenCL C
    .language_version:
      - 2
      - 0
    .max_flat_workgroup_size: 1024
    .name:           _ZL30rocblas_trmm_outofplace_kernelIdLi32ELi2ELb1ELb0ELb1ELb1EdKddEv17rocblas_diagonal_iiT6_lPT7_lllS4_lllPT8_llli
    .private_segment_fixed_size: 0
    .sgpr_count:     57
    .sgpr_spill_count: 0
    .symbol:         _ZL30rocblas_trmm_outofplace_kernelIdLi32ELi2ELb1ELb0ELb1ELb1EdKddEv17rocblas_diagonal_iiT6_lPT7_lllS4_lllPT8_llli.kd
    .uniform_work_group_size: 1
    .uses_dynamic_stack: false
    .vgpr_count:     78
    .vgpr_spill_count: 0
    .wavefront_size: 32
    .workgroup_processor_mode: 1
  - .args:
      - .offset:         0
        .size:           4
        .value_kind:     by_value
      - .offset:         4
        .size:           4
        .value_kind:     by_value
      - .offset:         8
        .size:           4
        .value_kind:     by_value
      - .address_space:  global
        .offset:         16
        .size:           8
        .value_kind:     global_buffer
      - .offset:         24
        .size:           8
        .value_kind:     by_value
      - .address_space:  global
        .offset:         32
        .size:           8
        .value_kind:     global_buffer
      - .offset:         40
        .size:           8
        .value_kind:     by_value
      - .offset:         48
        .size:           8
        .value_kind:     by_value
      - .offset:         56
        .size:           8
        .value_kind:     by_value
      - .address_space:  global
        .offset:         64
        .size:           8
        .value_kind:     global_buffer
      - .offset:         72
        .size:           8
        .value_kind:     by_value
      - .offset:         80
        .size:           8
        .value_kind:     by_value
      - .offset:         88
        .size:           8
        .value_kind:     by_value
      - .address_space:  global
        .offset:         96
        .size:           8
        .value_kind:     global_buffer
      - .offset:         104
        .size:           8
        .value_kind:     by_value
      - .offset:         112
        .size:           8
        .value_kind:     by_value
      - .offset:         120
        .size:           8
        .value_kind:     by_value
      - .offset:         128
        .size:           4
        .value_kind:     by_value
      - .offset:         136
        .size:           4
        .value_kind:     hidden_block_count_x
      - .offset:         140
        .size:           4
        .value_kind:     hidden_block_count_y
      - .offset:         144
        .size:           4
        .value_kind:     hidden_block_count_z
      - .offset:         148
        .size:           2
        .value_kind:     hidden_group_size_x
      - .offset:         150
        .size:           2
        .value_kind:     hidden_group_size_y
      - .offset:         152
        .size:           2
        .value_kind:     hidden_group_size_z
      - .offset:         154
        .size:           2
        .value_kind:     hidden_remainder_x
      - .offset:         156
        .size:           2
        .value_kind:     hidden_remainder_y
      - .offset:         158
        .size:           2
        .value_kind:     hidden_remainder_z
      - .offset:         176
        .size:           8
        .value_kind:     hidden_global_offset_x
      - .offset:         184
        .size:           8
        .value_kind:     hidden_global_offset_y
      - .offset:         192
        .size:           8
        .value_kind:     hidden_global_offset_z
      - .offset:         200
        .size:           2
        .value_kind:     hidden_grid_dims
    .group_segment_fixed_size: 16384
    .kernarg_segment_align: 8
    .kernarg_segment_size: 392
    .language:       OpenCL C
    .language_version:
      - 2
      - 0
    .max_flat_workgroup_size: 1024
    .name:           _ZL30rocblas_trmm_outofplace_kernelIdLi32ELi2ELb1ELb1ELb1ELb1EPKdS0_dEv17rocblas_diagonal_iiT6_lPT7_lllS5_lllPT8_llli
    .private_segment_fixed_size: 0
    .sgpr_count:     59
    .sgpr_spill_count: 0
    .symbol:         _ZL30rocblas_trmm_outofplace_kernelIdLi32ELi2ELb1ELb1ELb1ELb1EPKdS0_dEv17rocblas_diagonal_iiT6_lPT7_lllS5_lllPT8_llli.kd
    .uniform_work_group_size: 1
    .uses_dynamic_stack: false
    .vgpr_count:     79
    .vgpr_spill_count: 0
    .wavefront_size: 32
    .workgroup_processor_mode: 1
  - .args:
      - .offset:         0
        .size:           4
        .value_kind:     by_value
      - .offset:         4
        .size:           4
        .value_kind:     by_value
      - .offset:         8
        .size:           4
        .value_kind:     by_value
      - .offset:         16
        .size:           8
        .value_kind:     by_value
      - .offset:         24
        .size:           8
        .value_kind:     by_value
      - .address_space:  global
        .offset:         32
        .size:           8
        .value_kind:     global_buffer
      - .offset:         40
        .size:           8
        .value_kind:     by_value
      - .offset:         48
        .size:           8
        .value_kind:     by_value
      - .offset:         56
        .size:           8
        .value_kind:     by_value
      - .address_space:  global
        .offset:         64
        .size:           8
        .value_kind:     global_buffer
      - .offset:         72
        .size:           8
        .value_kind:     by_value
      - .offset:         80
        .size:           8
        .value_kind:     by_value
      - .offset:         88
        .size:           8
        .value_kind:     by_value
      - .address_space:  global
        .offset:         96
        .size:           8
        .value_kind:     global_buffer
      - .offset:         104
        .size:           8
        .value_kind:     by_value
      - .offset:         112
        .size:           8
        .value_kind:     by_value
      - .offset:         120
        .size:           8
        .value_kind:     by_value
      - .offset:         128
        .size:           4
        .value_kind:     by_value
      - .offset:         136
        .size:           4
        .value_kind:     hidden_block_count_x
      - .offset:         140
        .size:           4
        .value_kind:     hidden_block_count_y
      - .offset:         144
        .size:           4
        .value_kind:     hidden_block_count_z
      - .offset:         148
        .size:           2
        .value_kind:     hidden_group_size_x
      - .offset:         150
        .size:           2
        .value_kind:     hidden_group_size_y
      - .offset:         152
        .size:           2
        .value_kind:     hidden_group_size_z
      - .offset:         154
        .size:           2
        .value_kind:     hidden_remainder_x
      - .offset:         156
        .size:           2
        .value_kind:     hidden_remainder_y
      - .offset:         158
        .size:           2
        .value_kind:     hidden_remainder_z
      - .offset:         176
        .size:           8
        .value_kind:     hidden_global_offset_x
      - .offset:         184
        .size:           8
        .value_kind:     hidden_global_offset_y
      - .offset:         192
        .size:           8
        .value_kind:     hidden_global_offset_z
      - .offset:         200
        .size:           2
        .value_kind:     hidden_grid_dims
    .group_segment_fixed_size: 16384
    .kernarg_segment_align: 8
    .kernarg_segment_size: 392
    .language:       OpenCL C
    .language_version:
      - 2
      - 0
    .max_flat_workgroup_size: 1024
    .name:           _ZL30rocblas_trmm_outofplace_kernelIdLi32ELi2ELb1ELb1ELb1ELb1EdKddEv17rocblas_diagonal_iiT6_lPT7_lllS4_lllPT8_llli
    .private_segment_fixed_size: 0
    .sgpr_count:     57
    .sgpr_spill_count: 0
    .symbol:         _ZL30rocblas_trmm_outofplace_kernelIdLi32ELi2ELb1ELb1ELb1ELb1EdKddEv17rocblas_diagonal_iiT6_lPT7_lllS4_lllPT8_llli.kd
    .uniform_work_group_size: 1
    .uses_dynamic_stack: false
    .vgpr_count:     77
    .vgpr_spill_count: 0
    .wavefront_size: 32
    .workgroup_processor_mode: 1
  - .args:
      - .offset:         0
        .size:           4
        .value_kind:     by_value
      - .offset:         4
        .size:           4
        .value_kind:     by_value
      - .offset:         8
        .size:           4
        .value_kind:     by_value
      - .address_space:  global
        .offset:         16
        .size:           8
        .value_kind:     global_buffer
      - .offset:         24
        .size:           8
        .value_kind:     by_value
      - .address_space:  global
        .offset:         32
        .size:           8
        .value_kind:     global_buffer
      - .offset:         40
        .size:           8
        .value_kind:     by_value
      - .offset:         48
        .size:           8
        .value_kind:     by_value
      - .offset:         56
        .size:           8
        .value_kind:     by_value
      - .address_space:  global
        .offset:         64
        .size:           8
        .value_kind:     global_buffer
      - .offset:         72
        .size:           8
        .value_kind:     by_value
      - .offset:         80
        .size:           8
        .value_kind:     by_value
      - .offset:         88
        .size:           8
        .value_kind:     by_value
      - .address_space:  global
        .offset:         96
        .size:           8
        .value_kind:     global_buffer
      - .offset:         104
        .size:           8
        .value_kind:     by_value
      - .offset:         112
        .size:           8
        .value_kind:     by_value
      - .offset:         120
        .size:           8
        .value_kind:     by_value
      - .offset:         128
        .size:           4
        .value_kind:     by_value
      - .offset:         136
        .size:           4
        .value_kind:     hidden_block_count_x
      - .offset:         140
        .size:           4
        .value_kind:     hidden_block_count_y
      - .offset:         144
        .size:           4
        .value_kind:     hidden_block_count_z
      - .offset:         148
        .size:           2
        .value_kind:     hidden_group_size_x
      - .offset:         150
        .size:           2
        .value_kind:     hidden_group_size_y
      - .offset:         152
        .size:           2
        .value_kind:     hidden_group_size_z
      - .offset:         154
        .size:           2
        .value_kind:     hidden_remainder_x
      - .offset:         156
        .size:           2
        .value_kind:     hidden_remainder_y
      - .offset:         158
        .size:           2
        .value_kind:     hidden_remainder_z
      - .offset:         176
        .size:           8
        .value_kind:     hidden_global_offset_x
      - .offset:         184
        .size:           8
        .value_kind:     hidden_global_offset_y
      - .offset:         192
        .size:           8
        .value_kind:     hidden_global_offset_z
      - .offset:         200
        .size:           2
        .value_kind:     hidden_grid_dims
    .group_segment_fixed_size: 16384
    .kernarg_segment_align: 8
    .kernarg_segment_size: 392
    .language:       OpenCL C
    .language_version:
      - 2
      - 0
    .max_flat_workgroup_size: 1024
    .name:           _ZL30rocblas_trmm_outofplace_kernelIdLi32ELi2ELb0ELb0ELb0ELb0EPKdS0_dEv17rocblas_diagonal_iiT6_lPT7_lllS5_lllPT8_llli
    .private_segment_fixed_size: 0
    .sgpr_count:     65
    .sgpr_spill_count: 0
    .symbol:         _ZL30rocblas_trmm_outofplace_kernelIdLi32ELi2ELb0ELb0ELb0ELb0EPKdS0_dEv17rocblas_diagonal_iiT6_lPT7_lllS5_lllPT8_llli.kd
    .uniform_work_group_size: 1
    .uses_dynamic_stack: false
    .vgpr_count:     79
    .vgpr_spill_count: 0
    .wavefront_size: 32
    .workgroup_processor_mode: 1
  - .args:
      - .offset:         0
        .size:           4
        .value_kind:     by_value
      - .offset:         4
        .size:           4
        .value_kind:     by_value
      - .offset:         8
        .size:           4
        .value_kind:     by_value
      - .offset:         16
        .size:           8
        .value_kind:     by_value
      - .offset:         24
        .size:           8
        .value_kind:     by_value
      - .address_space:  global
        .offset:         32
        .size:           8
        .value_kind:     global_buffer
      - .offset:         40
        .size:           8
        .value_kind:     by_value
      - .offset:         48
        .size:           8
        .value_kind:     by_value
      - .offset:         56
        .size:           8
        .value_kind:     by_value
      - .address_space:  global
        .offset:         64
        .size:           8
        .value_kind:     global_buffer
      - .offset:         72
        .size:           8
        .value_kind:     by_value
      - .offset:         80
        .size:           8
        .value_kind:     by_value
      - .offset:         88
        .size:           8
        .value_kind:     by_value
      - .address_space:  global
        .offset:         96
        .size:           8
        .value_kind:     global_buffer
      - .offset:         104
        .size:           8
        .value_kind:     by_value
      - .offset:         112
        .size:           8
        .value_kind:     by_value
      - .offset:         120
        .size:           8
        .value_kind:     by_value
      - .offset:         128
        .size:           4
        .value_kind:     by_value
      - .offset:         136
        .size:           4
        .value_kind:     hidden_block_count_x
      - .offset:         140
        .size:           4
        .value_kind:     hidden_block_count_y
      - .offset:         144
        .size:           4
        .value_kind:     hidden_block_count_z
      - .offset:         148
        .size:           2
        .value_kind:     hidden_group_size_x
      - .offset:         150
        .size:           2
        .value_kind:     hidden_group_size_y
      - .offset:         152
        .size:           2
        .value_kind:     hidden_group_size_z
      - .offset:         154
        .size:           2
        .value_kind:     hidden_remainder_x
      - .offset:         156
        .size:           2
        .value_kind:     hidden_remainder_y
      - .offset:         158
        .size:           2
        .value_kind:     hidden_remainder_z
      - .offset:         176
        .size:           8
        .value_kind:     hidden_global_offset_x
      - .offset:         184
        .size:           8
        .value_kind:     hidden_global_offset_y
      - .offset:         192
        .size:           8
        .value_kind:     hidden_global_offset_z
      - .offset:         200
        .size:           2
        .value_kind:     hidden_grid_dims
    .group_segment_fixed_size: 16384
    .kernarg_segment_align: 8
    .kernarg_segment_size: 392
    .language:       OpenCL C
    .language_version:
      - 2
      - 0
    .max_flat_workgroup_size: 1024
    .name:           _ZL30rocblas_trmm_outofplace_kernelIdLi32ELi2ELb0ELb0ELb0ELb0EdKddEv17rocblas_diagonal_iiT6_lPT7_lllS4_lllPT8_llli
    .private_segment_fixed_size: 0
    .sgpr_count:     63
    .sgpr_spill_count: 0
    .symbol:         _ZL30rocblas_trmm_outofplace_kernelIdLi32ELi2ELb0ELb0ELb0ELb0EdKddEv17rocblas_diagonal_iiT6_lPT7_lllS4_lllPT8_llli.kd
    .uniform_work_group_size: 1
    .uses_dynamic_stack: false
    .vgpr_count:     77
    .vgpr_spill_count: 0
    .wavefront_size: 32
    .workgroup_processor_mode: 1
  - .args:
      - .offset:         0
        .size:           4
        .value_kind:     by_value
      - .offset:         4
        .size:           4
        .value_kind:     by_value
      - .offset:         8
        .size:           4
        .value_kind:     by_value
      - .address_space:  global
        .offset:         16
        .size:           8
        .value_kind:     global_buffer
      - .offset:         24
        .size:           8
        .value_kind:     by_value
      - .address_space:  global
        .offset:         32
        .size:           8
        .value_kind:     global_buffer
      - .offset:         40
        .size:           8
        .value_kind:     by_value
      - .offset:         48
        .size:           8
        .value_kind:     by_value
      - .offset:         56
        .size:           8
        .value_kind:     by_value
      - .address_space:  global
        .offset:         64
        .size:           8
        .value_kind:     global_buffer
      - .offset:         72
        .size:           8
        .value_kind:     by_value
      - .offset:         80
        .size:           8
        .value_kind:     by_value
      - .offset:         88
        .size:           8
        .value_kind:     by_value
      - .address_space:  global
        .offset:         96
        .size:           8
        .value_kind:     global_buffer
      - .offset:         104
        .size:           8
        .value_kind:     by_value
      - .offset:         112
        .size:           8
        .value_kind:     by_value
      - .offset:         120
        .size:           8
        .value_kind:     by_value
      - .offset:         128
        .size:           4
        .value_kind:     by_value
      - .offset:         136
        .size:           4
        .value_kind:     hidden_block_count_x
      - .offset:         140
        .size:           4
        .value_kind:     hidden_block_count_y
      - .offset:         144
        .size:           4
        .value_kind:     hidden_block_count_z
      - .offset:         148
        .size:           2
        .value_kind:     hidden_group_size_x
      - .offset:         150
        .size:           2
        .value_kind:     hidden_group_size_y
      - .offset:         152
        .size:           2
        .value_kind:     hidden_group_size_z
      - .offset:         154
        .size:           2
        .value_kind:     hidden_remainder_x
      - .offset:         156
        .size:           2
        .value_kind:     hidden_remainder_y
      - .offset:         158
        .size:           2
        .value_kind:     hidden_remainder_z
      - .offset:         176
        .size:           8
        .value_kind:     hidden_global_offset_x
      - .offset:         184
        .size:           8
        .value_kind:     hidden_global_offset_y
      - .offset:         192
        .size:           8
        .value_kind:     hidden_global_offset_z
      - .offset:         200
        .size:           2
        .value_kind:     hidden_grid_dims
    .group_segment_fixed_size: 16384
    .kernarg_segment_align: 8
    .kernarg_segment_size: 392
    .language:       OpenCL C
    .language_version:
      - 2
      - 0
    .max_flat_workgroup_size: 1024
    .name:           _ZL30rocblas_trmm_outofplace_kernelIdLi32ELi2ELb0ELb1ELb0ELb0EPKdS0_dEv17rocblas_diagonal_iiT6_lPT7_lllS5_lllPT8_llli
    .private_segment_fixed_size: 0
    .sgpr_count:     61
    .sgpr_spill_count: 0
    .symbol:         _ZL30rocblas_trmm_outofplace_kernelIdLi32ELi2ELb0ELb1ELb0ELb0EPKdS0_dEv17rocblas_diagonal_iiT6_lPT7_lllS5_lllPT8_llli.kd
    .uniform_work_group_size: 1
    .uses_dynamic_stack: false
    .vgpr_count:     78
    .vgpr_spill_count: 0
    .wavefront_size: 32
    .workgroup_processor_mode: 1
  - .args:
      - .offset:         0
        .size:           4
        .value_kind:     by_value
      - .offset:         4
        .size:           4
        .value_kind:     by_value
      - .offset:         8
        .size:           4
        .value_kind:     by_value
      - .offset:         16
        .size:           8
        .value_kind:     by_value
      - .offset:         24
        .size:           8
        .value_kind:     by_value
      - .address_space:  global
        .offset:         32
        .size:           8
        .value_kind:     global_buffer
      - .offset:         40
        .size:           8
        .value_kind:     by_value
      - .offset:         48
        .size:           8
        .value_kind:     by_value
      - .offset:         56
        .size:           8
        .value_kind:     by_value
      - .address_space:  global
        .offset:         64
        .size:           8
        .value_kind:     global_buffer
      - .offset:         72
        .size:           8
        .value_kind:     by_value
      - .offset:         80
        .size:           8
        .value_kind:     by_value
      - .offset:         88
        .size:           8
        .value_kind:     by_value
      - .address_space:  global
        .offset:         96
        .size:           8
        .value_kind:     global_buffer
      - .offset:         104
        .size:           8
        .value_kind:     by_value
      - .offset:         112
        .size:           8
        .value_kind:     by_value
      - .offset:         120
        .size:           8
        .value_kind:     by_value
      - .offset:         128
        .size:           4
        .value_kind:     by_value
      - .offset:         136
        .size:           4
        .value_kind:     hidden_block_count_x
      - .offset:         140
        .size:           4
        .value_kind:     hidden_block_count_y
      - .offset:         144
        .size:           4
        .value_kind:     hidden_block_count_z
      - .offset:         148
        .size:           2
        .value_kind:     hidden_group_size_x
      - .offset:         150
        .size:           2
        .value_kind:     hidden_group_size_y
      - .offset:         152
        .size:           2
        .value_kind:     hidden_group_size_z
      - .offset:         154
        .size:           2
        .value_kind:     hidden_remainder_x
      - .offset:         156
        .size:           2
        .value_kind:     hidden_remainder_y
      - .offset:         158
        .size:           2
        .value_kind:     hidden_remainder_z
      - .offset:         176
        .size:           8
        .value_kind:     hidden_global_offset_x
      - .offset:         184
        .size:           8
        .value_kind:     hidden_global_offset_y
      - .offset:         192
        .size:           8
        .value_kind:     hidden_global_offset_z
      - .offset:         200
        .size:           2
        .value_kind:     hidden_grid_dims
    .group_segment_fixed_size: 16384
    .kernarg_segment_align: 8
    .kernarg_segment_size: 392
    .language:       OpenCL C
    .language_version:
      - 2
      - 0
    .max_flat_workgroup_size: 1024
    .name:           _ZL30rocblas_trmm_outofplace_kernelIdLi32ELi2ELb0ELb1ELb0ELb0EdKddEv17rocblas_diagonal_iiT6_lPT7_lllS4_lllPT8_llli
    .private_segment_fixed_size: 0
    .sgpr_count:     59
    .sgpr_spill_count: 0
    .symbol:         _ZL30rocblas_trmm_outofplace_kernelIdLi32ELi2ELb0ELb1ELb0ELb0EdKddEv17rocblas_diagonal_iiT6_lPT7_lllS4_lllPT8_llli.kd
    .uniform_work_group_size: 1
    .uses_dynamic_stack: false
    .vgpr_count:     76
    .vgpr_spill_count: 0
    .wavefront_size: 32
    .workgroup_processor_mode: 1
  - .args:
      - .offset:         0
        .size:           4
        .value_kind:     by_value
      - .offset:         4
        .size:           4
        .value_kind:     by_value
      - .offset:         8
        .size:           4
        .value_kind:     by_value
      - .address_space:  global
        .offset:         16
        .size:           8
        .value_kind:     global_buffer
      - .offset:         24
        .size:           8
        .value_kind:     by_value
      - .address_space:  global
        .offset:         32
        .size:           8
        .value_kind:     global_buffer
      - .offset:         40
        .size:           8
        .value_kind:     by_value
      - .offset:         48
        .size:           8
        .value_kind:     by_value
      - .offset:         56
        .size:           8
        .value_kind:     by_value
      - .address_space:  global
        .offset:         64
        .size:           8
        .value_kind:     global_buffer
      - .offset:         72
        .size:           8
        .value_kind:     by_value
      - .offset:         80
        .size:           8
        .value_kind:     by_value
      - .offset:         88
        .size:           8
        .value_kind:     by_value
      - .address_space:  global
        .offset:         96
        .size:           8
        .value_kind:     global_buffer
      - .offset:         104
        .size:           8
        .value_kind:     by_value
      - .offset:         112
        .size:           8
        .value_kind:     by_value
      - .offset:         120
        .size:           8
        .value_kind:     by_value
      - .offset:         128
        .size:           4
        .value_kind:     by_value
      - .offset:         136
        .size:           4
        .value_kind:     hidden_block_count_x
      - .offset:         140
        .size:           4
        .value_kind:     hidden_block_count_y
      - .offset:         144
        .size:           4
        .value_kind:     hidden_block_count_z
      - .offset:         148
        .size:           2
        .value_kind:     hidden_group_size_x
      - .offset:         150
        .size:           2
        .value_kind:     hidden_group_size_y
      - .offset:         152
        .size:           2
        .value_kind:     hidden_group_size_z
      - .offset:         154
        .size:           2
        .value_kind:     hidden_remainder_x
      - .offset:         156
        .size:           2
        .value_kind:     hidden_remainder_y
      - .offset:         158
        .size:           2
        .value_kind:     hidden_remainder_z
      - .offset:         176
        .size:           8
        .value_kind:     hidden_global_offset_x
      - .offset:         184
        .size:           8
        .value_kind:     hidden_global_offset_y
      - .offset:         192
        .size:           8
        .value_kind:     hidden_global_offset_z
      - .offset:         200
        .size:           2
        .value_kind:     hidden_grid_dims
    .group_segment_fixed_size: 16384
    .kernarg_segment_align: 8
    .kernarg_segment_size: 392
    .language:       OpenCL C
    .language_version:
      - 2
      - 0
    .max_flat_workgroup_size: 1024
    .name:           _ZL30rocblas_trmm_outofplace_kernelIdLi32ELi2ELb0ELb0ELb1ELb0EPKdS0_dEv17rocblas_diagonal_iiT6_lPT7_lllS5_lllPT8_llli
    .private_segment_fixed_size: 0
    .sgpr_count:     55
    .sgpr_spill_count: 0
    .symbol:         _ZL30rocblas_trmm_outofplace_kernelIdLi32ELi2ELb0ELb0ELb1ELb0EPKdS0_dEv17rocblas_diagonal_iiT6_lPT7_lllS5_lllPT8_llli.kd
    .uniform_work_group_size: 1
    .uses_dynamic_stack: false
    .vgpr_count:     87
    .vgpr_spill_count: 0
    .wavefront_size: 32
    .workgroup_processor_mode: 1
  - .args:
      - .offset:         0
        .size:           4
        .value_kind:     by_value
      - .offset:         4
        .size:           4
        .value_kind:     by_value
      - .offset:         8
        .size:           4
        .value_kind:     by_value
      - .offset:         16
        .size:           8
        .value_kind:     by_value
      - .offset:         24
        .size:           8
        .value_kind:     by_value
      - .address_space:  global
        .offset:         32
        .size:           8
        .value_kind:     global_buffer
      - .offset:         40
        .size:           8
        .value_kind:     by_value
      - .offset:         48
        .size:           8
        .value_kind:     by_value
      - .offset:         56
        .size:           8
        .value_kind:     by_value
      - .address_space:  global
        .offset:         64
        .size:           8
        .value_kind:     global_buffer
      - .offset:         72
        .size:           8
        .value_kind:     by_value
      - .offset:         80
        .size:           8
        .value_kind:     by_value
      - .offset:         88
        .size:           8
        .value_kind:     by_value
      - .address_space:  global
        .offset:         96
        .size:           8
        .value_kind:     global_buffer
      - .offset:         104
        .size:           8
        .value_kind:     by_value
      - .offset:         112
        .size:           8
        .value_kind:     by_value
      - .offset:         120
        .size:           8
        .value_kind:     by_value
      - .offset:         128
        .size:           4
        .value_kind:     by_value
      - .offset:         136
        .size:           4
        .value_kind:     hidden_block_count_x
      - .offset:         140
        .size:           4
        .value_kind:     hidden_block_count_y
      - .offset:         144
        .size:           4
        .value_kind:     hidden_block_count_z
      - .offset:         148
        .size:           2
        .value_kind:     hidden_group_size_x
      - .offset:         150
        .size:           2
        .value_kind:     hidden_group_size_y
      - .offset:         152
        .size:           2
        .value_kind:     hidden_group_size_z
      - .offset:         154
        .size:           2
        .value_kind:     hidden_remainder_x
      - .offset:         156
        .size:           2
        .value_kind:     hidden_remainder_y
      - .offset:         158
        .size:           2
        .value_kind:     hidden_remainder_z
      - .offset:         176
        .size:           8
        .value_kind:     hidden_global_offset_x
      - .offset:         184
        .size:           8
        .value_kind:     hidden_global_offset_y
      - .offset:         192
        .size:           8
        .value_kind:     hidden_global_offset_z
      - .offset:         200
        .size:           2
        .value_kind:     hidden_grid_dims
    .group_segment_fixed_size: 16384
    .kernarg_segment_align: 8
    .kernarg_segment_size: 392
    .language:       OpenCL C
    .language_version:
      - 2
      - 0
    .max_flat_workgroup_size: 1024
    .name:           _ZL30rocblas_trmm_outofplace_kernelIdLi32ELi2ELb0ELb0ELb1ELb0EdKddEv17rocblas_diagonal_iiT6_lPT7_lllS4_lllPT8_llli
    .private_segment_fixed_size: 0
    .sgpr_count:     53
    .sgpr_spill_count: 0
    .symbol:         _ZL30rocblas_trmm_outofplace_kernelIdLi32ELi2ELb0ELb0ELb1ELb0EdKddEv17rocblas_diagonal_iiT6_lPT7_lllS4_lllPT8_llli.kd
    .uniform_work_group_size: 1
    .uses_dynamic_stack: false
    .vgpr_count:     85
    .vgpr_spill_count: 0
    .wavefront_size: 32
    .workgroup_processor_mode: 1
  - .args:
      - .offset:         0
        .size:           4
        .value_kind:     by_value
      - .offset:         4
        .size:           4
        .value_kind:     by_value
      - .offset:         8
        .size:           4
        .value_kind:     by_value
      - .address_space:  global
        .offset:         16
        .size:           8
        .value_kind:     global_buffer
      - .offset:         24
        .size:           8
        .value_kind:     by_value
      - .address_space:  global
        .offset:         32
        .size:           8
        .value_kind:     global_buffer
      - .offset:         40
        .size:           8
        .value_kind:     by_value
      - .offset:         48
        .size:           8
        .value_kind:     by_value
      - .offset:         56
        .size:           8
        .value_kind:     by_value
      - .address_space:  global
        .offset:         64
        .size:           8
        .value_kind:     global_buffer
      - .offset:         72
        .size:           8
        .value_kind:     by_value
      - .offset:         80
        .size:           8
        .value_kind:     by_value
      - .offset:         88
        .size:           8
        .value_kind:     by_value
      - .address_space:  global
        .offset:         96
        .size:           8
        .value_kind:     global_buffer
      - .offset:         104
        .size:           8
        .value_kind:     by_value
      - .offset:         112
        .size:           8
        .value_kind:     by_value
      - .offset:         120
        .size:           8
        .value_kind:     by_value
      - .offset:         128
        .size:           4
        .value_kind:     by_value
      - .offset:         136
        .size:           4
        .value_kind:     hidden_block_count_x
      - .offset:         140
        .size:           4
        .value_kind:     hidden_block_count_y
      - .offset:         144
        .size:           4
        .value_kind:     hidden_block_count_z
      - .offset:         148
        .size:           2
        .value_kind:     hidden_group_size_x
      - .offset:         150
        .size:           2
        .value_kind:     hidden_group_size_y
      - .offset:         152
        .size:           2
        .value_kind:     hidden_group_size_z
      - .offset:         154
        .size:           2
        .value_kind:     hidden_remainder_x
      - .offset:         156
        .size:           2
        .value_kind:     hidden_remainder_y
      - .offset:         158
        .size:           2
        .value_kind:     hidden_remainder_z
      - .offset:         176
        .size:           8
        .value_kind:     hidden_global_offset_x
      - .offset:         184
        .size:           8
        .value_kind:     hidden_global_offset_y
      - .offset:         192
        .size:           8
        .value_kind:     hidden_global_offset_z
      - .offset:         200
        .size:           2
        .value_kind:     hidden_grid_dims
    .group_segment_fixed_size: 16384
    .kernarg_segment_align: 8
    .kernarg_segment_size: 392
    .language:       OpenCL C
    .language_version:
      - 2
      - 0
    .max_flat_workgroup_size: 1024
    .name:           _ZL30rocblas_trmm_outofplace_kernelIdLi32ELi2ELb0ELb1ELb1ELb0EPKdS0_dEv17rocblas_diagonal_iiT6_lPT7_lllS5_lllPT8_llli
    .private_segment_fixed_size: 0
    .sgpr_count:     67
    .sgpr_spill_count: 0
    .symbol:         _ZL30rocblas_trmm_outofplace_kernelIdLi32ELi2ELb0ELb1ELb1ELb0EPKdS0_dEv17rocblas_diagonal_iiT6_lPT7_lllS5_lllPT8_llli.kd
    .uniform_work_group_size: 1
    .uses_dynamic_stack: false
    .vgpr_count:     79
    .vgpr_spill_count: 0
    .wavefront_size: 32
    .workgroup_processor_mode: 1
  - .args:
      - .offset:         0
        .size:           4
        .value_kind:     by_value
      - .offset:         4
        .size:           4
        .value_kind:     by_value
      - .offset:         8
        .size:           4
        .value_kind:     by_value
      - .offset:         16
        .size:           8
        .value_kind:     by_value
      - .offset:         24
        .size:           8
        .value_kind:     by_value
      - .address_space:  global
        .offset:         32
        .size:           8
        .value_kind:     global_buffer
      - .offset:         40
        .size:           8
        .value_kind:     by_value
      - .offset:         48
        .size:           8
        .value_kind:     by_value
      - .offset:         56
        .size:           8
        .value_kind:     by_value
      - .address_space:  global
        .offset:         64
        .size:           8
        .value_kind:     global_buffer
      - .offset:         72
        .size:           8
        .value_kind:     by_value
      - .offset:         80
        .size:           8
        .value_kind:     by_value
      - .offset:         88
        .size:           8
        .value_kind:     by_value
      - .address_space:  global
        .offset:         96
        .size:           8
        .value_kind:     global_buffer
      - .offset:         104
        .size:           8
        .value_kind:     by_value
      - .offset:         112
        .size:           8
        .value_kind:     by_value
      - .offset:         120
        .size:           8
        .value_kind:     by_value
      - .offset:         128
        .size:           4
        .value_kind:     by_value
      - .offset:         136
        .size:           4
        .value_kind:     hidden_block_count_x
      - .offset:         140
        .size:           4
        .value_kind:     hidden_block_count_y
      - .offset:         144
        .size:           4
        .value_kind:     hidden_block_count_z
      - .offset:         148
        .size:           2
        .value_kind:     hidden_group_size_x
      - .offset:         150
        .size:           2
        .value_kind:     hidden_group_size_y
      - .offset:         152
        .size:           2
        .value_kind:     hidden_group_size_z
      - .offset:         154
        .size:           2
        .value_kind:     hidden_remainder_x
      - .offset:         156
        .size:           2
        .value_kind:     hidden_remainder_y
      - .offset:         158
        .size:           2
        .value_kind:     hidden_remainder_z
      - .offset:         176
        .size:           8
        .value_kind:     hidden_global_offset_x
      - .offset:         184
        .size:           8
        .value_kind:     hidden_global_offset_y
      - .offset:         192
        .size:           8
        .value_kind:     hidden_global_offset_z
      - .offset:         200
        .size:           2
        .value_kind:     hidden_grid_dims
    .group_segment_fixed_size: 16384
    .kernarg_segment_align: 8
    .kernarg_segment_size: 392
    .language:       OpenCL C
    .language_version:
      - 2
      - 0
    .max_flat_workgroup_size: 1024
    .name:           _ZL30rocblas_trmm_outofplace_kernelIdLi32ELi2ELb0ELb1ELb1ELb0EdKddEv17rocblas_diagonal_iiT6_lPT7_lllS4_lllPT8_llli
    .private_segment_fixed_size: 0
    .sgpr_count:     65
    .sgpr_spill_count: 0
    .symbol:         _ZL30rocblas_trmm_outofplace_kernelIdLi32ELi2ELb0ELb1ELb1ELb0EdKddEv17rocblas_diagonal_iiT6_lPT7_lllS4_lllPT8_llli.kd
    .uniform_work_group_size: 1
    .uses_dynamic_stack: false
    .vgpr_count:     77
    .vgpr_spill_count: 0
    .wavefront_size: 32
    .workgroup_processor_mode: 1
  - .args:
      - .offset:         0
        .size:           4
        .value_kind:     by_value
      - .offset:         4
        .size:           4
        .value_kind:     by_value
      - .offset:         8
        .size:           4
        .value_kind:     by_value
      - .address_space:  global
        .offset:         16
        .size:           8
        .value_kind:     global_buffer
      - .offset:         24
        .size:           8
        .value_kind:     by_value
      - .address_space:  global
        .offset:         32
        .size:           8
        .value_kind:     global_buffer
      - .offset:         40
        .size:           8
        .value_kind:     by_value
      - .offset:         48
        .size:           8
        .value_kind:     by_value
      - .offset:         56
        .size:           8
        .value_kind:     by_value
      - .address_space:  global
        .offset:         64
        .size:           8
        .value_kind:     global_buffer
      - .offset:         72
        .size:           8
        .value_kind:     by_value
      - .offset:         80
        .size:           8
        .value_kind:     by_value
      - .offset:         88
        .size:           8
        .value_kind:     by_value
      - .address_space:  global
        .offset:         96
        .size:           8
        .value_kind:     global_buffer
      - .offset:         104
        .size:           8
        .value_kind:     by_value
      - .offset:         112
        .size:           8
        .value_kind:     by_value
      - .offset:         120
        .size:           8
        .value_kind:     by_value
      - .offset:         128
        .size:           4
        .value_kind:     by_value
      - .offset:         136
        .size:           4
        .value_kind:     hidden_block_count_x
      - .offset:         140
        .size:           4
        .value_kind:     hidden_block_count_y
      - .offset:         144
        .size:           4
        .value_kind:     hidden_block_count_z
      - .offset:         148
        .size:           2
        .value_kind:     hidden_group_size_x
      - .offset:         150
        .size:           2
        .value_kind:     hidden_group_size_y
      - .offset:         152
        .size:           2
        .value_kind:     hidden_group_size_z
      - .offset:         154
        .size:           2
        .value_kind:     hidden_remainder_x
      - .offset:         156
        .size:           2
        .value_kind:     hidden_remainder_y
      - .offset:         158
        .size:           2
        .value_kind:     hidden_remainder_z
      - .offset:         176
        .size:           8
        .value_kind:     hidden_global_offset_x
      - .offset:         184
        .size:           8
        .value_kind:     hidden_global_offset_y
      - .offset:         192
        .size:           8
        .value_kind:     hidden_global_offset_z
      - .offset:         200
        .size:           2
        .value_kind:     hidden_grid_dims
    .group_segment_fixed_size: 16384
    .kernarg_segment_align: 8
    .kernarg_segment_size: 392
    .language:       OpenCL C
    .language_version:
      - 2
      - 0
    .max_flat_workgroup_size: 1024
    .name:           _ZL30rocblas_trmm_outofplace_kernelIdLi32ELi2ELb0ELb0ELb1ELb1EPKdS0_dEv17rocblas_diagonal_iiT6_lPT7_lllS5_lllPT8_llli
    .private_segment_fixed_size: 0
    .sgpr_count:     55
    .sgpr_spill_count: 0
    .symbol:         _ZL30rocblas_trmm_outofplace_kernelIdLi32ELi2ELb0ELb0ELb1ELb1EPKdS0_dEv17rocblas_diagonal_iiT6_lPT7_lllS5_lllPT8_llli.kd
    .uniform_work_group_size: 1
    .uses_dynamic_stack: false
    .vgpr_count:     87
    .vgpr_spill_count: 0
    .wavefront_size: 32
    .workgroup_processor_mode: 1
  - .args:
      - .offset:         0
        .size:           4
        .value_kind:     by_value
      - .offset:         4
        .size:           4
        .value_kind:     by_value
      - .offset:         8
        .size:           4
        .value_kind:     by_value
      - .offset:         16
        .size:           8
        .value_kind:     by_value
      - .offset:         24
        .size:           8
        .value_kind:     by_value
      - .address_space:  global
        .offset:         32
        .size:           8
        .value_kind:     global_buffer
      - .offset:         40
        .size:           8
        .value_kind:     by_value
      - .offset:         48
        .size:           8
        .value_kind:     by_value
      - .offset:         56
        .size:           8
        .value_kind:     by_value
      - .address_space:  global
        .offset:         64
        .size:           8
        .value_kind:     global_buffer
      - .offset:         72
        .size:           8
        .value_kind:     by_value
      - .offset:         80
        .size:           8
        .value_kind:     by_value
      - .offset:         88
        .size:           8
        .value_kind:     by_value
      - .address_space:  global
        .offset:         96
        .size:           8
        .value_kind:     global_buffer
      - .offset:         104
        .size:           8
        .value_kind:     by_value
      - .offset:         112
        .size:           8
        .value_kind:     by_value
      - .offset:         120
        .size:           8
        .value_kind:     by_value
      - .offset:         128
        .size:           4
        .value_kind:     by_value
      - .offset:         136
        .size:           4
        .value_kind:     hidden_block_count_x
      - .offset:         140
        .size:           4
        .value_kind:     hidden_block_count_y
      - .offset:         144
        .size:           4
        .value_kind:     hidden_block_count_z
      - .offset:         148
        .size:           2
        .value_kind:     hidden_group_size_x
      - .offset:         150
        .size:           2
        .value_kind:     hidden_group_size_y
      - .offset:         152
        .size:           2
        .value_kind:     hidden_group_size_z
      - .offset:         154
        .size:           2
        .value_kind:     hidden_remainder_x
      - .offset:         156
        .size:           2
        .value_kind:     hidden_remainder_y
      - .offset:         158
        .size:           2
        .value_kind:     hidden_remainder_z
      - .offset:         176
        .size:           8
        .value_kind:     hidden_global_offset_x
      - .offset:         184
        .size:           8
        .value_kind:     hidden_global_offset_y
      - .offset:         192
        .size:           8
        .value_kind:     hidden_global_offset_z
      - .offset:         200
        .size:           2
        .value_kind:     hidden_grid_dims
    .group_segment_fixed_size: 16384
    .kernarg_segment_align: 8
    .kernarg_segment_size: 392
    .language:       OpenCL C
    .language_version:
      - 2
      - 0
    .max_flat_workgroup_size: 1024
    .name:           _ZL30rocblas_trmm_outofplace_kernelIdLi32ELi2ELb0ELb0ELb1ELb1EdKddEv17rocblas_diagonal_iiT6_lPT7_lllS4_lllPT8_llli
    .private_segment_fixed_size: 0
    .sgpr_count:     53
    .sgpr_spill_count: 0
    .symbol:         _ZL30rocblas_trmm_outofplace_kernelIdLi32ELi2ELb0ELb0ELb1ELb1EdKddEv17rocblas_diagonal_iiT6_lPT7_lllS4_lllPT8_llli.kd
    .uniform_work_group_size: 1
    .uses_dynamic_stack: false
    .vgpr_count:     85
    .vgpr_spill_count: 0
    .wavefront_size: 32
    .workgroup_processor_mode: 1
  - .args:
      - .offset:         0
        .size:           4
        .value_kind:     by_value
      - .offset:         4
        .size:           4
        .value_kind:     by_value
      - .offset:         8
        .size:           4
        .value_kind:     by_value
      - .address_space:  global
        .offset:         16
        .size:           8
        .value_kind:     global_buffer
      - .offset:         24
        .size:           8
        .value_kind:     by_value
      - .address_space:  global
        .offset:         32
        .size:           8
        .value_kind:     global_buffer
      - .offset:         40
        .size:           8
        .value_kind:     by_value
      - .offset:         48
        .size:           8
        .value_kind:     by_value
      - .offset:         56
        .size:           8
        .value_kind:     by_value
      - .address_space:  global
        .offset:         64
        .size:           8
        .value_kind:     global_buffer
      - .offset:         72
        .size:           8
        .value_kind:     by_value
      - .offset:         80
        .size:           8
        .value_kind:     by_value
      - .offset:         88
        .size:           8
        .value_kind:     by_value
      - .address_space:  global
        .offset:         96
        .size:           8
        .value_kind:     global_buffer
      - .offset:         104
        .size:           8
        .value_kind:     by_value
      - .offset:         112
        .size:           8
        .value_kind:     by_value
      - .offset:         120
        .size:           8
        .value_kind:     by_value
      - .offset:         128
        .size:           4
        .value_kind:     by_value
      - .offset:         136
        .size:           4
        .value_kind:     hidden_block_count_x
      - .offset:         140
        .size:           4
        .value_kind:     hidden_block_count_y
      - .offset:         144
        .size:           4
        .value_kind:     hidden_block_count_z
      - .offset:         148
        .size:           2
        .value_kind:     hidden_group_size_x
      - .offset:         150
        .size:           2
        .value_kind:     hidden_group_size_y
      - .offset:         152
        .size:           2
        .value_kind:     hidden_group_size_z
      - .offset:         154
        .size:           2
        .value_kind:     hidden_remainder_x
      - .offset:         156
        .size:           2
        .value_kind:     hidden_remainder_y
      - .offset:         158
        .size:           2
        .value_kind:     hidden_remainder_z
      - .offset:         176
        .size:           8
        .value_kind:     hidden_global_offset_x
      - .offset:         184
        .size:           8
        .value_kind:     hidden_global_offset_y
      - .offset:         192
        .size:           8
        .value_kind:     hidden_global_offset_z
      - .offset:         200
        .size:           2
        .value_kind:     hidden_grid_dims
    .group_segment_fixed_size: 16384
    .kernarg_segment_align: 8
    .kernarg_segment_size: 392
    .language:       OpenCL C
    .language_version:
      - 2
      - 0
    .max_flat_workgroup_size: 1024
    .name:           _ZL30rocblas_trmm_outofplace_kernelIdLi32ELi2ELb0ELb1ELb1ELb1EPKdS0_dEv17rocblas_diagonal_iiT6_lPT7_lllS5_lllPT8_llli
    .private_segment_fixed_size: 0
    .sgpr_count:     67
    .sgpr_spill_count: 0
    .symbol:         _ZL30rocblas_trmm_outofplace_kernelIdLi32ELi2ELb0ELb1ELb1ELb1EPKdS0_dEv17rocblas_diagonal_iiT6_lPT7_lllS5_lllPT8_llli.kd
    .uniform_work_group_size: 1
    .uses_dynamic_stack: false
    .vgpr_count:     79
    .vgpr_spill_count: 0
    .wavefront_size: 32
    .workgroup_processor_mode: 1
  - .args:
      - .offset:         0
        .size:           4
        .value_kind:     by_value
      - .offset:         4
        .size:           4
        .value_kind:     by_value
      - .offset:         8
        .size:           4
        .value_kind:     by_value
      - .offset:         16
        .size:           8
        .value_kind:     by_value
      - .offset:         24
        .size:           8
        .value_kind:     by_value
      - .address_space:  global
        .offset:         32
        .size:           8
        .value_kind:     global_buffer
      - .offset:         40
        .size:           8
        .value_kind:     by_value
      - .offset:         48
        .size:           8
        .value_kind:     by_value
      - .offset:         56
        .size:           8
        .value_kind:     by_value
      - .address_space:  global
        .offset:         64
        .size:           8
        .value_kind:     global_buffer
      - .offset:         72
        .size:           8
        .value_kind:     by_value
      - .offset:         80
        .size:           8
        .value_kind:     by_value
      - .offset:         88
        .size:           8
        .value_kind:     by_value
      - .address_space:  global
        .offset:         96
        .size:           8
        .value_kind:     global_buffer
      - .offset:         104
        .size:           8
        .value_kind:     by_value
      - .offset:         112
        .size:           8
        .value_kind:     by_value
      - .offset:         120
        .size:           8
        .value_kind:     by_value
      - .offset:         128
        .size:           4
        .value_kind:     by_value
      - .offset:         136
        .size:           4
        .value_kind:     hidden_block_count_x
      - .offset:         140
        .size:           4
        .value_kind:     hidden_block_count_y
      - .offset:         144
        .size:           4
        .value_kind:     hidden_block_count_z
      - .offset:         148
        .size:           2
        .value_kind:     hidden_group_size_x
      - .offset:         150
        .size:           2
        .value_kind:     hidden_group_size_y
      - .offset:         152
        .size:           2
        .value_kind:     hidden_group_size_z
      - .offset:         154
        .size:           2
        .value_kind:     hidden_remainder_x
      - .offset:         156
        .size:           2
        .value_kind:     hidden_remainder_y
      - .offset:         158
        .size:           2
        .value_kind:     hidden_remainder_z
      - .offset:         176
        .size:           8
        .value_kind:     hidden_global_offset_x
      - .offset:         184
        .size:           8
        .value_kind:     hidden_global_offset_y
      - .offset:         192
        .size:           8
        .value_kind:     hidden_global_offset_z
      - .offset:         200
        .size:           2
        .value_kind:     hidden_grid_dims
    .group_segment_fixed_size: 16384
    .kernarg_segment_align: 8
    .kernarg_segment_size: 392
    .language:       OpenCL C
    .language_version:
      - 2
      - 0
    .max_flat_workgroup_size: 1024
    .name:           _ZL30rocblas_trmm_outofplace_kernelIdLi32ELi2ELb0ELb1ELb1ELb1EdKddEv17rocblas_diagonal_iiT6_lPT7_lllS4_lllPT8_llli
    .private_segment_fixed_size: 0
    .sgpr_count:     65
    .sgpr_spill_count: 0
    .symbol:         _ZL30rocblas_trmm_outofplace_kernelIdLi32ELi2ELb0ELb1ELb1ELb1EdKddEv17rocblas_diagonal_iiT6_lPT7_lllS4_lllPT8_llli.kd
    .uniform_work_group_size: 1
    .uses_dynamic_stack: false
    .vgpr_count:     77
    .vgpr_spill_count: 0
    .wavefront_size: 32
    .workgroup_processor_mode: 1
  - .args:
      - .offset:         0
        .size:           4
        .value_kind:     by_value
      - .offset:         4
        .size:           4
        .value_kind:     by_value
      - .offset:         8
        .size:           4
        .value_kind:     by_value
      - .offset:         12
        .size:           4
        .value_kind:     by_value
      - .address_space:  global
        .offset:         16
        .size:           8
        .value_kind:     global_buffer
      - .offset:         24
        .size:           8
        .value_kind:     by_value
      - .address_space:  global
        .offset:         32
        .size:           8
        .value_kind:     global_buffer
      - .offset:         40
        .size:           8
        .value_kind:     by_value
      - .offset:         48
        .size:           8
        .value_kind:     by_value
      - .address_space:  global
        .offset:         56
        .size:           8
        .value_kind:     global_buffer
      - .offset:         64
        .size:           8
        .value_kind:     by_value
      - .offset:         72
        .size:           8
        .value_kind:     by_value
      - .address_space:  global
        .offset:         80
        .size:           8
        .value_kind:     global_buffer
      - .offset:         88
        .size:           8
        .value_kind:     by_value
      - .offset:         96
        .size:           8
        .value_kind:     by_value
      - .offset:         104
        .size:           4
        .value_kind:     by_value
    .group_segment_fixed_size: 16384
    .kernarg_segment_align: 8
    .kernarg_segment_size: 108
    .language:       OpenCL C
    .language_version:
      - 2
      - 0
    .max_flat_workgroup_size: 1024
    .name:           _ZL23rocblas_trmm_lNx_kernelILi32EdPKdS0_dEv13rocblas_fill_17rocblas_diagonal_iiT1_lPT2_llS6_llPT3_lli
    .private_segment_fixed_size: 0
    .sgpr_count:     33
    .sgpr_spill_count: 0
    .symbol:         _ZL23rocblas_trmm_lNx_kernelILi32EdPKdS0_dEv13rocblas_fill_17rocblas_diagonal_iiT1_lPT2_llS6_llPT3_lli.kd
    .uniform_work_group_size: 1
    .uses_dynamic_stack: false
    .vgpr_count:     31
    .vgpr_spill_count: 0
    .wavefront_size: 32
    .workgroup_processor_mode: 1
  - .args:
      - .offset:         0
        .size:           4
        .value_kind:     by_value
      - .offset:         4
        .size:           4
        .value_kind:     by_value
      - .offset:         8
        .size:           4
        .value_kind:     by_value
      - .offset:         12
        .size:           4
        .value_kind:     by_value
      - .offset:         16
        .size:           8
        .value_kind:     by_value
      - .offset:         24
        .size:           8
        .value_kind:     by_value
      - .address_space:  global
        .offset:         32
        .size:           8
        .value_kind:     global_buffer
      - .offset:         40
        .size:           8
        .value_kind:     by_value
      - .offset:         48
        .size:           8
        .value_kind:     by_value
      - .address_space:  global
        .offset:         56
        .size:           8
        .value_kind:     global_buffer
      - .offset:         64
        .size:           8
        .value_kind:     by_value
      - .offset:         72
        .size:           8
        .value_kind:     by_value
      - .address_space:  global
        .offset:         80
        .size:           8
        .value_kind:     global_buffer
      - .offset:         88
        .size:           8
        .value_kind:     by_value
      - .offset:         96
        .size:           8
        .value_kind:     by_value
      - .offset:         104
        .size:           4
        .value_kind:     by_value
    .group_segment_fixed_size: 16384
    .kernarg_segment_align: 8
    .kernarg_segment_size: 108
    .language:       OpenCL C
    .language_version:
      - 2
      - 0
    .max_flat_workgroup_size: 1024
    .name:           _ZL23rocblas_trmm_lNx_kernelILi32EddKddEv13rocblas_fill_17rocblas_diagonal_iiT1_lPT2_llS5_llPT3_lli
    .private_segment_fixed_size: 0
    .sgpr_count:     31
    .sgpr_spill_count: 0
    .symbol:         _ZL23rocblas_trmm_lNx_kernelILi32EddKddEv13rocblas_fill_17rocblas_diagonal_iiT1_lPT2_llS5_llPT3_lli.kd
    .uniform_work_group_size: 1
    .uses_dynamic_stack: false
    .vgpr_count:     29
    .vgpr_spill_count: 0
    .wavefront_size: 32
    .workgroup_processor_mode: 1
  - .args:
      - .offset:         0
        .size:           4
        .value_kind:     by_value
      - .offset:         4
        .size:           4
        .value_kind:     by_value
      - .offset:         8
        .size:           4
        .value_kind:     by_value
      - .offset:         12
        .size:           4
        .value_kind:     by_value
      - .address_space:  global
        .offset:         16
        .size:           8
        .value_kind:     global_buffer
      - .offset:         24
        .size:           8
        .value_kind:     by_value
      - .address_space:  global
        .offset:         32
        .size:           8
        .value_kind:     global_buffer
      - .offset:         40
        .size:           8
        .value_kind:     by_value
      - .offset:         48
        .size:           8
        .value_kind:     by_value
      - .address_space:  global
        .offset:         56
        .size:           8
        .value_kind:     global_buffer
      - .offset:         64
        .size:           8
        .value_kind:     by_value
      - .offset:         72
        .size:           8
        .value_kind:     by_value
      - .address_space:  global
        .offset:         80
        .size:           8
        .value_kind:     global_buffer
      - .offset:         88
        .size:           8
        .value_kind:     by_value
      - .offset:         96
        .size:           8
        .value_kind:     by_value
      - .offset:         104
        .size:           4
        .value_kind:     by_value
    .group_segment_fixed_size: 16384
    .kernarg_segment_align: 8
    .kernarg_segment_size: 108
    .language:       OpenCL C
    .language_version:
      - 2
      - 0
    .max_flat_workgroup_size: 1024
    .name:           _ZL23rocblas_trmm_lTx_kernelILi32ELb0EdPKdS0_dEv13rocblas_fill_17rocblas_diagonal_iiT2_lPT3_llS6_llPT4_lli
    .private_segment_fixed_size: 0
    .sgpr_count:     33
    .sgpr_spill_count: 0
    .symbol:         _ZL23rocblas_trmm_lTx_kernelILi32ELb0EdPKdS0_dEv13rocblas_fill_17rocblas_diagonal_iiT2_lPT3_llS6_llPT4_lli.kd
    .uniform_work_group_size: 1
    .uses_dynamic_stack: false
    .vgpr_count:     32
    .vgpr_spill_count: 0
    .wavefront_size: 32
    .workgroup_processor_mode: 1
  - .args:
      - .offset:         0
        .size:           4
        .value_kind:     by_value
      - .offset:         4
        .size:           4
        .value_kind:     by_value
      - .offset:         8
        .size:           4
        .value_kind:     by_value
      - .offset:         12
        .size:           4
        .value_kind:     by_value
      - .offset:         16
        .size:           8
        .value_kind:     by_value
      - .offset:         24
        .size:           8
        .value_kind:     by_value
      - .address_space:  global
        .offset:         32
        .size:           8
        .value_kind:     global_buffer
      - .offset:         40
        .size:           8
        .value_kind:     by_value
      - .offset:         48
        .size:           8
        .value_kind:     by_value
      - .address_space:  global
        .offset:         56
        .size:           8
        .value_kind:     global_buffer
      - .offset:         64
        .size:           8
        .value_kind:     by_value
      - .offset:         72
        .size:           8
        .value_kind:     by_value
      - .address_space:  global
        .offset:         80
        .size:           8
        .value_kind:     global_buffer
      - .offset:         88
        .size:           8
        .value_kind:     by_value
      - .offset:         96
        .size:           8
        .value_kind:     by_value
      - .offset:         104
        .size:           4
        .value_kind:     by_value
    .group_segment_fixed_size: 16384
    .kernarg_segment_align: 8
    .kernarg_segment_size: 108
    .language:       OpenCL C
    .language_version:
      - 2
      - 0
    .max_flat_workgroup_size: 1024
    .name:           _ZL23rocblas_trmm_lTx_kernelILi32ELb0EddKddEv13rocblas_fill_17rocblas_diagonal_iiT2_lPT3_llS5_llPT4_lli
    .private_segment_fixed_size: 0
    .sgpr_count:     31
    .sgpr_spill_count: 0
    .symbol:         _ZL23rocblas_trmm_lTx_kernelILi32ELb0EddKddEv13rocblas_fill_17rocblas_diagonal_iiT2_lPT3_llS5_llPT4_lli.kd
    .uniform_work_group_size: 1
    .uses_dynamic_stack: false
    .vgpr_count:     30
    .vgpr_spill_count: 0
    .wavefront_size: 32
    .workgroup_processor_mode: 1
  - .args:
      - .offset:         0
        .size:           4
        .value_kind:     by_value
      - .offset:         4
        .size:           4
        .value_kind:     by_value
      - .offset:         8
        .size:           4
        .value_kind:     by_value
      - .offset:         12
        .size:           4
        .value_kind:     by_value
      - .address_space:  global
        .offset:         16
        .size:           8
        .value_kind:     global_buffer
      - .offset:         24
        .size:           8
        .value_kind:     by_value
      - .address_space:  global
        .offset:         32
        .size:           8
        .value_kind:     global_buffer
      - .offset:         40
        .size:           8
        .value_kind:     by_value
      - .offset:         48
        .size:           8
        .value_kind:     by_value
      - .address_space:  global
        .offset:         56
        .size:           8
        .value_kind:     global_buffer
      - .offset:         64
        .size:           8
        .value_kind:     by_value
      - .offset:         72
        .size:           8
        .value_kind:     by_value
      - .address_space:  global
        .offset:         80
        .size:           8
        .value_kind:     global_buffer
      - .offset:         88
        .size:           8
        .value_kind:     by_value
      - .offset:         96
        .size:           8
        .value_kind:     by_value
      - .offset:         104
        .size:           4
        .value_kind:     by_value
    .group_segment_fixed_size: 16384
    .kernarg_segment_align: 8
    .kernarg_segment_size: 108
    .language:       OpenCL C
    .language_version:
      - 2
      - 0
    .max_flat_workgroup_size: 1024
    .name:           _ZL23rocblas_trmm_lTx_kernelILi32ELb1EdPKdS0_dEv13rocblas_fill_17rocblas_diagonal_iiT2_lPT3_llS6_llPT4_lli
    .private_segment_fixed_size: 0
    .sgpr_count:     33
    .sgpr_spill_count: 0
    .symbol:         _ZL23rocblas_trmm_lTx_kernelILi32ELb1EdPKdS0_dEv13rocblas_fill_17rocblas_diagonal_iiT2_lPT3_llS6_llPT4_lli.kd
    .uniform_work_group_size: 1
    .uses_dynamic_stack: false
    .vgpr_count:     32
    .vgpr_spill_count: 0
    .wavefront_size: 32
    .workgroup_processor_mode: 1
  - .args:
      - .offset:         0
        .size:           4
        .value_kind:     by_value
      - .offset:         4
        .size:           4
        .value_kind:     by_value
      - .offset:         8
        .size:           4
        .value_kind:     by_value
      - .offset:         12
        .size:           4
        .value_kind:     by_value
      - .offset:         16
        .size:           8
        .value_kind:     by_value
      - .offset:         24
        .size:           8
        .value_kind:     by_value
      - .address_space:  global
        .offset:         32
        .size:           8
        .value_kind:     global_buffer
      - .offset:         40
        .size:           8
        .value_kind:     by_value
      - .offset:         48
        .size:           8
        .value_kind:     by_value
      - .address_space:  global
        .offset:         56
        .size:           8
        .value_kind:     global_buffer
      - .offset:         64
        .size:           8
        .value_kind:     by_value
      - .offset:         72
        .size:           8
        .value_kind:     by_value
      - .address_space:  global
        .offset:         80
        .size:           8
        .value_kind:     global_buffer
      - .offset:         88
        .size:           8
        .value_kind:     by_value
      - .offset:         96
        .size:           8
        .value_kind:     by_value
      - .offset:         104
        .size:           4
        .value_kind:     by_value
    .group_segment_fixed_size: 16384
    .kernarg_segment_align: 8
    .kernarg_segment_size: 108
    .language:       OpenCL C
    .language_version:
      - 2
      - 0
    .max_flat_workgroup_size: 1024
    .name:           _ZL23rocblas_trmm_lTx_kernelILi32ELb1EddKddEv13rocblas_fill_17rocblas_diagonal_iiT2_lPT3_llS5_llPT4_lli
    .private_segment_fixed_size: 0
    .sgpr_count:     31
    .sgpr_spill_count: 0
    .symbol:         _ZL23rocblas_trmm_lTx_kernelILi32ELb1EddKddEv13rocblas_fill_17rocblas_diagonal_iiT2_lPT3_llS5_llPT4_lli.kd
    .uniform_work_group_size: 1
    .uses_dynamic_stack: false
    .vgpr_count:     30
    .vgpr_spill_count: 0
    .wavefront_size: 32
    .workgroup_processor_mode: 1
  - .args:
      - .offset:         0
        .size:           4
        .value_kind:     by_value
      - .offset:         4
        .size:           4
        .value_kind:     by_value
      - .offset:         8
        .size:           4
        .value_kind:     by_value
      - .offset:         12
        .size:           4
        .value_kind:     by_value
      - .address_space:  global
        .offset:         16
        .size:           8
        .value_kind:     global_buffer
      - .offset:         24
        .size:           8
        .value_kind:     by_value
      - .address_space:  global
        .offset:         32
        .size:           8
        .value_kind:     global_buffer
      - .offset:         40
        .size:           8
        .value_kind:     by_value
      - .offset:         48
        .size:           8
        .value_kind:     by_value
      - .address_space:  global
        .offset:         56
        .size:           8
        .value_kind:     global_buffer
      - .offset:         64
        .size:           8
        .value_kind:     by_value
      - .offset:         72
        .size:           8
        .value_kind:     by_value
      - .address_space:  global
        .offset:         80
        .size:           8
        .value_kind:     global_buffer
      - .offset:         88
        .size:           8
        .value_kind:     by_value
      - .offset:         96
        .size:           8
        .value_kind:     by_value
      - .offset:         104
        .size:           4
        .value_kind:     by_value
    .group_segment_fixed_size: 16384
    .kernarg_segment_align: 8
    .kernarg_segment_size: 108
    .language:       OpenCL C
    .language_version:
      - 2
      - 0
    .max_flat_workgroup_size: 1024
    .name:           _ZL23rocblas_trmm_rNx_kernelILi32EdPKdS0_dEv13rocblas_fill_17rocblas_diagonal_iiT1_lPT2_llS6_llPT3_lli
    .private_segment_fixed_size: 0
    .sgpr_count:     33
    .sgpr_spill_count: 0
    .symbol:         _ZL23rocblas_trmm_rNx_kernelILi32EdPKdS0_dEv13rocblas_fill_17rocblas_diagonal_iiT1_lPT2_llS6_llPT3_lli.kd
    .uniform_work_group_size: 1
    .uses_dynamic_stack: false
    .vgpr_count:     31
    .vgpr_spill_count: 0
    .wavefront_size: 32
    .workgroup_processor_mode: 1
  - .args:
      - .offset:         0
        .size:           4
        .value_kind:     by_value
      - .offset:         4
        .size:           4
        .value_kind:     by_value
      - .offset:         8
        .size:           4
        .value_kind:     by_value
      - .offset:         12
        .size:           4
        .value_kind:     by_value
      - .offset:         16
        .size:           8
        .value_kind:     by_value
      - .offset:         24
        .size:           8
        .value_kind:     by_value
      - .address_space:  global
        .offset:         32
        .size:           8
        .value_kind:     global_buffer
      - .offset:         40
        .size:           8
        .value_kind:     by_value
      - .offset:         48
        .size:           8
        .value_kind:     by_value
      - .address_space:  global
        .offset:         56
        .size:           8
        .value_kind:     global_buffer
      - .offset:         64
        .size:           8
        .value_kind:     by_value
      - .offset:         72
        .size:           8
        .value_kind:     by_value
      - .address_space:  global
        .offset:         80
        .size:           8
        .value_kind:     global_buffer
      - .offset:         88
        .size:           8
        .value_kind:     by_value
      - .offset:         96
        .size:           8
        .value_kind:     by_value
      - .offset:         104
        .size:           4
        .value_kind:     by_value
    .group_segment_fixed_size: 16384
    .kernarg_segment_align: 8
    .kernarg_segment_size: 108
    .language:       OpenCL C
    .language_version:
      - 2
      - 0
    .max_flat_workgroup_size: 1024
    .name:           _ZL23rocblas_trmm_rNx_kernelILi32EddKddEv13rocblas_fill_17rocblas_diagonal_iiT1_lPT2_llS5_llPT3_lli
    .private_segment_fixed_size: 0
    .sgpr_count:     31
    .sgpr_spill_count: 0
    .symbol:         _ZL23rocblas_trmm_rNx_kernelILi32EddKddEv13rocblas_fill_17rocblas_diagonal_iiT1_lPT2_llS5_llPT3_lli.kd
    .uniform_work_group_size: 1
    .uses_dynamic_stack: false
    .vgpr_count:     29
    .vgpr_spill_count: 0
    .wavefront_size: 32
    .workgroup_processor_mode: 1
  - .args:
      - .offset:         0
        .size:           4
        .value_kind:     by_value
      - .offset:         4
        .size:           4
        .value_kind:     by_value
      - .offset:         8
        .size:           4
        .value_kind:     by_value
      - .offset:         12
        .size:           4
        .value_kind:     by_value
      - .address_space:  global
        .offset:         16
        .size:           8
        .value_kind:     global_buffer
      - .offset:         24
        .size:           8
        .value_kind:     by_value
      - .address_space:  global
        .offset:         32
        .size:           8
        .value_kind:     global_buffer
      - .offset:         40
        .size:           8
        .value_kind:     by_value
      - .offset:         48
        .size:           8
        .value_kind:     by_value
      - .address_space:  global
        .offset:         56
        .size:           8
        .value_kind:     global_buffer
      - .offset:         64
        .size:           8
        .value_kind:     by_value
      - .offset:         72
        .size:           8
        .value_kind:     by_value
      - .address_space:  global
        .offset:         80
        .size:           8
        .value_kind:     global_buffer
      - .offset:         88
        .size:           8
        .value_kind:     by_value
      - .offset:         96
        .size:           8
        .value_kind:     by_value
      - .offset:         104
        .size:           4
        .value_kind:     by_value
    .group_segment_fixed_size: 16384
    .kernarg_segment_align: 8
    .kernarg_segment_size: 108
    .language:       OpenCL C
    .language_version:
      - 2
      - 0
    .max_flat_workgroup_size: 1024
    .name:           _ZL23rocblas_trmm_rTx_kernelILi32ELb0EdPKdS0_dEv13rocblas_fill_17rocblas_diagonal_iiT2_lPT3_llS6_llPT4_lli
    .private_segment_fixed_size: 0
    .sgpr_count:     33
    .sgpr_spill_count: 0
    .symbol:         _ZL23rocblas_trmm_rTx_kernelILi32ELb0EdPKdS0_dEv13rocblas_fill_17rocblas_diagonal_iiT2_lPT3_llS6_llPT4_lli.kd
    .uniform_work_group_size: 1
    .uses_dynamic_stack: false
    .vgpr_count:     30
    .vgpr_spill_count: 0
    .wavefront_size: 32
    .workgroup_processor_mode: 1
  - .args:
      - .offset:         0
        .size:           4
        .value_kind:     by_value
      - .offset:         4
        .size:           4
        .value_kind:     by_value
      - .offset:         8
        .size:           4
        .value_kind:     by_value
      - .offset:         12
        .size:           4
        .value_kind:     by_value
      - .offset:         16
        .size:           8
        .value_kind:     by_value
      - .offset:         24
        .size:           8
        .value_kind:     by_value
      - .address_space:  global
        .offset:         32
        .size:           8
        .value_kind:     global_buffer
      - .offset:         40
        .size:           8
        .value_kind:     by_value
      - .offset:         48
        .size:           8
        .value_kind:     by_value
      - .address_space:  global
        .offset:         56
        .size:           8
        .value_kind:     global_buffer
      - .offset:         64
        .size:           8
        .value_kind:     by_value
      - .offset:         72
        .size:           8
        .value_kind:     by_value
      - .address_space:  global
        .offset:         80
        .size:           8
        .value_kind:     global_buffer
      - .offset:         88
        .size:           8
        .value_kind:     by_value
      - .offset:         96
        .size:           8
        .value_kind:     by_value
      - .offset:         104
        .size:           4
        .value_kind:     by_value
    .group_segment_fixed_size: 16384
    .kernarg_segment_align: 8
    .kernarg_segment_size: 108
    .language:       OpenCL C
    .language_version:
      - 2
      - 0
    .max_flat_workgroup_size: 1024
    .name:           _ZL23rocblas_trmm_rTx_kernelILi32ELb0EddKddEv13rocblas_fill_17rocblas_diagonal_iiT2_lPT3_llS5_llPT4_lli
    .private_segment_fixed_size: 0
    .sgpr_count:     31
    .sgpr_spill_count: 0
    .symbol:         _ZL23rocblas_trmm_rTx_kernelILi32ELb0EddKddEv13rocblas_fill_17rocblas_diagonal_iiT2_lPT3_llS5_llPT4_lli.kd
    .uniform_work_group_size: 1
    .uses_dynamic_stack: false
    .vgpr_count:     28
    .vgpr_spill_count: 0
    .wavefront_size: 32
    .workgroup_processor_mode: 1
  - .args:
      - .offset:         0
        .size:           4
        .value_kind:     by_value
      - .offset:         4
        .size:           4
        .value_kind:     by_value
      - .offset:         8
        .size:           4
        .value_kind:     by_value
      - .offset:         12
        .size:           4
        .value_kind:     by_value
      - .address_space:  global
        .offset:         16
        .size:           8
        .value_kind:     global_buffer
      - .offset:         24
        .size:           8
        .value_kind:     by_value
      - .address_space:  global
        .offset:         32
        .size:           8
        .value_kind:     global_buffer
      - .offset:         40
        .size:           8
        .value_kind:     by_value
      - .offset:         48
        .size:           8
        .value_kind:     by_value
      - .address_space:  global
        .offset:         56
        .size:           8
        .value_kind:     global_buffer
      - .offset:         64
        .size:           8
        .value_kind:     by_value
      - .offset:         72
        .size:           8
        .value_kind:     by_value
      - .address_space:  global
        .offset:         80
        .size:           8
        .value_kind:     global_buffer
      - .offset:         88
        .size:           8
        .value_kind:     by_value
      - .offset:         96
        .size:           8
        .value_kind:     by_value
      - .offset:         104
        .size:           4
        .value_kind:     by_value
    .group_segment_fixed_size: 16384
    .kernarg_segment_align: 8
    .kernarg_segment_size: 108
    .language:       OpenCL C
    .language_version:
      - 2
      - 0
    .max_flat_workgroup_size: 1024
    .name:           _ZL23rocblas_trmm_rTx_kernelILi32ELb1EdPKdS0_dEv13rocblas_fill_17rocblas_diagonal_iiT2_lPT3_llS6_llPT4_lli
    .private_segment_fixed_size: 0
    .sgpr_count:     33
    .sgpr_spill_count: 0
    .symbol:         _ZL23rocblas_trmm_rTx_kernelILi32ELb1EdPKdS0_dEv13rocblas_fill_17rocblas_diagonal_iiT2_lPT3_llS6_llPT4_lli.kd
    .uniform_work_group_size: 1
    .uses_dynamic_stack: false
    .vgpr_count:     30
    .vgpr_spill_count: 0
    .wavefront_size: 32
    .workgroup_processor_mode: 1
  - .args:
      - .offset:         0
        .size:           4
        .value_kind:     by_value
      - .offset:         4
        .size:           4
        .value_kind:     by_value
      - .offset:         8
        .size:           4
        .value_kind:     by_value
      - .offset:         12
        .size:           4
        .value_kind:     by_value
      - .offset:         16
        .size:           8
        .value_kind:     by_value
      - .offset:         24
        .size:           8
        .value_kind:     by_value
      - .address_space:  global
        .offset:         32
        .size:           8
        .value_kind:     global_buffer
      - .offset:         40
        .size:           8
        .value_kind:     by_value
      - .offset:         48
        .size:           8
        .value_kind:     by_value
      - .address_space:  global
        .offset:         56
        .size:           8
        .value_kind:     global_buffer
      - .offset:         64
        .size:           8
        .value_kind:     by_value
      - .offset:         72
        .size:           8
        .value_kind:     by_value
      - .address_space:  global
        .offset:         80
        .size:           8
        .value_kind:     global_buffer
      - .offset:         88
        .size:           8
        .value_kind:     by_value
      - .offset:         96
        .size:           8
        .value_kind:     by_value
      - .offset:         104
        .size:           4
        .value_kind:     by_value
    .group_segment_fixed_size: 16384
    .kernarg_segment_align: 8
    .kernarg_segment_size: 108
    .language:       OpenCL C
    .language_version:
      - 2
      - 0
    .max_flat_workgroup_size: 1024
    .name:           _ZL23rocblas_trmm_rTx_kernelILi32ELb1EddKddEv13rocblas_fill_17rocblas_diagonal_iiT2_lPT3_llS5_llPT4_lli
    .private_segment_fixed_size: 0
    .sgpr_count:     31
    .sgpr_spill_count: 0
    .symbol:         _ZL23rocblas_trmm_rTx_kernelILi32ELb1EddKddEv13rocblas_fill_17rocblas_diagonal_iiT2_lPT3_llS5_llPT4_lli.kd
    .uniform_work_group_size: 1
    .uses_dynamic_stack: false
    .vgpr_count:     28
    .vgpr_spill_count: 0
    .wavefront_size: 32
    .workgroup_processor_mode: 1
  - .args:
      - .offset:         0
        .size:           4
        .value_kind:     by_value
      - .offset:         4
        .size:           4
        .value_kind:     by_value
      - .offset:         8
        .size:           4
        .value_kind:     by_value
      - .address_space:  global
        .offset:         16
        .size:           8
        .value_kind:     global_buffer
      - .offset:         24
        .size:           8
        .value_kind:     by_value
      - .address_space:  global
        .offset:         32
        .size:           8
        .value_kind:     global_buffer
      - .offset:         40
        .size:           8
        .value_kind:     by_value
      - .offset:         48
        .size:           8
        .value_kind:     by_value
      - .offset:         56
        .size:           8
        .value_kind:     by_value
      - .address_space:  global
        .offset:         64
        .size:           8
        .value_kind:     global_buffer
      - .offset:         72
        .size:           8
        .value_kind:     by_value
      - .offset:         80
        .size:           8
        .value_kind:     by_value
      - .offset:         88
        .size:           8
        .value_kind:     by_value
      - .address_space:  global
        .offset:         96
        .size:           8
        .value_kind:     global_buffer
      - .offset:         104
        .size:           8
        .value_kind:     by_value
      - .offset:         112
        .size:           8
        .value_kind:     by_value
      - .offset:         120
        .size:           8
        .value_kind:     by_value
      - .offset:         128
        .size:           4
        .value_kind:     by_value
      - .offset:         136
        .size:           4
        .value_kind:     hidden_block_count_x
      - .offset:         140
        .size:           4
        .value_kind:     hidden_block_count_y
      - .offset:         144
        .size:           4
        .value_kind:     hidden_block_count_z
      - .offset:         148
        .size:           2
        .value_kind:     hidden_group_size_x
      - .offset:         150
        .size:           2
        .value_kind:     hidden_group_size_y
      - .offset:         152
        .size:           2
        .value_kind:     hidden_group_size_z
      - .offset:         154
        .size:           2
        .value_kind:     hidden_remainder_x
      - .offset:         156
        .size:           2
        .value_kind:     hidden_remainder_y
      - .offset:         158
        .size:           2
        .value_kind:     hidden_remainder_z
      - .offset:         176
        .size:           8
        .value_kind:     hidden_global_offset_x
      - .offset:         184
        .size:           8
        .value_kind:     hidden_global_offset_y
      - .offset:         192
        .size:           8
        .value_kind:     hidden_global_offset_z
      - .offset:         200
        .size:           2
        .value_kind:     hidden_grid_dims
    .group_segment_fixed_size: 16384
    .kernarg_segment_align: 8
    .kernarg_segment_size: 392
    .language:       OpenCL C
    .language_version:
      - 2
      - 0
    .max_flat_workgroup_size: 1024
    .name:           _ZL30rocblas_trmm_outofplace_kernelI19rocblas_complex_numIfELi32ELi2ELb1ELb0ELb0ELb0EPKS1_S2_S1_Ev17rocblas_diagonal_iiT6_lPT7_lllS7_lllPT8_llli
    .private_segment_fixed_size: 0
    .sgpr_count:     60
    .sgpr_spill_count: 0
    .symbol:         _ZL30rocblas_trmm_outofplace_kernelI19rocblas_complex_numIfELi32ELi2ELb1ELb0ELb0ELb0EPKS1_S2_S1_Ev17rocblas_diagonal_iiT6_lPT7_lllS7_lllPT8_llli.kd
    .uniform_work_group_size: 1
    .uses_dynamic_stack: false
    .vgpr_count:     97
    .vgpr_spill_count: 0
    .wavefront_size: 32
    .workgroup_processor_mode: 1
  - .args:
      - .offset:         0
        .size:           4
        .value_kind:     by_value
      - .offset:         4
        .size:           4
        .value_kind:     by_value
      - .offset:         8
        .size:           4
        .value_kind:     by_value
      - .offset:         12
        .size:           8
        .value_kind:     by_value
      - .offset:         24
        .size:           8
        .value_kind:     by_value
      - .address_space:  global
        .offset:         32
        .size:           8
        .value_kind:     global_buffer
      - .offset:         40
        .size:           8
        .value_kind:     by_value
      - .offset:         48
        .size:           8
        .value_kind:     by_value
      - .offset:         56
        .size:           8
        .value_kind:     by_value
      - .address_space:  global
        .offset:         64
        .size:           8
        .value_kind:     global_buffer
      - .offset:         72
        .size:           8
        .value_kind:     by_value
      - .offset:         80
        .size:           8
        .value_kind:     by_value
      - .offset:         88
        .size:           8
        .value_kind:     by_value
      - .address_space:  global
        .offset:         96
        .size:           8
        .value_kind:     global_buffer
      - .offset:         104
        .size:           8
        .value_kind:     by_value
      - .offset:         112
        .size:           8
        .value_kind:     by_value
      - .offset:         120
        .size:           8
        .value_kind:     by_value
      - .offset:         128
        .size:           4
        .value_kind:     by_value
      - .offset:         136
        .size:           4
        .value_kind:     hidden_block_count_x
      - .offset:         140
        .size:           4
        .value_kind:     hidden_block_count_y
      - .offset:         144
        .size:           4
        .value_kind:     hidden_block_count_z
      - .offset:         148
        .size:           2
        .value_kind:     hidden_group_size_x
      - .offset:         150
        .size:           2
        .value_kind:     hidden_group_size_y
      - .offset:         152
        .size:           2
        .value_kind:     hidden_group_size_z
      - .offset:         154
        .size:           2
        .value_kind:     hidden_remainder_x
      - .offset:         156
        .size:           2
        .value_kind:     hidden_remainder_y
      - .offset:         158
        .size:           2
        .value_kind:     hidden_remainder_z
      - .offset:         176
        .size:           8
        .value_kind:     hidden_global_offset_x
      - .offset:         184
        .size:           8
        .value_kind:     hidden_global_offset_y
      - .offset:         192
        .size:           8
        .value_kind:     hidden_global_offset_z
      - .offset:         200
        .size:           2
        .value_kind:     hidden_grid_dims
    .group_segment_fixed_size: 16384
    .kernarg_segment_align: 8
    .kernarg_segment_size: 392
    .language:       OpenCL C
    .language_version:
      - 2
      - 0
    .max_flat_workgroup_size: 1024
    .name:           _ZL30rocblas_trmm_outofplace_kernelI19rocblas_complex_numIfELi32ELi2ELb1ELb0ELb0ELb0ES1_KS1_S1_Ev17rocblas_diagonal_iiT6_lPT7_lllS6_lllPT8_llli
    .private_segment_fixed_size: 0
    .sgpr_count:     58
    .sgpr_spill_count: 0
    .symbol:         _ZL30rocblas_trmm_outofplace_kernelI19rocblas_complex_numIfELi32ELi2ELb1ELb0ELb0ELb0ES1_KS1_S1_Ev17rocblas_diagonal_iiT6_lPT7_lllS6_lllPT8_llli.kd
    .uniform_work_group_size: 1
    .uses_dynamic_stack: false
    .vgpr_count:     95
    .vgpr_spill_count: 0
    .wavefront_size: 32
    .workgroup_processor_mode: 1
  - .args:
      - .offset:         0
        .size:           4
        .value_kind:     by_value
      - .offset:         4
        .size:           4
        .value_kind:     by_value
      - .offset:         8
        .size:           4
        .value_kind:     by_value
      - .address_space:  global
        .offset:         16
        .size:           8
        .value_kind:     global_buffer
      - .offset:         24
        .size:           8
        .value_kind:     by_value
      - .address_space:  global
        .offset:         32
        .size:           8
        .value_kind:     global_buffer
      - .offset:         40
        .size:           8
        .value_kind:     by_value
      - .offset:         48
        .size:           8
        .value_kind:     by_value
      - .offset:         56
        .size:           8
        .value_kind:     by_value
      - .address_space:  global
        .offset:         64
        .size:           8
        .value_kind:     global_buffer
      - .offset:         72
        .size:           8
        .value_kind:     by_value
      - .offset:         80
        .size:           8
        .value_kind:     by_value
      - .offset:         88
        .size:           8
        .value_kind:     by_value
      - .address_space:  global
        .offset:         96
        .size:           8
        .value_kind:     global_buffer
      - .offset:         104
        .size:           8
        .value_kind:     by_value
      - .offset:         112
        .size:           8
        .value_kind:     by_value
      - .offset:         120
        .size:           8
        .value_kind:     by_value
      - .offset:         128
        .size:           4
        .value_kind:     by_value
      - .offset:         136
        .size:           4
        .value_kind:     hidden_block_count_x
      - .offset:         140
        .size:           4
        .value_kind:     hidden_block_count_y
      - .offset:         144
        .size:           4
        .value_kind:     hidden_block_count_z
      - .offset:         148
        .size:           2
        .value_kind:     hidden_group_size_x
      - .offset:         150
        .size:           2
        .value_kind:     hidden_group_size_y
      - .offset:         152
        .size:           2
        .value_kind:     hidden_group_size_z
      - .offset:         154
        .size:           2
        .value_kind:     hidden_remainder_x
      - .offset:         156
        .size:           2
        .value_kind:     hidden_remainder_y
      - .offset:         158
        .size:           2
        .value_kind:     hidden_remainder_z
      - .offset:         176
        .size:           8
        .value_kind:     hidden_global_offset_x
      - .offset:         184
        .size:           8
        .value_kind:     hidden_global_offset_y
      - .offset:         192
        .size:           8
        .value_kind:     hidden_global_offset_z
      - .offset:         200
        .size:           2
        .value_kind:     hidden_grid_dims
    .group_segment_fixed_size: 16384
    .kernarg_segment_align: 8
    .kernarg_segment_size: 392
    .language:       OpenCL C
    .language_version:
      - 2
      - 0
    .max_flat_workgroup_size: 1024
    .name:           _ZL30rocblas_trmm_outofplace_kernelI19rocblas_complex_numIfELi32ELi2ELb1ELb1ELb0ELb0EPKS1_S2_S1_Ev17rocblas_diagonal_iiT6_lPT7_lllS7_lllPT8_llli
    .private_segment_fixed_size: 0
    .sgpr_count:     64
    .sgpr_spill_count: 0
    .symbol:         _ZL30rocblas_trmm_outofplace_kernelI19rocblas_complex_numIfELi32ELi2ELb1ELb1ELb0ELb0EPKS1_S2_S1_Ev17rocblas_diagonal_iiT6_lPT7_lllS7_lllPT8_llli.kd
    .uniform_work_group_size: 1
    .uses_dynamic_stack: false
    .vgpr_count:     93
    .vgpr_spill_count: 0
    .wavefront_size: 32
    .workgroup_processor_mode: 1
  - .args:
      - .offset:         0
        .size:           4
        .value_kind:     by_value
      - .offset:         4
        .size:           4
        .value_kind:     by_value
      - .offset:         8
        .size:           4
        .value_kind:     by_value
      - .offset:         12
        .size:           8
        .value_kind:     by_value
      - .offset:         24
        .size:           8
        .value_kind:     by_value
      - .address_space:  global
        .offset:         32
        .size:           8
        .value_kind:     global_buffer
      - .offset:         40
        .size:           8
        .value_kind:     by_value
      - .offset:         48
        .size:           8
        .value_kind:     by_value
      - .offset:         56
        .size:           8
        .value_kind:     by_value
      - .address_space:  global
        .offset:         64
        .size:           8
        .value_kind:     global_buffer
      - .offset:         72
        .size:           8
        .value_kind:     by_value
      - .offset:         80
        .size:           8
        .value_kind:     by_value
      - .offset:         88
        .size:           8
        .value_kind:     by_value
      - .address_space:  global
        .offset:         96
        .size:           8
        .value_kind:     global_buffer
      - .offset:         104
        .size:           8
        .value_kind:     by_value
      - .offset:         112
        .size:           8
        .value_kind:     by_value
      - .offset:         120
        .size:           8
        .value_kind:     by_value
      - .offset:         128
        .size:           4
        .value_kind:     by_value
      - .offset:         136
        .size:           4
        .value_kind:     hidden_block_count_x
      - .offset:         140
        .size:           4
        .value_kind:     hidden_block_count_y
      - .offset:         144
        .size:           4
        .value_kind:     hidden_block_count_z
      - .offset:         148
        .size:           2
        .value_kind:     hidden_group_size_x
      - .offset:         150
        .size:           2
        .value_kind:     hidden_group_size_y
      - .offset:         152
        .size:           2
        .value_kind:     hidden_group_size_z
      - .offset:         154
        .size:           2
        .value_kind:     hidden_remainder_x
      - .offset:         156
        .size:           2
        .value_kind:     hidden_remainder_y
      - .offset:         158
        .size:           2
        .value_kind:     hidden_remainder_z
      - .offset:         176
        .size:           8
        .value_kind:     hidden_global_offset_x
      - .offset:         184
        .size:           8
        .value_kind:     hidden_global_offset_y
      - .offset:         192
        .size:           8
        .value_kind:     hidden_global_offset_z
      - .offset:         200
        .size:           2
        .value_kind:     hidden_grid_dims
    .group_segment_fixed_size: 16384
    .kernarg_segment_align: 8
    .kernarg_segment_size: 392
    .language:       OpenCL C
    .language_version:
      - 2
      - 0
    .max_flat_workgroup_size: 1024
    .name:           _ZL30rocblas_trmm_outofplace_kernelI19rocblas_complex_numIfELi32ELi2ELb1ELb1ELb0ELb0ES1_KS1_S1_Ev17rocblas_diagonal_iiT6_lPT7_lllS6_lllPT8_llli
    .private_segment_fixed_size: 0
    .sgpr_count:     62
    .sgpr_spill_count: 0
    .symbol:         _ZL30rocblas_trmm_outofplace_kernelI19rocblas_complex_numIfELi32ELi2ELb1ELb1ELb0ELb0ES1_KS1_S1_Ev17rocblas_diagonal_iiT6_lPT7_lllS6_lllPT8_llli.kd
    .uniform_work_group_size: 1
    .uses_dynamic_stack: false
    .vgpr_count:     92
    .vgpr_spill_count: 0
    .wavefront_size: 32
    .workgroup_processor_mode: 1
  - .args:
      - .offset:         0
        .size:           4
        .value_kind:     by_value
      - .offset:         4
        .size:           4
        .value_kind:     by_value
      - .offset:         8
        .size:           4
        .value_kind:     by_value
      - .address_space:  global
        .offset:         16
        .size:           8
        .value_kind:     global_buffer
      - .offset:         24
        .size:           8
        .value_kind:     by_value
      - .address_space:  global
        .offset:         32
        .size:           8
        .value_kind:     global_buffer
      - .offset:         40
        .size:           8
        .value_kind:     by_value
      - .offset:         48
        .size:           8
        .value_kind:     by_value
      - .offset:         56
        .size:           8
        .value_kind:     by_value
      - .address_space:  global
        .offset:         64
        .size:           8
        .value_kind:     global_buffer
      - .offset:         72
        .size:           8
        .value_kind:     by_value
      - .offset:         80
        .size:           8
        .value_kind:     by_value
      - .offset:         88
        .size:           8
        .value_kind:     by_value
      - .address_space:  global
        .offset:         96
        .size:           8
        .value_kind:     global_buffer
      - .offset:         104
        .size:           8
        .value_kind:     by_value
      - .offset:         112
        .size:           8
        .value_kind:     by_value
      - .offset:         120
        .size:           8
        .value_kind:     by_value
      - .offset:         128
        .size:           4
        .value_kind:     by_value
      - .offset:         136
        .size:           4
        .value_kind:     hidden_block_count_x
      - .offset:         140
        .size:           4
        .value_kind:     hidden_block_count_y
      - .offset:         144
        .size:           4
        .value_kind:     hidden_block_count_z
      - .offset:         148
        .size:           2
        .value_kind:     hidden_group_size_x
      - .offset:         150
        .size:           2
        .value_kind:     hidden_group_size_y
      - .offset:         152
        .size:           2
        .value_kind:     hidden_group_size_z
      - .offset:         154
        .size:           2
        .value_kind:     hidden_remainder_x
      - .offset:         156
        .size:           2
        .value_kind:     hidden_remainder_y
      - .offset:         158
        .size:           2
        .value_kind:     hidden_remainder_z
      - .offset:         176
        .size:           8
        .value_kind:     hidden_global_offset_x
      - .offset:         184
        .size:           8
        .value_kind:     hidden_global_offset_y
      - .offset:         192
        .size:           8
        .value_kind:     hidden_global_offset_z
      - .offset:         200
        .size:           2
        .value_kind:     hidden_grid_dims
    .group_segment_fixed_size: 16384
    .kernarg_segment_align: 8
    .kernarg_segment_size: 392
    .language:       OpenCL C
    .language_version:
      - 2
      - 0
    .max_flat_workgroup_size: 1024
    .name:           _ZL30rocblas_trmm_outofplace_kernelI19rocblas_complex_numIfELi32ELi2ELb1ELb0ELb1ELb0EPKS1_S2_S1_Ev17rocblas_diagonal_iiT6_lPT7_lllS7_lllPT8_llli
    .private_segment_fixed_size: 0
    .sgpr_count:     60
    .sgpr_spill_count: 0
    .symbol:         _ZL30rocblas_trmm_outofplace_kernelI19rocblas_complex_numIfELi32ELi2ELb1ELb0ELb1ELb0EPKS1_S2_S1_Ev17rocblas_diagonal_iiT6_lPT7_lllS7_lllPT8_llli.kd
    .uniform_work_group_size: 1
    .uses_dynamic_stack: false
    .vgpr_count:     93
    .vgpr_spill_count: 0
    .wavefront_size: 32
    .workgroup_processor_mode: 1
  - .args:
      - .offset:         0
        .size:           4
        .value_kind:     by_value
      - .offset:         4
        .size:           4
        .value_kind:     by_value
      - .offset:         8
        .size:           4
        .value_kind:     by_value
      - .offset:         12
        .size:           8
        .value_kind:     by_value
      - .offset:         24
        .size:           8
        .value_kind:     by_value
      - .address_space:  global
        .offset:         32
        .size:           8
        .value_kind:     global_buffer
      - .offset:         40
        .size:           8
        .value_kind:     by_value
      - .offset:         48
        .size:           8
        .value_kind:     by_value
      - .offset:         56
        .size:           8
        .value_kind:     by_value
      - .address_space:  global
        .offset:         64
        .size:           8
        .value_kind:     global_buffer
      - .offset:         72
        .size:           8
        .value_kind:     by_value
      - .offset:         80
        .size:           8
        .value_kind:     by_value
      - .offset:         88
        .size:           8
        .value_kind:     by_value
      - .address_space:  global
        .offset:         96
        .size:           8
        .value_kind:     global_buffer
      - .offset:         104
        .size:           8
        .value_kind:     by_value
      - .offset:         112
        .size:           8
        .value_kind:     by_value
      - .offset:         120
        .size:           8
        .value_kind:     by_value
      - .offset:         128
        .size:           4
        .value_kind:     by_value
      - .offset:         136
        .size:           4
        .value_kind:     hidden_block_count_x
      - .offset:         140
        .size:           4
        .value_kind:     hidden_block_count_y
      - .offset:         144
        .size:           4
        .value_kind:     hidden_block_count_z
      - .offset:         148
        .size:           2
        .value_kind:     hidden_group_size_x
      - .offset:         150
        .size:           2
        .value_kind:     hidden_group_size_y
      - .offset:         152
        .size:           2
        .value_kind:     hidden_group_size_z
      - .offset:         154
        .size:           2
        .value_kind:     hidden_remainder_x
      - .offset:         156
        .size:           2
        .value_kind:     hidden_remainder_y
      - .offset:         158
        .size:           2
        .value_kind:     hidden_remainder_z
      - .offset:         176
        .size:           8
        .value_kind:     hidden_global_offset_x
      - .offset:         184
        .size:           8
        .value_kind:     hidden_global_offset_y
      - .offset:         192
        .size:           8
        .value_kind:     hidden_global_offset_z
      - .offset:         200
        .size:           2
        .value_kind:     hidden_grid_dims
    .group_segment_fixed_size: 16384
    .kernarg_segment_align: 8
    .kernarg_segment_size: 392
    .language:       OpenCL C
    .language_version:
      - 2
      - 0
    .max_flat_workgroup_size: 1024
    .name:           _ZL30rocblas_trmm_outofplace_kernelI19rocblas_complex_numIfELi32ELi2ELb1ELb0ELb1ELb0ES1_KS1_S1_Ev17rocblas_diagonal_iiT6_lPT7_lllS6_lllPT8_llli
    .private_segment_fixed_size: 0
    .sgpr_count:     58
    .sgpr_spill_count: 0
    .symbol:         _ZL30rocblas_trmm_outofplace_kernelI19rocblas_complex_numIfELi32ELi2ELb1ELb0ELb1ELb0ES1_KS1_S1_Ev17rocblas_diagonal_iiT6_lPT7_lllS6_lllPT8_llli.kd
    .uniform_work_group_size: 1
    .uses_dynamic_stack: false
    .vgpr_count:     92
    .vgpr_spill_count: 0
    .wavefront_size: 32
    .workgroup_processor_mode: 1
  - .args:
      - .offset:         0
        .size:           4
        .value_kind:     by_value
      - .offset:         4
        .size:           4
        .value_kind:     by_value
      - .offset:         8
        .size:           4
        .value_kind:     by_value
      - .address_space:  global
        .offset:         16
        .size:           8
        .value_kind:     global_buffer
      - .offset:         24
        .size:           8
        .value_kind:     by_value
      - .address_space:  global
        .offset:         32
        .size:           8
        .value_kind:     global_buffer
      - .offset:         40
        .size:           8
        .value_kind:     by_value
      - .offset:         48
        .size:           8
        .value_kind:     by_value
      - .offset:         56
        .size:           8
        .value_kind:     by_value
      - .address_space:  global
        .offset:         64
        .size:           8
        .value_kind:     global_buffer
      - .offset:         72
        .size:           8
        .value_kind:     by_value
      - .offset:         80
        .size:           8
        .value_kind:     by_value
      - .offset:         88
        .size:           8
        .value_kind:     by_value
      - .address_space:  global
        .offset:         96
        .size:           8
        .value_kind:     global_buffer
      - .offset:         104
        .size:           8
        .value_kind:     by_value
      - .offset:         112
        .size:           8
        .value_kind:     by_value
      - .offset:         120
        .size:           8
        .value_kind:     by_value
      - .offset:         128
        .size:           4
        .value_kind:     by_value
      - .offset:         136
        .size:           4
        .value_kind:     hidden_block_count_x
      - .offset:         140
        .size:           4
        .value_kind:     hidden_block_count_y
      - .offset:         144
        .size:           4
        .value_kind:     hidden_block_count_z
      - .offset:         148
        .size:           2
        .value_kind:     hidden_group_size_x
      - .offset:         150
        .size:           2
        .value_kind:     hidden_group_size_y
      - .offset:         152
        .size:           2
        .value_kind:     hidden_group_size_z
      - .offset:         154
        .size:           2
        .value_kind:     hidden_remainder_x
      - .offset:         156
        .size:           2
        .value_kind:     hidden_remainder_y
      - .offset:         158
        .size:           2
        .value_kind:     hidden_remainder_z
      - .offset:         176
        .size:           8
        .value_kind:     hidden_global_offset_x
      - .offset:         184
        .size:           8
        .value_kind:     hidden_global_offset_y
      - .offset:         192
        .size:           8
        .value_kind:     hidden_global_offset_z
      - .offset:         200
        .size:           2
        .value_kind:     hidden_grid_dims
    .group_segment_fixed_size: 16384
    .kernarg_segment_align: 8
    .kernarg_segment_size: 392
    .language:       OpenCL C
    .language_version:
      - 2
      - 0
    .max_flat_workgroup_size: 1024
    .name:           _ZL30rocblas_trmm_outofplace_kernelI19rocblas_complex_numIfELi32ELi2ELb1ELb1ELb1ELb0EPKS1_S2_S1_Ev17rocblas_diagonal_iiT6_lPT7_lllS7_lllPT8_llli
    .private_segment_fixed_size: 0
    .sgpr_count:     60
    .sgpr_spill_count: 0
    .symbol:         _ZL30rocblas_trmm_outofplace_kernelI19rocblas_complex_numIfELi32ELi2ELb1ELb1ELb1ELb0EPKS1_S2_S1_Ev17rocblas_diagonal_iiT6_lPT7_lllS7_lllPT8_llli.kd
    .uniform_work_group_size: 1
    .uses_dynamic_stack: false
    .vgpr_count:     93
    .vgpr_spill_count: 0
    .wavefront_size: 32
    .workgroup_processor_mode: 1
  - .args:
      - .offset:         0
        .size:           4
        .value_kind:     by_value
      - .offset:         4
        .size:           4
        .value_kind:     by_value
      - .offset:         8
        .size:           4
        .value_kind:     by_value
      - .offset:         12
        .size:           8
        .value_kind:     by_value
      - .offset:         24
        .size:           8
        .value_kind:     by_value
      - .address_space:  global
        .offset:         32
        .size:           8
        .value_kind:     global_buffer
      - .offset:         40
        .size:           8
        .value_kind:     by_value
      - .offset:         48
        .size:           8
        .value_kind:     by_value
      - .offset:         56
        .size:           8
        .value_kind:     by_value
      - .address_space:  global
        .offset:         64
        .size:           8
        .value_kind:     global_buffer
      - .offset:         72
        .size:           8
        .value_kind:     by_value
      - .offset:         80
        .size:           8
        .value_kind:     by_value
      - .offset:         88
        .size:           8
        .value_kind:     by_value
      - .address_space:  global
        .offset:         96
        .size:           8
        .value_kind:     global_buffer
      - .offset:         104
        .size:           8
        .value_kind:     by_value
      - .offset:         112
        .size:           8
        .value_kind:     by_value
      - .offset:         120
        .size:           8
        .value_kind:     by_value
      - .offset:         128
        .size:           4
        .value_kind:     by_value
      - .offset:         136
        .size:           4
        .value_kind:     hidden_block_count_x
      - .offset:         140
        .size:           4
        .value_kind:     hidden_block_count_y
      - .offset:         144
        .size:           4
        .value_kind:     hidden_block_count_z
      - .offset:         148
        .size:           2
        .value_kind:     hidden_group_size_x
      - .offset:         150
        .size:           2
        .value_kind:     hidden_group_size_y
      - .offset:         152
        .size:           2
        .value_kind:     hidden_group_size_z
      - .offset:         154
        .size:           2
        .value_kind:     hidden_remainder_x
      - .offset:         156
        .size:           2
        .value_kind:     hidden_remainder_y
      - .offset:         158
        .size:           2
        .value_kind:     hidden_remainder_z
      - .offset:         176
        .size:           8
        .value_kind:     hidden_global_offset_x
      - .offset:         184
        .size:           8
        .value_kind:     hidden_global_offset_y
      - .offset:         192
        .size:           8
        .value_kind:     hidden_global_offset_z
      - .offset:         200
        .size:           2
        .value_kind:     hidden_grid_dims
    .group_segment_fixed_size: 16384
    .kernarg_segment_align: 8
    .kernarg_segment_size: 392
    .language:       OpenCL C
    .language_version:
      - 2
      - 0
    .max_flat_workgroup_size: 1024
    .name:           _ZL30rocblas_trmm_outofplace_kernelI19rocblas_complex_numIfELi32ELi2ELb1ELb1ELb1ELb0ES1_KS1_S1_Ev17rocblas_diagonal_iiT6_lPT7_lllS6_lllPT8_llli
    .private_segment_fixed_size: 0
    .sgpr_count:     58
    .sgpr_spill_count: 0
    .symbol:         _ZL30rocblas_trmm_outofplace_kernelI19rocblas_complex_numIfELi32ELi2ELb1ELb1ELb1ELb0ES1_KS1_S1_Ev17rocblas_diagonal_iiT6_lPT7_lllS6_lllPT8_llli.kd
    .uniform_work_group_size: 1
    .uses_dynamic_stack: false
    .vgpr_count:     91
    .vgpr_spill_count: 0
    .wavefront_size: 32
    .workgroup_processor_mode: 1
  - .args:
      - .offset:         0
        .size:           4
        .value_kind:     by_value
      - .offset:         4
        .size:           4
        .value_kind:     by_value
      - .offset:         8
        .size:           4
        .value_kind:     by_value
      - .address_space:  global
        .offset:         16
        .size:           8
        .value_kind:     global_buffer
      - .offset:         24
        .size:           8
        .value_kind:     by_value
      - .address_space:  global
        .offset:         32
        .size:           8
        .value_kind:     global_buffer
      - .offset:         40
        .size:           8
        .value_kind:     by_value
      - .offset:         48
        .size:           8
        .value_kind:     by_value
      - .offset:         56
        .size:           8
        .value_kind:     by_value
      - .address_space:  global
        .offset:         64
        .size:           8
        .value_kind:     global_buffer
      - .offset:         72
        .size:           8
        .value_kind:     by_value
      - .offset:         80
        .size:           8
        .value_kind:     by_value
      - .offset:         88
        .size:           8
        .value_kind:     by_value
      - .address_space:  global
        .offset:         96
        .size:           8
        .value_kind:     global_buffer
      - .offset:         104
        .size:           8
        .value_kind:     by_value
      - .offset:         112
        .size:           8
        .value_kind:     by_value
      - .offset:         120
        .size:           8
        .value_kind:     by_value
      - .offset:         128
        .size:           4
        .value_kind:     by_value
      - .offset:         136
        .size:           4
        .value_kind:     hidden_block_count_x
      - .offset:         140
        .size:           4
        .value_kind:     hidden_block_count_y
      - .offset:         144
        .size:           4
        .value_kind:     hidden_block_count_z
      - .offset:         148
        .size:           2
        .value_kind:     hidden_group_size_x
      - .offset:         150
        .size:           2
        .value_kind:     hidden_group_size_y
      - .offset:         152
        .size:           2
        .value_kind:     hidden_group_size_z
      - .offset:         154
        .size:           2
        .value_kind:     hidden_remainder_x
      - .offset:         156
        .size:           2
        .value_kind:     hidden_remainder_y
      - .offset:         158
        .size:           2
        .value_kind:     hidden_remainder_z
      - .offset:         176
        .size:           8
        .value_kind:     hidden_global_offset_x
      - .offset:         184
        .size:           8
        .value_kind:     hidden_global_offset_y
      - .offset:         192
        .size:           8
        .value_kind:     hidden_global_offset_z
      - .offset:         200
        .size:           2
        .value_kind:     hidden_grid_dims
    .group_segment_fixed_size: 16384
    .kernarg_segment_align: 8
    .kernarg_segment_size: 392
    .language:       OpenCL C
    .language_version:
      - 2
      - 0
    .max_flat_workgroup_size: 1024
    .name:           _ZL30rocblas_trmm_outofplace_kernelI19rocblas_complex_numIfELi32ELi2ELb1ELb0ELb1ELb1EPKS1_S2_S1_Ev17rocblas_diagonal_iiT6_lPT7_lllS7_lllPT8_llli
    .private_segment_fixed_size: 0
    .sgpr_count:     60
    .sgpr_spill_count: 0
    .symbol:         _ZL30rocblas_trmm_outofplace_kernelI19rocblas_complex_numIfELi32ELi2ELb1ELb0ELb1ELb1EPKS1_S2_S1_Ev17rocblas_diagonal_iiT6_lPT7_lllS7_lllPT8_llli.kd
    .uniform_work_group_size: 1
    .uses_dynamic_stack: false
    .vgpr_count:     83
    .vgpr_spill_count: 0
    .wavefront_size: 32
    .workgroup_processor_mode: 1
  - .args:
      - .offset:         0
        .size:           4
        .value_kind:     by_value
      - .offset:         4
        .size:           4
        .value_kind:     by_value
      - .offset:         8
        .size:           4
        .value_kind:     by_value
      - .offset:         12
        .size:           8
        .value_kind:     by_value
      - .offset:         24
        .size:           8
        .value_kind:     by_value
      - .address_space:  global
        .offset:         32
        .size:           8
        .value_kind:     global_buffer
      - .offset:         40
        .size:           8
        .value_kind:     by_value
      - .offset:         48
        .size:           8
        .value_kind:     by_value
      - .offset:         56
        .size:           8
        .value_kind:     by_value
      - .address_space:  global
        .offset:         64
        .size:           8
        .value_kind:     global_buffer
      - .offset:         72
        .size:           8
        .value_kind:     by_value
      - .offset:         80
        .size:           8
        .value_kind:     by_value
      - .offset:         88
        .size:           8
        .value_kind:     by_value
      - .address_space:  global
        .offset:         96
        .size:           8
        .value_kind:     global_buffer
      - .offset:         104
        .size:           8
        .value_kind:     by_value
      - .offset:         112
        .size:           8
        .value_kind:     by_value
      - .offset:         120
        .size:           8
        .value_kind:     by_value
      - .offset:         128
        .size:           4
        .value_kind:     by_value
      - .offset:         136
        .size:           4
        .value_kind:     hidden_block_count_x
      - .offset:         140
        .size:           4
        .value_kind:     hidden_block_count_y
      - .offset:         144
        .size:           4
        .value_kind:     hidden_block_count_z
      - .offset:         148
        .size:           2
        .value_kind:     hidden_group_size_x
      - .offset:         150
        .size:           2
        .value_kind:     hidden_group_size_y
      - .offset:         152
        .size:           2
        .value_kind:     hidden_group_size_z
      - .offset:         154
        .size:           2
        .value_kind:     hidden_remainder_x
      - .offset:         156
        .size:           2
        .value_kind:     hidden_remainder_y
      - .offset:         158
        .size:           2
        .value_kind:     hidden_remainder_z
      - .offset:         176
        .size:           8
        .value_kind:     hidden_global_offset_x
      - .offset:         184
        .size:           8
        .value_kind:     hidden_global_offset_y
      - .offset:         192
        .size:           8
        .value_kind:     hidden_global_offset_z
      - .offset:         200
        .size:           2
        .value_kind:     hidden_grid_dims
    .group_segment_fixed_size: 16384
    .kernarg_segment_align: 8
    .kernarg_segment_size: 392
    .language:       OpenCL C
    .language_version:
      - 2
      - 0
    .max_flat_workgroup_size: 1024
    .name:           _ZL30rocblas_trmm_outofplace_kernelI19rocblas_complex_numIfELi32ELi2ELb1ELb0ELb1ELb1ES1_KS1_S1_Ev17rocblas_diagonal_iiT6_lPT7_lllS6_lllPT8_llli
    .private_segment_fixed_size: 0
    .sgpr_count:     58
    .sgpr_spill_count: 0
    .symbol:         _ZL30rocblas_trmm_outofplace_kernelI19rocblas_complex_numIfELi32ELi2ELb1ELb0ELb1ELb1ES1_KS1_S1_Ev17rocblas_diagonal_iiT6_lPT7_lllS6_lllPT8_llli.kd
    .uniform_work_group_size: 1
    .uses_dynamic_stack: false
    .vgpr_count:     81
    .vgpr_spill_count: 0
    .wavefront_size: 32
    .workgroup_processor_mode: 1
  - .args:
      - .offset:         0
        .size:           4
        .value_kind:     by_value
      - .offset:         4
        .size:           4
        .value_kind:     by_value
      - .offset:         8
        .size:           4
        .value_kind:     by_value
      - .address_space:  global
        .offset:         16
        .size:           8
        .value_kind:     global_buffer
      - .offset:         24
        .size:           8
        .value_kind:     by_value
      - .address_space:  global
        .offset:         32
        .size:           8
        .value_kind:     global_buffer
      - .offset:         40
        .size:           8
        .value_kind:     by_value
      - .offset:         48
        .size:           8
        .value_kind:     by_value
      - .offset:         56
        .size:           8
        .value_kind:     by_value
      - .address_space:  global
        .offset:         64
        .size:           8
        .value_kind:     global_buffer
      - .offset:         72
        .size:           8
        .value_kind:     by_value
      - .offset:         80
        .size:           8
        .value_kind:     by_value
      - .offset:         88
        .size:           8
        .value_kind:     by_value
      - .address_space:  global
        .offset:         96
        .size:           8
        .value_kind:     global_buffer
      - .offset:         104
        .size:           8
        .value_kind:     by_value
      - .offset:         112
        .size:           8
        .value_kind:     by_value
      - .offset:         120
        .size:           8
        .value_kind:     by_value
      - .offset:         128
        .size:           4
        .value_kind:     by_value
      - .offset:         136
        .size:           4
        .value_kind:     hidden_block_count_x
      - .offset:         140
        .size:           4
        .value_kind:     hidden_block_count_y
      - .offset:         144
        .size:           4
        .value_kind:     hidden_block_count_z
      - .offset:         148
        .size:           2
        .value_kind:     hidden_group_size_x
      - .offset:         150
        .size:           2
        .value_kind:     hidden_group_size_y
      - .offset:         152
        .size:           2
        .value_kind:     hidden_group_size_z
      - .offset:         154
        .size:           2
        .value_kind:     hidden_remainder_x
      - .offset:         156
        .size:           2
        .value_kind:     hidden_remainder_y
      - .offset:         158
        .size:           2
        .value_kind:     hidden_remainder_z
      - .offset:         176
        .size:           8
        .value_kind:     hidden_global_offset_x
      - .offset:         184
        .size:           8
        .value_kind:     hidden_global_offset_y
      - .offset:         192
        .size:           8
        .value_kind:     hidden_global_offset_z
      - .offset:         200
        .size:           2
        .value_kind:     hidden_grid_dims
    .group_segment_fixed_size: 16384
    .kernarg_segment_align: 8
    .kernarg_segment_size: 392
    .language:       OpenCL C
    .language_version:
      - 2
      - 0
    .max_flat_workgroup_size: 1024
    .name:           _ZL30rocblas_trmm_outofplace_kernelI19rocblas_complex_numIfELi32ELi2ELb1ELb1ELb1ELb1EPKS1_S2_S1_Ev17rocblas_diagonal_iiT6_lPT7_lllS7_lllPT8_llli
    .private_segment_fixed_size: 0
    .sgpr_count:     60
    .sgpr_spill_count: 0
    .symbol:         _ZL30rocblas_trmm_outofplace_kernelI19rocblas_complex_numIfELi32ELi2ELb1ELb1ELb1ELb1EPKS1_S2_S1_Ev17rocblas_diagonal_iiT6_lPT7_lllS7_lllPT8_llli.kd
    .uniform_work_group_size: 1
    .uses_dynamic_stack: false
    .vgpr_count:     82
    .vgpr_spill_count: 0
    .wavefront_size: 32
    .workgroup_processor_mode: 1
  - .args:
      - .offset:         0
        .size:           4
        .value_kind:     by_value
      - .offset:         4
        .size:           4
        .value_kind:     by_value
      - .offset:         8
        .size:           4
        .value_kind:     by_value
      - .offset:         12
        .size:           8
        .value_kind:     by_value
      - .offset:         24
        .size:           8
        .value_kind:     by_value
      - .address_space:  global
        .offset:         32
        .size:           8
        .value_kind:     global_buffer
      - .offset:         40
        .size:           8
        .value_kind:     by_value
      - .offset:         48
        .size:           8
        .value_kind:     by_value
      - .offset:         56
        .size:           8
        .value_kind:     by_value
      - .address_space:  global
        .offset:         64
        .size:           8
        .value_kind:     global_buffer
      - .offset:         72
        .size:           8
        .value_kind:     by_value
      - .offset:         80
        .size:           8
        .value_kind:     by_value
      - .offset:         88
        .size:           8
        .value_kind:     by_value
      - .address_space:  global
        .offset:         96
        .size:           8
        .value_kind:     global_buffer
      - .offset:         104
        .size:           8
        .value_kind:     by_value
      - .offset:         112
        .size:           8
        .value_kind:     by_value
      - .offset:         120
        .size:           8
        .value_kind:     by_value
      - .offset:         128
        .size:           4
        .value_kind:     by_value
      - .offset:         136
        .size:           4
        .value_kind:     hidden_block_count_x
      - .offset:         140
        .size:           4
        .value_kind:     hidden_block_count_y
      - .offset:         144
        .size:           4
        .value_kind:     hidden_block_count_z
      - .offset:         148
        .size:           2
        .value_kind:     hidden_group_size_x
      - .offset:         150
        .size:           2
        .value_kind:     hidden_group_size_y
      - .offset:         152
        .size:           2
        .value_kind:     hidden_group_size_z
      - .offset:         154
        .size:           2
        .value_kind:     hidden_remainder_x
      - .offset:         156
        .size:           2
        .value_kind:     hidden_remainder_y
      - .offset:         158
        .size:           2
        .value_kind:     hidden_remainder_z
      - .offset:         176
        .size:           8
        .value_kind:     hidden_global_offset_x
      - .offset:         184
        .size:           8
        .value_kind:     hidden_global_offset_y
      - .offset:         192
        .size:           8
        .value_kind:     hidden_global_offset_z
      - .offset:         200
        .size:           2
        .value_kind:     hidden_grid_dims
    .group_segment_fixed_size: 16384
    .kernarg_segment_align: 8
    .kernarg_segment_size: 392
    .language:       OpenCL C
    .language_version:
      - 2
      - 0
    .max_flat_workgroup_size: 1024
    .name:           _ZL30rocblas_trmm_outofplace_kernelI19rocblas_complex_numIfELi32ELi2ELb1ELb1ELb1ELb1ES1_KS1_S1_Ev17rocblas_diagonal_iiT6_lPT7_lllS6_lllPT8_llli
    .private_segment_fixed_size: 0
    .sgpr_count:     58
    .sgpr_spill_count: 0
    .symbol:         _ZL30rocblas_trmm_outofplace_kernelI19rocblas_complex_numIfELi32ELi2ELb1ELb1ELb1ELb1ES1_KS1_S1_Ev17rocblas_diagonal_iiT6_lPT7_lllS6_lllPT8_llli.kd
    .uniform_work_group_size: 1
    .uses_dynamic_stack: false
    .vgpr_count:     80
    .vgpr_spill_count: 0
    .wavefront_size: 32
    .workgroup_processor_mode: 1
  - .args:
      - .offset:         0
        .size:           4
        .value_kind:     by_value
      - .offset:         4
        .size:           4
        .value_kind:     by_value
      - .offset:         8
        .size:           4
        .value_kind:     by_value
      - .address_space:  global
        .offset:         16
        .size:           8
        .value_kind:     global_buffer
      - .offset:         24
        .size:           8
        .value_kind:     by_value
      - .address_space:  global
        .offset:         32
        .size:           8
        .value_kind:     global_buffer
      - .offset:         40
        .size:           8
        .value_kind:     by_value
      - .offset:         48
        .size:           8
        .value_kind:     by_value
      - .offset:         56
        .size:           8
        .value_kind:     by_value
      - .address_space:  global
        .offset:         64
        .size:           8
        .value_kind:     global_buffer
      - .offset:         72
        .size:           8
        .value_kind:     by_value
      - .offset:         80
        .size:           8
        .value_kind:     by_value
      - .offset:         88
        .size:           8
        .value_kind:     by_value
      - .address_space:  global
        .offset:         96
        .size:           8
        .value_kind:     global_buffer
      - .offset:         104
        .size:           8
        .value_kind:     by_value
      - .offset:         112
        .size:           8
        .value_kind:     by_value
      - .offset:         120
        .size:           8
        .value_kind:     by_value
      - .offset:         128
        .size:           4
        .value_kind:     by_value
      - .offset:         136
        .size:           4
        .value_kind:     hidden_block_count_x
      - .offset:         140
        .size:           4
        .value_kind:     hidden_block_count_y
      - .offset:         144
        .size:           4
        .value_kind:     hidden_block_count_z
      - .offset:         148
        .size:           2
        .value_kind:     hidden_group_size_x
      - .offset:         150
        .size:           2
        .value_kind:     hidden_group_size_y
      - .offset:         152
        .size:           2
        .value_kind:     hidden_group_size_z
      - .offset:         154
        .size:           2
        .value_kind:     hidden_remainder_x
      - .offset:         156
        .size:           2
        .value_kind:     hidden_remainder_y
      - .offset:         158
        .size:           2
        .value_kind:     hidden_remainder_z
      - .offset:         176
        .size:           8
        .value_kind:     hidden_global_offset_x
      - .offset:         184
        .size:           8
        .value_kind:     hidden_global_offset_y
      - .offset:         192
        .size:           8
        .value_kind:     hidden_global_offset_z
      - .offset:         200
        .size:           2
        .value_kind:     hidden_grid_dims
    .group_segment_fixed_size: 16384
    .kernarg_segment_align: 8
    .kernarg_segment_size: 392
    .language:       OpenCL C
    .language_version:
      - 2
      - 0
    .max_flat_workgroup_size: 1024
    .name:           _ZL30rocblas_trmm_outofplace_kernelI19rocblas_complex_numIfELi32ELi2ELb0ELb0ELb0ELb0EPKS1_S2_S1_Ev17rocblas_diagonal_iiT6_lPT7_lllS7_lllPT8_llli
    .private_segment_fixed_size: 0
    .sgpr_count:     66
    .sgpr_spill_count: 0
    .symbol:         _ZL30rocblas_trmm_outofplace_kernelI19rocblas_complex_numIfELi32ELi2ELb0ELb0ELb0ELb0EPKS1_S2_S1_Ev17rocblas_diagonal_iiT6_lPT7_lllS7_lllPT8_llli.kd
    .uniform_work_group_size: 1
    .uses_dynamic_stack: false
    .vgpr_count:     94
    .vgpr_spill_count: 0
    .wavefront_size: 32
    .workgroup_processor_mode: 1
  - .args:
      - .offset:         0
        .size:           4
        .value_kind:     by_value
      - .offset:         4
        .size:           4
        .value_kind:     by_value
      - .offset:         8
        .size:           4
        .value_kind:     by_value
      - .offset:         12
        .size:           8
        .value_kind:     by_value
      - .offset:         24
        .size:           8
        .value_kind:     by_value
      - .address_space:  global
        .offset:         32
        .size:           8
        .value_kind:     global_buffer
      - .offset:         40
        .size:           8
        .value_kind:     by_value
      - .offset:         48
        .size:           8
        .value_kind:     by_value
      - .offset:         56
        .size:           8
        .value_kind:     by_value
      - .address_space:  global
        .offset:         64
        .size:           8
        .value_kind:     global_buffer
      - .offset:         72
        .size:           8
        .value_kind:     by_value
      - .offset:         80
        .size:           8
        .value_kind:     by_value
      - .offset:         88
        .size:           8
        .value_kind:     by_value
      - .address_space:  global
        .offset:         96
        .size:           8
        .value_kind:     global_buffer
      - .offset:         104
        .size:           8
        .value_kind:     by_value
      - .offset:         112
        .size:           8
        .value_kind:     by_value
      - .offset:         120
        .size:           8
        .value_kind:     by_value
      - .offset:         128
        .size:           4
        .value_kind:     by_value
      - .offset:         136
        .size:           4
        .value_kind:     hidden_block_count_x
      - .offset:         140
        .size:           4
        .value_kind:     hidden_block_count_y
      - .offset:         144
        .size:           4
        .value_kind:     hidden_block_count_z
      - .offset:         148
        .size:           2
        .value_kind:     hidden_group_size_x
      - .offset:         150
        .size:           2
        .value_kind:     hidden_group_size_y
      - .offset:         152
        .size:           2
        .value_kind:     hidden_group_size_z
      - .offset:         154
        .size:           2
        .value_kind:     hidden_remainder_x
      - .offset:         156
        .size:           2
        .value_kind:     hidden_remainder_y
      - .offset:         158
        .size:           2
        .value_kind:     hidden_remainder_z
      - .offset:         176
        .size:           8
        .value_kind:     hidden_global_offset_x
      - .offset:         184
        .size:           8
        .value_kind:     hidden_global_offset_y
      - .offset:         192
        .size:           8
        .value_kind:     hidden_global_offset_z
      - .offset:         200
        .size:           2
        .value_kind:     hidden_grid_dims
    .group_segment_fixed_size: 16384
    .kernarg_segment_align: 8
    .kernarg_segment_size: 392
    .language:       OpenCL C
    .language_version:
      - 2
      - 0
    .max_flat_workgroup_size: 1024
    .name:           _ZL30rocblas_trmm_outofplace_kernelI19rocblas_complex_numIfELi32ELi2ELb0ELb0ELb0ELb0ES1_KS1_S1_Ev17rocblas_diagonal_iiT6_lPT7_lllS6_lllPT8_llli
    .private_segment_fixed_size: 0
    .sgpr_count:     64
    .sgpr_spill_count: 0
    .symbol:         _ZL30rocblas_trmm_outofplace_kernelI19rocblas_complex_numIfELi32ELi2ELb0ELb0ELb0ELb0ES1_KS1_S1_Ev17rocblas_diagonal_iiT6_lPT7_lllS6_lllPT8_llli.kd
    .uniform_work_group_size: 1
    .uses_dynamic_stack: false
    .vgpr_count:     92
    .vgpr_spill_count: 0
    .wavefront_size: 32
    .workgroup_processor_mode: 1
  - .args:
      - .offset:         0
        .size:           4
        .value_kind:     by_value
      - .offset:         4
        .size:           4
        .value_kind:     by_value
      - .offset:         8
        .size:           4
        .value_kind:     by_value
      - .address_space:  global
        .offset:         16
        .size:           8
        .value_kind:     global_buffer
      - .offset:         24
        .size:           8
        .value_kind:     by_value
      - .address_space:  global
        .offset:         32
        .size:           8
        .value_kind:     global_buffer
      - .offset:         40
        .size:           8
        .value_kind:     by_value
      - .offset:         48
        .size:           8
        .value_kind:     by_value
      - .offset:         56
        .size:           8
        .value_kind:     by_value
      - .address_space:  global
        .offset:         64
        .size:           8
        .value_kind:     global_buffer
      - .offset:         72
        .size:           8
        .value_kind:     by_value
      - .offset:         80
        .size:           8
        .value_kind:     by_value
      - .offset:         88
        .size:           8
        .value_kind:     by_value
      - .address_space:  global
        .offset:         96
        .size:           8
        .value_kind:     global_buffer
      - .offset:         104
        .size:           8
        .value_kind:     by_value
      - .offset:         112
        .size:           8
        .value_kind:     by_value
      - .offset:         120
        .size:           8
        .value_kind:     by_value
      - .offset:         128
        .size:           4
        .value_kind:     by_value
      - .offset:         136
        .size:           4
        .value_kind:     hidden_block_count_x
      - .offset:         140
        .size:           4
        .value_kind:     hidden_block_count_y
      - .offset:         144
        .size:           4
        .value_kind:     hidden_block_count_z
      - .offset:         148
        .size:           2
        .value_kind:     hidden_group_size_x
      - .offset:         150
        .size:           2
        .value_kind:     hidden_group_size_y
      - .offset:         152
        .size:           2
        .value_kind:     hidden_group_size_z
      - .offset:         154
        .size:           2
        .value_kind:     hidden_remainder_x
      - .offset:         156
        .size:           2
        .value_kind:     hidden_remainder_y
      - .offset:         158
        .size:           2
        .value_kind:     hidden_remainder_z
      - .offset:         176
        .size:           8
        .value_kind:     hidden_global_offset_x
      - .offset:         184
        .size:           8
        .value_kind:     hidden_global_offset_y
      - .offset:         192
        .size:           8
        .value_kind:     hidden_global_offset_z
      - .offset:         200
        .size:           2
        .value_kind:     hidden_grid_dims
    .group_segment_fixed_size: 16384
    .kernarg_segment_align: 8
    .kernarg_segment_size: 392
    .language:       OpenCL C
    .language_version:
      - 2
      - 0
    .max_flat_workgroup_size: 1024
    .name:           _ZL30rocblas_trmm_outofplace_kernelI19rocblas_complex_numIfELi32ELi2ELb0ELb1ELb0ELb0EPKS1_S2_S1_Ev17rocblas_diagonal_iiT6_lPT7_lllS7_lllPT8_llli
    .private_segment_fixed_size: 0
    .sgpr_count:     62
    .sgpr_spill_count: 0
    .symbol:         _ZL30rocblas_trmm_outofplace_kernelI19rocblas_complex_numIfELi32ELi2ELb0ELb1ELb0ELb0EPKS1_S2_S1_Ev17rocblas_diagonal_iiT6_lPT7_lllS7_lllPT8_llli.kd
    .uniform_work_group_size: 1
    .uses_dynamic_stack: false
    .vgpr_count:     92
    .vgpr_spill_count: 0
    .wavefront_size: 32
    .workgroup_processor_mode: 1
  - .args:
      - .offset:         0
        .size:           4
        .value_kind:     by_value
      - .offset:         4
        .size:           4
        .value_kind:     by_value
      - .offset:         8
        .size:           4
        .value_kind:     by_value
      - .offset:         12
        .size:           8
        .value_kind:     by_value
      - .offset:         24
        .size:           8
        .value_kind:     by_value
      - .address_space:  global
        .offset:         32
        .size:           8
        .value_kind:     global_buffer
      - .offset:         40
        .size:           8
        .value_kind:     by_value
      - .offset:         48
        .size:           8
        .value_kind:     by_value
      - .offset:         56
        .size:           8
        .value_kind:     by_value
      - .address_space:  global
        .offset:         64
        .size:           8
        .value_kind:     global_buffer
      - .offset:         72
        .size:           8
        .value_kind:     by_value
      - .offset:         80
        .size:           8
        .value_kind:     by_value
      - .offset:         88
        .size:           8
        .value_kind:     by_value
      - .address_space:  global
        .offset:         96
        .size:           8
        .value_kind:     global_buffer
      - .offset:         104
        .size:           8
        .value_kind:     by_value
      - .offset:         112
        .size:           8
        .value_kind:     by_value
      - .offset:         120
        .size:           8
        .value_kind:     by_value
      - .offset:         128
        .size:           4
        .value_kind:     by_value
      - .offset:         136
        .size:           4
        .value_kind:     hidden_block_count_x
      - .offset:         140
        .size:           4
        .value_kind:     hidden_block_count_y
      - .offset:         144
        .size:           4
        .value_kind:     hidden_block_count_z
      - .offset:         148
        .size:           2
        .value_kind:     hidden_group_size_x
      - .offset:         150
        .size:           2
        .value_kind:     hidden_group_size_y
      - .offset:         152
        .size:           2
        .value_kind:     hidden_group_size_z
      - .offset:         154
        .size:           2
        .value_kind:     hidden_remainder_x
      - .offset:         156
        .size:           2
        .value_kind:     hidden_remainder_y
      - .offset:         158
        .size:           2
        .value_kind:     hidden_remainder_z
      - .offset:         176
        .size:           8
        .value_kind:     hidden_global_offset_x
      - .offset:         184
        .size:           8
        .value_kind:     hidden_global_offset_y
      - .offset:         192
        .size:           8
        .value_kind:     hidden_global_offset_z
      - .offset:         200
        .size:           2
        .value_kind:     hidden_grid_dims
    .group_segment_fixed_size: 16384
    .kernarg_segment_align: 8
    .kernarg_segment_size: 392
    .language:       OpenCL C
    .language_version:
      - 2
      - 0
    .max_flat_workgroup_size: 1024
    .name:           _ZL30rocblas_trmm_outofplace_kernelI19rocblas_complex_numIfELi32ELi2ELb0ELb1ELb0ELb0ES1_KS1_S1_Ev17rocblas_diagonal_iiT6_lPT7_lllS6_lllPT8_llli
    .private_segment_fixed_size: 0
    .sgpr_count:     60
    .sgpr_spill_count: 0
    .symbol:         _ZL30rocblas_trmm_outofplace_kernelI19rocblas_complex_numIfELi32ELi2ELb0ELb1ELb0ELb0ES1_KS1_S1_Ev17rocblas_diagonal_iiT6_lPT7_lllS6_lllPT8_llli.kd
    .uniform_work_group_size: 1
    .uses_dynamic_stack: false
    .vgpr_count:     90
    .vgpr_spill_count: 0
    .wavefront_size: 32
    .workgroup_processor_mode: 1
  - .args:
      - .offset:         0
        .size:           4
        .value_kind:     by_value
      - .offset:         4
        .size:           4
        .value_kind:     by_value
      - .offset:         8
        .size:           4
        .value_kind:     by_value
      - .address_space:  global
        .offset:         16
        .size:           8
        .value_kind:     global_buffer
      - .offset:         24
        .size:           8
        .value_kind:     by_value
      - .address_space:  global
        .offset:         32
        .size:           8
        .value_kind:     global_buffer
      - .offset:         40
        .size:           8
        .value_kind:     by_value
      - .offset:         48
        .size:           8
        .value_kind:     by_value
      - .offset:         56
        .size:           8
        .value_kind:     by_value
      - .address_space:  global
        .offset:         64
        .size:           8
        .value_kind:     global_buffer
      - .offset:         72
        .size:           8
        .value_kind:     by_value
      - .offset:         80
        .size:           8
        .value_kind:     by_value
      - .offset:         88
        .size:           8
        .value_kind:     by_value
      - .address_space:  global
        .offset:         96
        .size:           8
        .value_kind:     global_buffer
      - .offset:         104
        .size:           8
        .value_kind:     by_value
      - .offset:         112
        .size:           8
        .value_kind:     by_value
      - .offset:         120
        .size:           8
        .value_kind:     by_value
      - .offset:         128
        .size:           4
        .value_kind:     by_value
      - .offset:         136
        .size:           4
        .value_kind:     hidden_block_count_x
      - .offset:         140
        .size:           4
        .value_kind:     hidden_block_count_y
      - .offset:         144
        .size:           4
        .value_kind:     hidden_block_count_z
      - .offset:         148
        .size:           2
        .value_kind:     hidden_group_size_x
      - .offset:         150
        .size:           2
        .value_kind:     hidden_group_size_y
      - .offset:         152
        .size:           2
        .value_kind:     hidden_group_size_z
      - .offset:         154
        .size:           2
        .value_kind:     hidden_remainder_x
      - .offset:         156
        .size:           2
        .value_kind:     hidden_remainder_y
      - .offset:         158
        .size:           2
        .value_kind:     hidden_remainder_z
      - .offset:         176
        .size:           8
        .value_kind:     hidden_global_offset_x
      - .offset:         184
        .size:           8
        .value_kind:     hidden_global_offset_y
      - .offset:         192
        .size:           8
        .value_kind:     hidden_global_offset_z
      - .offset:         200
        .size:           2
        .value_kind:     hidden_grid_dims
    .group_segment_fixed_size: 16384
    .kernarg_segment_align: 8
    .kernarg_segment_size: 392
    .language:       OpenCL C
    .language_version:
      - 2
      - 0
    .max_flat_workgroup_size: 1024
    .name:           _ZL30rocblas_trmm_outofplace_kernelI19rocblas_complex_numIfELi32ELi2ELb0ELb0ELb1ELb0EPKS1_S2_S1_Ev17rocblas_diagonal_iiT6_lPT7_lllS7_lllPT8_llli
    .private_segment_fixed_size: 0
    .sgpr_count:     56
    .sgpr_spill_count: 0
    .symbol:         _ZL30rocblas_trmm_outofplace_kernelI19rocblas_complex_numIfELi32ELi2ELb0ELb0ELb1ELb0EPKS1_S2_S1_Ev17rocblas_diagonal_iiT6_lPT7_lllS7_lllPT8_llli.kd
    .uniform_work_group_size: 1
    .uses_dynamic_stack: false
    .vgpr_count:     101
    .vgpr_spill_count: 0
    .wavefront_size: 32
    .workgroup_processor_mode: 1
  - .args:
      - .offset:         0
        .size:           4
        .value_kind:     by_value
      - .offset:         4
        .size:           4
        .value_kind:     by_value
      - .offset:         8
        .size:           4
        .value_kind:     by_value
      - .offset:         12
        .size:           8
        .value_kind:     by_value
      - .offset:         24
        .size:           8
        .value_kind:     by_value
      - .address_space:  global
        .offset:         32
        .size:           8
        .value_kind:     global_buffer
      - .offset:         40
        .size:           8
        .value_kind:     by_value
      - .offset:         48
        .size:           8
        .value_kind:     by_value
      - .offset:         56
        .size:           8
        .value_kind:     by_value
      - .address_space:  global
        .offset:         64
        .size:           8
        .value_kind:     global_buffer
      - .offset:         72
        .size:           8
        .value_kind:     by_value
      - .offset:         80
        .size:           8
        .value_kind:     by_value
      - .offset:         88
        .size:           8
        .value_kind:     by_value
      - .address_space:  global
        .offset:         96
        .size:           8
        .value_kind:     global_buffer
      - .offset:         104
        .size:           8
        .value_kind:     by_value
      - .offset:         112
        .size:           8
        .value_kind:     by_value
      - .offset:         120
        .size:           8
        .value_kind:     by_value
      - .offset:         128
        .size:           4
        .value_kind:     by_value
      - .offset:         136
        .size:           4
        .value_kind:     hidden_block_count_x
      - .offset:         140
        .size:           4
        .value_kind:     hidden_block_count_y
      - .offset:         144
        .size:           4
        .value_kind:     hidden_block_count_z
      - .offset:         148
        .size:           2
        .value_kind:     hidden_group_size_x
      - .offset:         150
        .size:           2
        .value_kind:     hidden_group_size_y
      - .offset:         152
        .size:           2
        .value_kind:     hidden_group_size_z
      - .offset:         154
        .size:           2
        .value_kind:     hidden_remainder_x
      - .offset:         156
        .size:           2
        .value_kind:     hidden_remainder_y
      - .offset:         158
        .size:           2
        .value_kind:     hidden_remainder_z
      - .offset:         176
        .size:           8
        .value_kind:     hidden_global_offset_x
      - .offset:         184
        .size:           8
        .value_kind:     hidden_global_offset_y
      - .offset:         192
        .size:           8
        .value_kind:     hidden_global_offset_z
      - .offset:         200
        .size:           2
        .value_kind:     hidden_grid_dims
    .group_segment_fixed_size: 16384
    .kernarg_segment_align: 8
    .kernarg_segment_size: 392
    .language:       OpenCL C
    .language_version:
      - 2
      - 0
    .max_flat_workgroup_size: 1024
    .name:           _ZL30rocblas_trmm_outofplace_kernelI19rocblas_complex_numIfELi32ELi2ELb0ELb0ELb1ELb0ES1_KS1_S1_Ev17rocblas_diagonal_iiT6_lPT7_lllS6_lllPT8_llli
    .private_segment_fixed_size: 0
    .sgpr_count:     54
    .sgpr_spill_count: 0
    .symbol:         _ZL30rocblas_trmm_outofplace_kernelI19rocblas_complex_numIfELi32ELi2ELb0ELb0ELb1ELb0ES1_KS1_S1_Ev17rocblas_diagonal_iiT6_lPT7_lllS6_lllPT8_llli.kd
    .uniform_work_group_size: 1
    .uses_dynamic_stack: false
    .vgpr_count:     99
    .vgpr_spill_count: 0
    .wavefront_size: 32
    .workgroup_processor_mode: 1
  - .args:
      - .offset:         0
        .size:           4
        .value_kind:     by_value
      - .offset:         4
        .size:           4
        .value_kind:     by_value
      - .offset:         8
        .size:           4
        .value_kind:     by_value
      - .address_space:  global
        .offset:         16
        .size:           8
        .value_kind:     global_buffer
      - .offset:         24
        .size:           8
        .value_kind:     by_value
      - .address_space:  global
        .offset:         32
        .size:           8
        .value_kind:     global_buffer
      - .offset:         40
        .size:           8
        .value_kind:     by_value
      - .offset:         48
        .size:           8
        .value_kind:     by_value
      - .offset:         56
        .size:           8
        .value_kind:     by_value
      - .address_space:  global
        .offset:         64
        .size:           8
        .value_kind:     global_buffer
      - .offset:         72
        .size:           8
        .value_kind:     by_value
      - .offset:         80
        .size:           8
        .value_kind:     by_value
      - .offset:         88
        .size:           8
        .value_kind:     by_value
      - .address_space:  global
        .offset:         96
        .size:           8
        .value_kind:     global_buffer
      - .offset:         104
        .size:           8
        .value_kind:     by_value
      - .offset:         112
        .size:           8
        .value_kind:     by_value
      - .offset:         120
        .size:           8
        .value_kind:     by_value
      - .offset:         128
        .size:           4
        .value_kind:     by_value
      - .offset:         136
        .size:           4
        .value_kind:     hidden_block_count_x
      - .offset:         140
        .size:           4
        .value_kind:     hidden_block_count_y
      - .offset:         144
        .size:           4
        .value_kind:     hidden_block_count_z
      - .offset:         148
        .size:           2
        .value_kind:     hidden_group_size_x
      - .offset:         150
        .size:           2
        .value_kind:     hidden_group_size_y
      - .offset:         152
        .size:           2
        .value_kind:     hidden_group_size_z
      - .offset:         154
        .size:           2
        .value_kind:     hidden_remainder_x
      - .offset:         156
        .size:           2
        .value_kind:     hidden_remainder_y
      - .offset:         158
        .size:           2
        .value_kind:     hidden_remainder_z
      - .offset:         176
        .size:           8
        .value_kind:     hidden_global_offset_x
      - .offset:         184
        .size:           8
        .value_kind:     hidden_global_offset_y
      - .offset:         192
        .size:           8
        .value_kind:     hidden_global_offset_z
      - .offset:         200
        .size:           2
        .value_kind:     hidden_grid_dims
    .group_segment_fixed_size: 16384
    .kernarg_segment_align: 8
    .kernarg_segment_size: 392
    .language:       OpenCL C
    .language_version:
      - 2
      - 0
    .max_flat_workgroup_size: 1024
    .name:           _ZL30rocblas_trmm_outofplace_kernelI19rocblas_complex_numIfELi32ELi2ELb0ELb1ELb1ELb0EPKS1_S2_S1_Ev17rocblas_diagonal_iiT6_lPT7_lllS7_lllPT8_llli
    .private_segment_fixed_size: 0
    .sgpr_count:     68
    .sgpr_spill_count: 0
    .symbol:         _ZL30rocblas_trmm_outofplace_kernelI19rocblas_complex_numIfELi32ELi2ELb0ELb1ELb1ELb0EPKS1_S2_S1_Ev17rocblas_diagonal_iiT6_lPT7_lllS7_lllPT8_llli.kd
    .uniform_work_group_size: 1
    .uses_dynamic_stack: false
    .vgpr_count:     94
    .vgpr_spill_count: 0
    .wavefront_size: 32
    .workgroup_processor_mode: 1
  - .args:
      - .offset:         0
        .size:           4
        .value_kind:     by_value
      - .offset:         4
        .size:           4
        .value_kind:     by_value
      - .offset:         8
        .size:           4
        .value_kind:     by_value
      - .offset:         12
        .size:           8
        .value_kind:     by_value
      - .offset:         24
        .size:           8
        .value_kind:     by_value
      - .address_space:  global
        .offset:         32
        .size:           8
        .value_kind:     global_buffer
      - .offset:         40
        .size:           8
        .value_kind:     by_value
      - .offset:         48
        .size:           8
        .value_kind:     by_value
      - .offset:         56
        .size:           8
        .value_kind:     by_value
      - .address_space:  global
        .offset:         64
        .size:           8
        .value_kind:     global_buffer
      - .offset:         72
        .size:           8
        .value_kind:     by_value
      - .offset:         80
        .size:           8
        .value_kind:     by_value
      - .offset:         88
        .size:           8
        .value_kind:     by_value
      - .address_space:  global
        .offset:         96
        .size:           8
        .value_kind:     global_buffer
      - .offset:         104
        .size:           8
        .value_kind:     by_value
      - .offset:         112
        .size:           8
        .value_kind:     by_value
      - .offset:         120
        .size:           8
        .value_kind:     by_value
      - .offset:         128
        .size:           4
        .value_kind:     by_value
      - .offset:         136
        .size:           4
        .value_kind:     hidden_block_count_x
      - .offset:         140
        .size:           4
        .value_kind:     hidden_block_count_y
      - .offset:         144
        .size:           4
        .value_kind:     hidden_block_count_z
      - .offset:         148
        .size:           2
        .value_kind:     hidden_group_size_x
      - .offset:         150
        .size:           2
        .value_kind:     hidden_group_size_y
      - .offset:         152
        .size:           2
        .value_kind:     hidden_group_size_z
      - .offset:         154
        .size:           2
        .value_kind:     hidden_remainder_x
      - .offset:         156
        .size:           2
        .value_kind:     hidden_remainder_y
      - .offset:         158
        .size:           2
        .value_kind:     hidden_remainder_z
      - .offset:         176
        .size:           8
        .value_kind:     hidden_global_offset_x
      - .offset:         184
        .size:           8
        .value_kind:     hidden_global_offset_y
      - .offset:         192
        .size:           8
        .value_kind:     hidden_global_offset_z
      - .offset:         200
        .size:           2
        .value_kind:     hidden_grid_dims
    .group_segment_fixed_size: 16384
    .kernarg_segment_align: 8
    .kernarg_segment_size: 392
    .language:       OpenCL C
    .language_version:
      - 2
      - 0
    .max_flat_workgroup_size: 1024
    .name:           _ZL30rocblas_trmm_outofplace_kernelI19rocblas_complex_numIfELi32ELi2ELb0ELb1ELb1ELb0ES1_KS1_S1_Ev17rocblas_diagonal_iiT6_lPT7_lllS6_lllPT8_llli
    .private_segment_fixed_size: 0
    .sgpr_count:     66
    .sgpr_spill_count: 0
    .symbol:         _ZL30rocblas_trmm_outofplace_kernelI19rocblas_complex_numIfELi32ELi2ELb0ELb1ELb1ELb0ES1_KS1_S1_Ev17rocblas_diagonal_iiT6_lPT7_lllS6_lllPT8_llli.kd
    .uniform_work_group_size: 1
    .uses_dynamic_stack: false
    .vgpr_count:     92
    .vgpr_spill_count: 0
    .wavefront_size: 32
    .workgroup_processor_mode: 1
  - .args:
      - .offset:         0
        .size:           4
        .value_kind:     by_value
      - .offset:         4
        .size:           4
        .value_kind:     by_value
      - .offset:         8
        .size:           4
        .value_kind:     by_value
      - .address_space:  global
        .offset:         16
        .size:           8
        .value_kind:     global_buffer
      - .offset:         24
        .size:           8
        .value_kind:     by_value
      - .address_space:  global
        .offset:         32
        .size:           8
        .value_kind:     global_buffer
      - .offset:         40
        .size:           8
        .value_kind:     by_value
      - .offset:         48
        .size:           8
        .value_kind:     by_value
      - .offset:         56
        .size:           8
        .value_kind:     by_value
      - .address_space:  global
        .offset:         64
        .size:           8
        .value_kind:     global_buffer
      - .offset:         72
        .size:           8
        .value_kind:     by_value
      - .offset:         80
        .size:           8
        .value_kind:     by_value
      - .offset:         88
        .size:           8
        .value_kind:     by_value
      - .address_space:  global
        .offset:         96
        .size:           8
        .value_kind:     global_buffer
      - .offset:         104
        .size:           8
        .value_kind:     by_value
      - .offset:         112
        .size:           8
        .value_kind:     by_value
      - .offset:         120
        .size:           8
        .value_kind:     by_value
      - .offset:         128
        .size:           4
        .value_kind:     by_value
      - .offset:         136
        .size:           4
        .value_kind:     hidden_block_count_x
      - .offset:         140
        .size:           4
        .value_kind:     hidden_block_count_y
      - .offset:         144
        .size:           4
        .value_kind:     hidden_block_count_z
      - .offset:         148
        .size:           2
        .value_kind:     hidden_group_size_x
      - .offset:         150
        .size:           2
        .value_kind:     hidden_group_size_y
      - .offset:         152
        .size:           2
        .value_kind:     hidden_group_size_z
      - .offset:         154
        .size:           2
        .value_kind:     hidden_remainder_x
      - .offset:         156
        .size:           2
        .value_kind:     hidden_remainder_y
      - .offset:         158
        .size:           2
        .value_kind:     hidden_remainder_z
      - .offset:         176
        .size:           8
        .value_kind:     hidden_global_offset_x
      - .offset:         184
        .size:           8
        .value_kind:     hidden_global_offset_y
      - .offset:         192
        .size:           8
        .value_kind:     hidden_global_offset_z
      - .offset:         200
        .size:           2
        .value_kind:     hidden_grid_dims
    .group_segment_fixed_size: 16384
    .kernarg_segment_align: 8
    .kernarg_segment_size: 392
    .language:       OpenCL C
    .language_version:
      - 2
      - 0
    .max_flat_workgroup_size: 1024
    .name:           _ZL30rocblas_trmm_outofplace_kernelI19rocblas_complex_numIfELi32ELi2ELb0ELb0ELb1ELb1EPKS1_S2_S1_Ev17rocblas_diagonal_iiT6_lPT7_lllS7_lllPT8_llli
    .private_segment_fixed_size: 0
    .sgpr_count:     56
    .sgpr_spill_count: 0
    .symbol:         _ZL30rocblas_trmm_outofplace_kernelI19rocblas_complex_numIfELi32ELi2ELb0ELb0ELb1ELb1EPKS1_S2_S1_Ev17rocblas_diagonal_iiT6_lPT7_lllS7_lllPT8_llli.kd
    .uniform_work_group_size: 1
    .uses_dynamic_stack: false
    .vgpr_count:     86
    .vgpr_spill_count: 0
    .wavefront_size: 32
    .workgroup_processor_mode: 1
  - .args:
      - .offset:         0
        .size:           4
        .value_kind:     by_value
      - .offset:         4
        .size:           4
        .value_kind:     by_value
      - .offset:         8
        .size:           4
        .value_kind:     by_value
      - .offset:         12
        .size:           8
        .value_kind:     by_value
      - .offset:         24
        .size:           8
        .value_kind:     by_value
      - .address_space:  global
        .offset:         32
        .size:           8
        .value_kind:     global_buffer
      - .offset:         40
        .size:           8
        .value_kind:     by_value
      - .offset:         48
        .size:           8
        .value_kind:     by_value
      - .offset:         56
        .size:           8
        .value_kind:     by_value
      - .address_space:  global
        .offset:         64
        .size:           8
        .value_kind:     global_buffer
      - .offset:         72
        .size:           8
        .value_kind:     by_value
      - .offset:         80
        .size:           8
        .value_kind:     by_value
      - .offset:         88
        .size:           8
        .value_kind:     by_value
      - .address_space:  global
        .offset:         96
        .size:           8
        .value_kind:     global_buffer
      - .offset:         104
        .size:           8
        .value_kind:     by_value
      - .offset:         112
        .size:           8
        .value_kind:     by_value
      - .offset:         120
        .size:           8
        .value_kind:     by_value
      - .offset:         128
        .size:           4
        .value_kind:     by_value
      - .offset:         136
        .size:           4
        .value_kind:     hidden_block_count_x
      - .offset:         140
        .size:           4
        .value_kind:     hidden_block_count_y
      - .offset:         144
        .size:           4
        .value_kind:     hidden_block_count_z
      - .offset:         148
        .size:           2
        .value_kind:     hidden_group_size_x
      - .offset:         150
        .size:           2
        .value_kind:     hidden_group_size_y
      - .offset:         152
        .size:           2
        .value_kind:     hidden_group_size_z
      - .offset:         154
        .size:           2
        .value_kind:     hidden_remainder_x
      - .offset:         156
        .size:           2
        .value_kind:     hidden_remainder_y
      - .offset:         158
        .size:           2
        .value_kind:     hidden_remainder_z
      - .offset:         176
        .size:           8
        .value_kind:     hidden_global_offset_x
      - .offset:         184
        .size:           8
        .value_kind:     hidden_global_offset_y
      - .offset:         192
        .size:           8
        .value_kind:     hidden_global_offset_z
      - .offset:         200
        .size:           2
        .value_kind:     hidden_grid_dims
    .group_segment_fixed_size: 16384
    .kernarg_segment_align: 8
    .kernarg_segment_size: 392
    .language:       OpenCL C
    .language_version:
      - 2
      - 0
    .max_flat_workgroup_size: 1024
    .name:           _ZL30rocblas_trmm_outofplace_kernelI19rocblas_complex_numIfELi32ELi2ELb0ELb0ELb1ELb1ES1_KS1_S1_Ev17rocblas_diagonal_iiT6_lPT7_lllS6_lllPT8_llli
    .private_segment_fixed_size: 0
    .sgpr_count:     54
    .sgpr_spill_count: 0
    .symbol:         _ZL30rocblas_trmm_outofplace_kernelI19rocblas_complex_numIfELi32ELi2ELb0ELb0ELb1ELb1ES1_KS1_S1_Ev17rocblas_diagonal_iiT6_lPT7_lllS6_lllPT8_llli.kd
    .uniform_work_group_size: 1
    .uses_dynamic_stack: false
    .vgpr_count:     84
    .vgpr_spill_count: 0
    .wavefront_size: 32
    .workgroup_processor_mode: 1
  - .args:
      - .offset:         0
        .size:           4
        .value_kind:     by_value
      - .offset:         4
        .size:           4
        .value_kind:     by_value
      - .offset:         8
        .size:           4
        .value_kind:     by_value
      - .address_space:  global
        .offset:         16
        .size:           8
        .value_kind:     global_buffer
      - .offset:         24
        .size:           8
        .value_kind:     by_value
      - .address_space:  global
        .offset:         32
        .size:           8
        .value_kind:     global_buffer
      - .offset:         40
        .size:           8
        .value_kind:     by_value
      - .offset:         48
        .size:           8
        .value_kind:     by_value
      - .offset:         56
        .size:           8
        .value_kind:     by_value
      - .address_space:  global
        .offset:         64
        .size:           8
        .value_kind:     global_buffer
      - .offset:         72
        .size:           8
        .value_kind:     by_value
      - .offset:         80
        .size:           8
        .value_kind:     by_value
      - .offset:         88
        .size:           8
        .value_kind:     by_value
      - .address_space:  global
        .offset:         96
        .size:           8
        .value_kind:     global_buffer
      - .offset:         104
        .size:           8
        .value_kind:     by_value
      - .offset:         112
        .size:           8
        .value_kind:     by_value
      - .offset:         120
        .size:           8
        .value_kind:     by_value
      - .offset:         128
        .size:           4
        .value_kind:     by_value
      - .offset:         136
        .size:           4
        .value_kind:     hidden_block_count_x
      - .offset:         140
        .size:           4
        .value_kind:     hidden_block_count_y
      - .offset:         144
        .size:           4
        .value_kind:     hidden_block_count_z
      - .offset:         148
        .size:           2
        .value_kind:     hidden_group_size_x
      - .offset:         150
        .size:           2
        .value_kind:     hidden_group_size_y
      - .offset:         152
        .size:           2
        .value_kind:     hidden_group_size_z
      - .offset:         154
        .size:           2
        .value_kind:     hidden_remainder_x
      - .offset:         156
        .size:           2
        .value_kind:     hidden_remainder_y
      - .offset:         158
        .size:           2
        .value_kind:     hidden_remainder_z
      - .offset:         176
        .size:           8
        .value_kind:     hidden_global_offset_x
      - .offset:         184
        .size:           8
        .value_kind:     hidden_global_offset_y
      - .offset:         192
        .size:           8
        .value_kind:     hidden_global_offset_z
      - .offset:         200
        .size:           2
        .value_kind:     hidden_grid_dims
    .group_segment_fixed_size: 16384
    .kernarg_segment_align: 8
    .kernarg_segment_size: 392
    .language:       OpenCL C
    .language_version:
      - 2
      - 0
    .max_flat_workgroup_size: 1024
    .name:           _ZL30rocblas_trmm_outofplace_kernelI19rocblas_complex_numIfELi32ELi2ELb0ELb1ELb1ELb1EPKS1_S2_S1_Ev17rocblas_diagonal_iiT6_lPT7_lllS7_lllPT8_llli
    .private_segment_fixed_size: 0
    .sgpr_count:     72
    .sgpr_spill_count: 0
    .symbol:         _ZL30rocblas_trmm_outofplace_kernelI19rocblas_complex_numIfELi32ELi2ELb0ELb1ELb1ELb1EPKS1_S2_S1_Ev17rocblas_diagonal_iiT6_lPT7_lllS7_lllPT8_llli.kd
    .uniform_work_group_size: 1
    .uses_dynamic_stack: false
    .vgpr_count:     94
    .vgpr_spill_count: 0
    .wavefront_size: 32
    .workgroup_processor_mode: 1
  - .args:
      - .offset:         0
        .size:           4
        .value_kind:     by_value
      - .offset:         4
        .size:           4
        .value_kind:     by_value
      - .offset:         8
        .size:           4
        .value_kind:     by_value
      - .offset:         12
        .size:           8
        .value_kind:     by_value
      - .offset:         24
        .size:           8
        .value_kind:     by_value
      - .address_space:  global
        .offset:         32
        .size:           8
        .value_kind:     global_buffer
      - .offset:         40
        .size:           8
        .value_kind:     by_value
      - .offset:         48
        .size:           8
        .value_kind:     by_value
      - .offset:         56
        .size:           8
        .value_kind:     by_value
      - .address_space:  global
        .offset:         64
        .size:           8
        .value_kind:     global_buffer
      - .offset:         72
        .size:           8
        .value_kind:     by_value
      - .offset:         80
        .size:           8
        .value_kind:     by_value
      - .offset:         88
        .size:           8
        .value_kind:     by_value
      - .address_space:  global
        .offset:         96
        .size:           8
        .value_kind:     global_buffer
      - .offset:         104
        .size:           8
        .value_kind:     by_value
      - .offset:         112
        .size:           8
        .value_kind:     by_value
      - .offset:         120
        .size:           8
        .value_kind:     by_value
      - .offset:         128
        .size:           4
        .value_kind:     by_value
      - .offset:         136
        .size:           4
        .value_kind:     hidden_block_count_x
      - .offset:         140
        .size:           4
        .value_kind:     hidden_block_count_y
      - .offset:         144
        .size:           4
        .value_kind:     hidden_block_count_z
      - .offset:         148
        .size:           2
        .value_kind:     hidden_group_size_x
      - .offset:         150
        .size:           2
        .value_kind:     hidden_group_size_y
      - .offset:         152
        .size:           2
        .value_kind:     hidden_group_size_z
      - .offset:         154
        .size:           2
        .value_kind:     hidden_remainder_x
      - .offset:         156
        .size:           2
        .value_kind:     hidden_remainder_y
      - .offset:         158
        .size:           2
        .value_kind:     hidden_remainder_z
      - .offset:         176
        .size:           8
        .value_kind:     hidden_global_offset_x
      - .offset:         184
        .size:           8
        .value_kind:     hidden_global_offset_y
      - .offset:         192
        .size:           8
        .value_kind:     hidden_global_offset_z
      - .offset:         200
        .size:           2
        .value_kind:     hidden_grid_dims
    .group_segment_fixed_size: 16384
    .kernarg_segment_align: 8
    .kernarg_segment_size: 392
    .language:       OpenCL C
    .language_version:
      - 2
      - 0
    .max_flat_workgroup_size: 1024
    .name:           _ZL30rocblas_trmm_outofplace_kernelI19rocblas_complex_numIfELi32ELi2ELb0ELb1ELb1ELb1ES1_KS1_S1_Ev17rocblas_diagonal_iiT6_lPT7_lllS6_lllPT8_llli
    .private_segment_fixed_size: 0
    .sgpr_count:     70
    .sgpr_spill_count: 0
    .symbol:         _ZL30rocblas_trmm_outofplace_kernelI19rocblas_complex_numIfELi32ELi2ELb0ELb1ELb1ELb1ES1_KS1_S1_Ev17rocblas_diagonal_iiT6_lPT7_lllS6_lllPT8_llli.kd
    .uniform_work_group_size: 1
    .uses_dynamic_stack: false
    .vgpr_count:     92
    .vgpr_spill_count: 0
    .wavefront_size: 32
    .workgroup_processor_mode: 1
  - .args:
      - .offset:         0
        .size:           4
        .value_kind:     by_value
      - .offset:         4
        .size:           4
        .value_kind:     by_value
      - .offset:         8
        .size:           4
        .value_kind:     by_value
      - .offset:         12
        .size:           4
        .value_kind:     by_value
      - .address_space:  global
        .offset:         16
        .size:           8
        .value_kind:     global_buffer
      - .offset:         24
        .size:           8
        .value_kind:     by_value
      - .address_space:  global
        .offset:         32
        .size:           8
        .value_kind:     global_buffer
      - .offset:         40
        .size:           8
        .value_kind:     by_value
      - .offset:         48
        .size:           8
        .value_kind:     by_value
      - .address_space:  global
        .offset:         56
        .size:           8
        .value_kind:     global_buffer
      - .offset:         64
        .size:           8
        .value_kind:     by_value
      - .offset:         72
        .size:           8
        .value_kind:     by_value
      - .address_space:  global
        .offset:         80
        .size:           8
        .value_kind:     global_buffer
      - .offset:         88
        .size:           8
        .value_kind:     by_value
      - .offset:         96
        .size:           8
        .value_kind:     by_value
      - .offset:         104
        .size:           4
        .value_kind:     by_value
    .group_segment_fixed_size: 4096
    .kernarg_segment_align: 8
    .kernarg_segment_size: 108
    .language:       OpenCL C
    .language_version:
      - 2
      - 0
    .max_flat_workgroup_size: 256
    .name:           _ZL23rocblas_trmm_lNx_kernelILi16E19rocblas_complex_numIfEPKS1_S2_S1_Ev13rocblas_fill_17rocblas_diagonal_iiT1_lPT2_llS8_llPT3_lli
    .private_segment_fixed_size: 0
    .sgpr_count:     34
    .sgpr_spill_count: 0
    .symbol:         _ZL23rocblas_trmm_lNx_kernelILi16E19rocblas_complex_numIfEPKS1_S2_S1_Ev13rocblas_fill_17rocblas_diagonal_iiT1_lPT2_llS8_llPT3_lli.kd
    .uniform_work_group_size: 1
    .uses_dynamic_stack: false
    .vgpr_count:     89
    .vgpr_spill_count: 0
    .wavefront_size: 32
    .workgroup_processor_mode: 1
  - .args:
      - .offset:         0
        .size:           4
        .value_kind:     by_value
      - .offset:         4
        .size:           4
        .value_kind:     by_value
      - .offset:         8
        .size:           4
        .value_kind:     by_value
      - .offset:         12
        .size:           4
        .value_kind:     by_value
      - .offset:         16
        .size:           8
        .value_kind:     by_value
      - .offset:         24
        .size:           8
        .value_kind:     by_value
      - .address_space:  global
        .offset:         32
        .size:           8
        .value_kind:     global_buffer
      - .offset:         40
        .size:           8
        .value_kind:     by_value
      - .offset:         48
        .size:           8
        .value_kind:     by_value
      - .address_space:  global
        .offset:         56
        .size:           8
        .value_kind:     global_buffer
      - .offset:         64
        .size:           8
        .value_kind:     by_value
      - .offset:         72
        .size:           8
        .value_kind:     by_value
      - .address_space:  global
        .offset:         80
        .size:           8
        .value_kind:     global_buffer
      - .offset:         88
        .size:           8
        .value_kind:     by_value
      - .offset:         96
        .size:           8
        .value_kind:     by_value
      - .offset:         104
        .size:           4
        .value_kind:     by_value
    .group_segment_fixed_size: 4096
    .kernarg_segment_align: 8
    .kernarg_segment_size: 108
    .language:       OpenCL C
    .language_version:
      - 2
      - 0
    .max_flat_workgroup_size: 256
    .name:           _ZL23rocblas_trmm_lNx_kernelILi16E19rocblas_complex_numIfES1_KS1_S1_Ev13rocblas_fill_17rocblas_diagonal_iiT1_lPT2_llS7_llPT3_lli
    .private_segment_fixed_size: 0
    .sgpr_count:     32
    .sgpr_spill_count: 0
    .symbol:         _ZL23rocblas_trmm_lNx_kernelILi16E19rocblas_complex_numIfES1_KS1_S1_Ev13rocblas_fill_17rocblas_diagonal_iiT1_lPT2_llS7_llPT3_lli.kd
    .uniform_work_group_size: 1
    .uses_dynamic_stack: false
    .vgpr_count:     87
    .vgpr_spill_count: 0
    .wavefront_size: 32
    .workgroup_processor_mode: 1
  - .args:
      - .offset:         0
        .size:           4
        .value_kind:     by_value
      - .offset:         4
        .size:           4
        .value_kind:     by_value
      - .offset:         8
        .size:           4
        .value_kind:     by_value
      - .offset:         12
        .size:           4
        .value_kind:     by_value
      - .address_space:  global
        .offset:         16
        .size:           8
        .value_kind:     global_buffer
      - .offset:         24
        .size:           8
        .value_kind:     by_value
      - .address_space:  global
        .offset:         32
        .size:           8
        .value_kind:     global_buffer
      - .offset:         40
        .size:           8
        .value_kind:     by_value
      - .offset:         48
        .size:           8
        .value_kind:     by_value
      - .address_space:  global
        .offset:         56
        .size:           8
        .value_kind:     global_buffer
      - .offset:         64
        .size:           8
        .value_kind:     by_value
      - .offset:         72
        .size:           8
        .value_kind:     by_value
      - .address_space:  global
        .offset:         80
        .size:           8
        .value_kind:     global_buffer
      - .offset:         88
        .size:           8
        .value_kind:     by_value
      - .offset:         96
        .size:           8
        .value_kind:     by_value
      - .offset:         104
        .size:           4
        .value_kind:     by_value
    .group_segment_fixed_size: 4096
    .kernarg_segment_align: 8
    .kernarg_segment_size: 108
    .language:       OpenCL C
    .language_version:
      - 2
      - 0
    .max_flat_workgroup_size: 256
    .name:           _ZL23rocblas_trmm_lTx_kernelILi16ELb0E19rocblas_complex_numIfEPKS1_S2_S1_Ev13rocblas_fill_17rocblas_diagonal_iiT2_lPT3_llS8_llPT4_lli
    .private_segment_fixed_size: 0
    .sgpr_count:     34
    .sgpr_spill_count: 0
    .symbol:         _ZL23rocblas_trmm_lTx_kernelILi16ELb0E19rocblas_complex_numIfEPKS1_S2_S1_Ev13rocblas_fill_17rocblas_diagonal_iiT2_lPT3_llS8_llPT4_lli.kd
    .uniform_work_group_size: 1
    .uses_dynamic_stack: false
    .vgpr_count:     90
    .vgpr_spill_count: 0
    .wavefront_size: 32
    .workgroup_processor_mode: 1
  - .args:
      - .offset:         0
        .size:           4
        .value_kind:     by_value
      - .offset:         4
        .size:           4
        .value_kind:     by_value
      - .offset:         8
        .size:           4
        .value_kind:     by_value
      - .offset:         12
        .size:           4
        .value_kind:     by_value
      - .offset:         16
        .size:           8
        .value_kind:     by_value
      - .offset:         24
        .size:           8
        .value_kind:     by_value
      - .address_space:  global
        .offset:         32
        .size:           8
        .value_kind:     global_buffer
      - .offset:         40
        .size:           8
        .value_kind:     by_value
      - .offset:         48
        .size:           8
        .value_kind:     by_value
      - .address_space:  global
        .offset:         56
        .size:           8
        .value_kind:     global_buffer
      - .offset:         64
        .size:           8
        .value_kind:     by_value
      - .offset:         72
        .size:           8
        .value_kind:     by_value
      - .address_space:  global
        .offset:         80
        .size:           8
        .value_kind:     global_buffer
      - .offset:         88
        .size:           8
        .value_kind:     by_value
      - .offset:         96
        .size:           8
        .value_kind:     by_value
      - .offset:         104
        .size:           4
        .value_kind:     by_value
    .group_segment_fixed_size: 4096
    .kernarg_segment_align: 8
    .kernarg_segment_size: 108
    .language:       OpenCL C
    .language_version:
      - 2
      - 0
    .max_flat_workgroup_size: 256
    .name:           _ZL23rocblas_trmm_lTx_kernelILi16ELb0E19rocblas_complex_numIfES1_KS1_S1_Ev13rocblas_fill_17rocblas_diagonal_iiT2_lPT3_llS7_llPT4_lli
    .private_segment_fixed_size: 0
    .sgpr_count:     32
    .sgpr_spill_count: 0
    .symbol:         _ZL23rocblas_trmm_lTx_kernelILi16ELb0E19rocblas_complex_numIfES1_KS1_S1_Ev13rocblas_fill_17rocblas_diagonal_iiT2_lPT3_llS7_llPT4_lli.kd
    .uniform_work_group_size: 1
    .uses_dynamic_stack: false
    .vgpr_count:     88
    .vgpr_spill_count: 0
    .wavefront_size: 32
    .workgroup_processor_mode: 1
  - .args:
      - .offset:         0
        .size:           4
        .value_kind:     by_value
      - .offset:         4
        .size:           4
        .value_kind:     by_value
      - .offset:         8
        .size:           4
        .value_kind:     by_value
      - .offset:         12
        .size:           4
        .value_kind:     by_value
      - .address_space:  global
        .offset:         16
        .size:           8
        .value_kind:     global_buffer
      - .offset:         24
        .size:           8
        .value_kind:     by_value
      - .address_space:  global
        .offset:         32
        .size:           8
        .value_kind:     global_buffer
      - .offset:         40
        .size:           8
        .value_kind:     by_value
      - .offset:         48
        .size:           8
        .value_kind:     by_value
      - .address_space:  global
        .offset:         56
        .size:           8
        .value_kind:     global_buffer
      - .offset:         64
        .size:           8
        .value_kind:     by_value
      - .offset:         72
        .size:           8
        .value_kind:     by_value
      - .address_space:  global
        .offset:         80
        .size:           8
        .value_kind:     global_buffer
      - .offset:         88
        .size:           8
        .value_kind:     by_value
      - .offset:         96
        .size:           8
        .value_kind:     by_value
      - .offset:         104
        .size:           4
        .value_kind:     by_value
    .group_segment_fixed_size: 4096
    .kernarg_segment_align: 8
    .kernarg_segment_size: 108
    .language:       OpenCL C
    .language_version:
      - 2
      - 0
    .max_flat_workgroup_size: 256
    .name:           _ZL23rocblas_trmm_lTx_kernelILi16ELb1E19rocblas_complex_numIfEPKS1_S2_S1_Ev13rocblas_fill_17rocblas_diagonal_iiT2_lPT3_llS8_llPT4_lli
    .private_segment_fixed_size: 0
    .sgpr_count:     34
    .sgpr_spill_count: 0
    .symbol:         _ZL23rocblas_trmm_lTx_kernelILi16ELb1E19rocblas_complex_numIfEPKS1_S2_S1_Ev13rocblas_fill_17rocblas_diagonal_iiT2_lPT3_llS8_llPT4_lli.kd
    .uniform_work_group_size: 1
    .uses_dynamic_stack: false
    .vgpr_count:     90
    .vgpr_spill_count: 0
    .wavefront_size: 32
    .workgroup_processor_mode: 1
  - .args:
      - .offset:         0
        .size:           4
        .value_kind:     by_value
      - .offset:         4
        .size:           4
        .value_kind:     by_value
      - .offset:         8
        .size:           4
        .value_kind:     by_value
      - .offset:         12
        .size:           4
        .value_kind:     by_value
      - .offset:         16
        .size:           8
        .value_kind:     by_value
      - .offset:         24
        .size:           8
        .value_kind:     by_value
      - .address_space:  global
        .offset:         32
        .size:           8
        .value_kind:     global_buffer
      - .offset:         40
        .size:           8
        .value_kind:     by_value
      - .offset:         48
        .size:           8
        .value_kind:     by_value
      - .address_space:  global
        .offset:         56
        .size:           8
        .value_kind:     global_buffer
      - .offset:         64
        .size:           8
        .value_kind:     by_value
      - .offset:         72
        .size:           8
        .value_kind:     by_value
      - .address_space:  global
        .offset:         80
        .size:           8
        .value_kind:     global_buffer
      - .offset:         88
        .size:           8
        .value_kind:     by_value
      - .offset:         96
        .size:           8
        .value_kind:     by_value
      - .offset:         104
        .size:           4
        .value_kind:     by_value
    .group_segment_fixed_size: 4096
    .kernarg_segment_align: 8
    .kernarg_segment_size: 108
    .language:       OpenCL C
    .language_version:
      - 2
      - 0
    .max_flat_workgroup_size: 256
    .name:           _ZL23rocblas_trmm_lTx_kernelILi16ELb1E19rocblas_complex_numIfES1_KS1_S1_Ev13rocblas_fill_17rocblas_diagonal_iiT2_lPT3_llS7_llPT4_lli
    .private_segment_fixed_size: 0
    .sgpr_count:     32
    .sgpr_spill_count: 0
    .symbol:         _ZL23rocblas_trmm_lTx_kernelILi16ELb1E19rocblas_complex_numIfES1_KS1_S1_Ev13rocblas_fill_17rocblas_diagonal_iiT2_lPT3_llS7_llPT4_lli.kd
    .uniform_work_group_size: 1
    .uses_dynamic_stack: false
    .vgpr_count:     88
    .vgpr_spill_count: 0
    .wavefront_size: 32
    .workgroup_processor_mode: 1
  - .args:
      - .offset:         0
        .size:           4
        .value_kind:     by_value
      - .offset:         4
        .size:           4
        .value_kind:     by_value
      - .offset:         8
        .size:           4
        .value_kind:     by_value
      - .offset:         12
        .size:           4
        .value_kind:     by_value
      - .address_space:  global
        .offset:         16
        .size:           8
        .value_kind:     global_buffer
      - .offset:         24
        .size:           8
        .value_kind:     by_value
      - .address_space:  global
        .offset:         32
        .size:           8
        .value_kind:     global_buffer
      - .offset:         40
        .size:           8
        .value_kind:     by_value
      - .offset:         48
        .size:           8
        .value_kind:     by_value
      - .address_space:  global
        .offset:         56
        .size:           8
        .value_kind:     global_buffer
      - .offset:         64
        .size:           8
        .value_kind:     by_value
      - .offset:         72
        .size:           8
        .value_kind:     by_value
      - .address_space:  global
        .offset:         80
        .size:           8
        .value_kind:     global_buffer
      - .offset:         88
        .size:           8
        .value_kind:     by_value
      - .offset:         96
        .size:           8
        .value_kind:     by_value
      - .offset:         104
        .size:           4
        .value_kind:     by_value
    .group_segment_fixed_size: 4096
    .kernarg_segment_align: 8
    .kernarg_segment_size: 108
    .language:       OpenCL C
    .language_version:
      - 2
      - 0
    .max_flat_workgroup_size: 256
    .name:           _ZL23rocblas_trmm_rNx_kernelILi16E19rocblas_complex_numIfEPKS1_S2_S1_Ev13rocblas_fill_17rocblas_diagonal_iiT1_lPT2_llS8_llPT3_lli
    .private_segment_fixed_size: 0
    .sgpr_count:     34
    .sgpr_spill_count: 0
    .symbol:         _ZL23rocblas_trmm_rNx_kernelILi16E19rocblas_complex_numIfEPKS1_S2_S1_Ev13rocblas_fill_17rocblas_diagonal_iiT1_lPT2_llS8_llPT3_lli.kd
    .uniform_work_group_size: 1
    .uses_dynamic_stack: false
    .vgpr_count:     89
    .vgpr_spill_count: 0
    .wavefront_size: 32
    .workgroup_processor_mode: 1
  - .args:
      - .offset:         0
        .size:           4
        .value_kind:     by_value
      - .offset:         4
        .size:           4
        .value_kind:     by_value
      - .offset:         8
        .size:           4
        .value_kind:     by_value
      - .offset:         12
        .size:           4
        .value_kind:     by_value
      - .offset:         16
        .size:           8
        .value_kind:     by_value
      - .offset:         24
        .size:           8
        .value_kind:     by_value
      - .address_space:  global
        .offset:         32
        .size:           8
        .value_kind:     global_buffer
      - .offset:         40
        .size:           8
        .value_kind:     by_value
      - .offset:         48
        .size:           8
        .value_kind:     by_value
      - .address_space:  global
        .offset:         56
        .size:           8
        .value_kind:     global_buffer
      - .offset:         64
        .size:           8
        .value_kind:     by_value
      - .offset:         72
        .size:           8
        .value_kind:     by_value
      - .address_space:  global
        .offset:         80
        .size:           8
        .value_kind:     global_buffer
      - .offset:         88
        .size:           8
        .value_kind:     by_value
      - .offset:         96
        .size:           8
        .value_kind:     by_value
      - .offset:         104
        .size:           4
        .value_kind:     by_value
    .group_segment_fixed_size: 4096
    .kernarg_segment_align: 8
    .kernarg_segment_size: 108
    .language:       OpenCL C
    .language_version:
      - 2
      - 0
    .max_flat_workgroup_size: 256
    .name:           _ZL23rocblas_trmm_rNx_kernelILi16E19rocblas_complex_numIfES1_KS1_S1_Ev13rocblas_fill_17rocblas_diagonal_iiT1_lPT2_llS7_llPT3_lli
    .private_segment_fixed_size: 0
    .sgpr_count:     31
    .sgpr_spill_count: 0
    .symbol:         _ZL23rocblas_trmm_rNx_kernelILi16E19rocblas_complex_numIfES1_KS1_S1_Ev13rocblas_fill_17rocblas_diagonal_iiT1_lPT2_llS7_llPT3_lli.kd
    .uniform_work_group_size: 1
    .uses_dynamic_stack: false
    .vgpr_count:     87
    .vgpr_spill_count: 0
    .wavefront_size: 32
    .workgroup_processor_mode: 1
  - .args:
      - .offset:         0
        .size:           4
        .value_kind:     by_value
      - .offset:         4
        .size:           4
        .value_kind:     by_value
      - .offset:         8
        .size:           4
        .value_kind:     by_value
      - .offset:         12
        .size:           4
        .value_kind:     by_value
      - .address_space:  global
        .offset:         16
        .size:           8
        .value_kind:     global_buffer
      - .offset:         24
        .size:           8
        .value_kind:     by_value
      - .address_space:  global
        .offset:         32
        .size:           8
        .value_kind:     global_buffer
      - .offset:         40
        .size:           8
        .value_kind:     by_value
      - .offset:         48
        .size:           8
        .value_kind:     by_value
      - .address_space:  global
        .offset:         56
        .size:           8
        .value_kind:     global_buffer
      - .offset:         64
        .size:           8
        .value_kind:     by_value
      - .offset:         72
        .size:           8
        .value_kind:     by_value
      - .address_space:  global
        .offset:         80
        .size:           8
        .value_kind:     global_buffer
      - .offset:         88
        .size:           8
        .value_kind:     by_value
      - .offset:         96
        .size:           8
        .value_kind:     by_value
      - .offset:         104
        .size:           4
        .value_kind:     by_value
    .group_segment_fixed_size: 4096
    .kernarg_segment_align: 8
    .kernarg_segment_size: 108
    .language:       OpenCL C
    .language_version:
      - 2
      - 0
    .max_flat_workgroup_size: 256
    .name:           _ZL23rocblas_trmm_rTx_kernelILi16ELb0E19rocblas_complex_numIfEPKS1_S2_S1_Ev13rocblas_fill_17rocblas_diagonal_iiT2_lPT3_llS8_llPT4_lli
    .private_segment_fixed_size: 0
    .sgpr_count:     34
    .sgpr_spill_count: 0
    .symbol:         _ZL23rocblas_trmm_rTx_kernelILi16ELb0E19rocblas_complex_numIfEPKS1_S2_S1_Ev13rocblas_fill_17rocblas_diagonal_iiT2_lPT3_llS8_llPT4_lli.kd
    .uniform_work_group_size: 1
    .uses_dynamic_stack: false
    .vgpr_count:     89
    .vgpr_spill_count: 0
    .wavefront_size: 32
    .workgroup_processor_mode: 1
  - .args:
      - .offset:         0
        .size:           4
        .value_kind:     by_value
      - .offset:         4
        .size:           4
        .value_kind:     by_value
      - .offset:         8
        .size:           4
        .value_kind:     by_value
      - .offset:         12
        .size:           4
        .value_kind:     by_value
      - .offset:         16
        .size:           8
        .value_kind:     by_value
      - .offset:         24
        .size:           8
        .value_kind:     by_value
      - .address_space:  global
        .offset:         32
        .size:           8
        .value_kind:     global_buffer
      - .offset:         40
        .size:           8
        .value_kind:     by_value
      - .offset:         48
        .size:           8
        .value_kind:     by_value
      - .address_space:  global
        .offset:         56
        .size:           8
        .value_kind:     global_buffer
      - .offset:         64
        .size:           8
        .value_kind:     by_value
      - .offset:         72
        .size:           8
        .value_kind:     by_value
      - .address_space:  global
        .offset:         80
        .size:           8
        .value_kind:     global_buffer
      - .offset:         88
        .size:           8
        .value_kind:     by_value
      - .offset:         96
        .size:           8
        .value_kind:     by_value
      - .offset:         104
        .size:           4
        .value_kind:     by_value
    .group_segment_fixed_size: 4096
    .kernarg_segment_align: 8
    .kernarg_segment_size: 108
    .language:       OpenCL C
    .language_version:
      - 2
      - 0
    .max_flat_workgroup_size: 256
    .name:           _ZL23rocblas_trmm_rTx_kernelILi16ELb0E19rocblas_complex_numIfES1_KS1_S1_Ev13rocblas_fill_17rocblas_diagonal_iiT2_lPT3_llS7_llPT4_lli
    .private_segment_fixed_size: 0
    .sgpr_count:     31
    .sgpr_spill_count: 0
    .symbol:         _ZL23rocblas_trmm_rTx_kernelILi16ELb0E19rocblas_complex_numIfES1_KS1_S1_Ev13rocblas_fill_17rocblas_diagonal_iiT2_lPT3_llS7_llPT4_lli.kd
    .uniform_work_group_size: 1
    .uses_dynamic_stack: false
    .vgpr_count:     87
    .vgpr_spill_count: 0
    .wavefront_size: 32
    .workgroup_processor_mode: 1
  - .args:
      - .offset:         0
        .size:           4
        .value_kind:     by_value
      - .offset:         4
        .size:           4
        .value_kind:     by_value
      - .offset:         8
        .size:           4
        .value_kind:     by_value
      - .offset:         12
        .size:           4
        .value_kind:     by_value
      - .address_space:  global
        .offset:         16
        .size:           8
        .value_kind:     global_buffer
      - .offset:         24
        .size:           8
        .value_kind:     by_value
      - .address_space:  global
        .offset:         32
        .size:           8
        .value_kind:     global_buffer
      - .offset:         40
        .size:           8
        .value_kind:     by_value
      - .offset:         48
        .size:           8
        .value_kind:     by_value
      - .address_space:  global
        .offset:         56
        .size:           8
        .value_kind:     global_buffer
      - .offset:         64
        .size:           8
        .value_kind:     by_value
      - .offset:         72
        .size:           8
        .value_kind:     by_value
      - .address_space:  global
        .offset:         80
        .size:           8
        .value_kind:     global_buffer
      - .offset:         88
        .size:           8
        .value_kind:     by_value
      - .offset:         96
        .size:           8
        .value_kind:     by_value
      - .offset:         104
        .size:           4
        .value_kind:     by_value
    .group_segment_fixed_size: 4096
    .kernarg_segment_align: 8
    .kernarg_segment_size: 108
    .language:       OpenCL C
    .language_version:
      - 2
      - 0
    .max_flat_workgroup_size: 256
    .name:           _ZL23rocblas_trmm_rTx_kernelILi16ELb1E19rocblas_complex_numIfEPKS1_S2_S1_Ev13rocblas_fill_17rocblas_diagonal_iiT2_lPT3_llS8_llPT4_lli
    .private_segment_fixed_size: 0
    .sgpr_count:     34
    .sgpr_spill_count: 0
    .symbol:         _ZL23rocblas_trmm_rTx_kernelILi16ELb1E19rocblas_complex_numIfEPKS1_S2_S1_Ev13rocblas_fill_17rocblas_diagonal_iiT2_lPT3_llS8_llPT4_lli.kd
    .uniform_work_group_size: 1
    .uses_dynamic_stack: false
    .vgpr_count:     89
    .vgpr_spill_count: 0
    .wavefront_size: 32
    .workgroup_processor_mode: 1
  - .args:
      - .offset:         0
        .size:           4
        .value_kind:     by_value
      - .offset:         4
        .size:           4
        .value_kind:     by_value
      - .offset:         8
        .size:           4
        .value_kind:     by_value
      - .offset:         12
        .size:           4
        .value_kind:     by_value
      - .offset:         16
        .size:           8
        .value_kind:     by_value
      - .offset:         24
        .size:           8
        .value_kind:     by_value
      - .address_space:  global
        .offset:         32
        .size:           8
        .value_kind:     global_buffer
      - .offset:         40
        .size:           8
        .value_kind:     by_value
      - .offset:         48
        .size:           8
        .value_kind:     by_value
      - .address_space:  global
        .offset:         56
        .size:           8
        .value_kind:     global_buffer
      - .offset:         64
        .size:           8
        .value_kind:     by_value
      - .offset:         72
        .size:           8
        .value_kind:     by_value
      - .address_space:  global
        .offset:         80
        .size:           8
        .value_kind:     global_buffer
      - .offset:         88
        .size:           8
        .value_kind:     by_value
      - .offset:         96
        .size:           8
        .value_kind:     by_value
      - .offset:         104
        .size:           4
        .value_kind:     by_value
    .group_segment_fixed_size: 4096
    .kernarg_segment_align: 8
    .kernarg_segment_size: 108
    .language:       OpenCL C
    .language_version:
      - 2
      - 0
    .max_flat_workgroup_size: 256
    .name:           _ZL23rocblas_trmm_rTx_kernelILi16ELb1E19rocblas_complex_numIfES1_KS1_S1_Ev13rocblas_fill_17rocblas_diagonal_iiT2_lPT3_llS7_llPT4_lli
    .private_segment_fixed_size: 0
    .sgpr_count:     31
    .sgpr_spill_count: 0
    .symbol:         _ZL23rocblas_trmm_rTx_kernelILi16ELb1E19rocblas_complex_numIfES1_KS1_S1_Ev13rocblas_fill_17rocblas_diagonal_iiT2_lPT3_llS7_llPT4_lli.kd
    .uniform_work_group_size: 1
    .uses_dynamic_stack: false
    .vgpr_count:     87
    .vgpr_spill_count: 0
    .wavefront_size: 32
    .workgroup_processor_mode: 1
  - .args:
      - .offset:         0
        .size:           4
        .value_kind:     by_value
      - .offset:         4
        .size:           4
        .value_kind:     by_value
      - .offset:         8
        .size:           4
        .value_kind:     by_value
      - .address_space:  global
        .offset:         16
        .size:           8
        .value_kind:     global_buffer
      - .offset:         24
        .size:           8
        .value_kind:     by_value
      - .address_space:  global
        .offset:         32
        .size:           8
        .value_kind:     global_buffer
      - .offset:         40
        .size:           8
        .value_kind:     by_value
      - .offset:         48
        .size:           8
        .value_kind:     by_value
      - .offset:         56
        .size:           8
        .value_kind:     by_value
      - .address_space:  global
        .offset:         64
        .size:           8
        .value_kind:     global_buffer
      - .offset:         72
        .size:           8
        .value_kind:     by_value
      - .offset:         80
        .size:           8
        .value_kind:     by_value
      - .offset:         88
        .size:           8
        .value_kind:     by_value
      - .address_space:  global
        .offset:         96
        .size:           8
        .value_kind:     global_buffer
      - .offset:         104
        .size:           8
        .value_kind:     by_value
      - .offset:         112
        .size:           8
        .value_kind:     by_value
      - .offset:         120
        .size:           8
        .value_kind:     by_value
      - .offset:         128
        .size:           4
        .value_kind:     by_value
      - .offset:         136
        .size:           4
        .value_kind:     hidden_block_count_x
      - .offset:         140
        .size:           4
        .value_kind:     hidden_block_count_y
      - .offset:         144
        .size:           4
        .value_kind:     hidden_block_count_z
      - .offset:         148
        .size:           2
        .value_kind:     hidden_group_size_x
      - .offset:         150
        .size:           2
        .value_kind:     hidden_group_size_y
      - .offset:         152
        .size:           2
        .value_kind:     hidden_group_size_z
      - .offset:         154
        .size:           2
        .value_kind:     hidden_remainder_x
      - .offset:         156
        .size:           2
        .value_kind:     hidden_remainder_y
      - .offset:         158
        .size:           2
        .value_kind:     hidden_remainder_z
      - .offset:         176
        .size:           8
        .value_kind:     hidden_global_offset_x
      - .offset:         184
        .size:           8
        .value_kind:     hidden_global_offset_y
      - .offset:         192
        .size:           8
        .value_kind:     hidden_global_offset_z
      - .offset:         200
        .size:           2
        .value_kind:     hidden_grid_dims
    .group_segment_fixed_size: 32768
    .kernarg_segment_align: 8
    .kernarg_segment_size: 392
    .language:       OpenCL C
    .language_version:
      - 2
      - 0
    .max_flat_workgroup_size: 1024
    .name:           _ZL30rocblas_trmm_outofplace_kernelI19rocblas_complex_numIdELi32ELi2ELb1ELb0ELb0ELb0EPKS1_S2_S1_Ev17rocblas_diagonal_iiT6_lPT7_lllS7_lllPT8_llli
    .private_segment_fixed_size: 0
    .sgpr_count:     60
    .sgpr_spill_count: 0
    .symbol:         _ZL30rocblas_trmm_outofplace_kernelI19rocblas_complex_numIdELi32ELi2ELb1ELb0ELb0ELb0EPKS1_S2_S1_Ev17rocblas_diagonal_iiT6_lPT7_lllS7_lllPT8_llli.kd
    .uniform_work_group_size: 1
    .uses_dynamic_stack: false
    .vgpr_count:     93
    .vgpr_spill_count: 0
    .wavefront_size: 32
    .workgroup_processor_mode: 1
  - .args:
      - .offset:         0
        .size:           4
        .value_kind:     by_value
      - .offset:         4
        .size:           4
        .value_kind:     by_value
      - .offset:         8
        .size:           4
        .value_kind:     by_value
      - .offset:         16
        .size:           16
        .value_kind:     by_value
      - .offset:         32
        .size:           8
        .value_kind:     by_value
      - .address_space:  global
        .offset:         40
        .size:           8
        .value_kind:     global_buffer
      - .offset:         48
        .size:           8
        .value_kind:     by_value
      - .offset:         56
        .size:           8
        .value_kind:     by_value
      - .offset:         64
        .size:           8
        .value_kind:     by_value
      - .address_space:  global
        .offset:         72
        .size:           8
        .value_kind:     global_buffer
      - .offset:         80
        .size:           8
        .value_kind:     by_value
      - .offset:         88
        .size:           8
        .value_kind:     by_value
      - .offset:         96
        .size:           8
        .value_kind:     by_value
      - .address_space:  global
        .offset:         104
        .size:           8
        .value_kind:     global_buffer
      - .offset:         112
        .size:           8
        .value_kind:     by_value
      - .offset:         120
        .size:           8
        .value_kind:     by_value
      - .offset:         128
        .size:           8
        .value_kind:     by_value
      - .offset:         136
        .size:           4
        .value_kind:     by_value
      - .offset:         144
        .size:           4
        .value_kind:     hidden_block_count_x
      - .offset:         148
        .size:           4
        .value_kind:     hidden_block_count_y
      - .offset:         152
        .size:           4
        .value_kind:     hidden_block_count_z
      - .offset:         156
        .size:           2
        .value_kind:     hidden_group_size_x
      - .offset:         158
        .size:           2
        .value_kind:     hidden_group_size_y
      - .offset:         160
        .size:           2
        .value_kind:     hidden_group_size_z
      - .offset:         162
        .size:           2
        .value_kind:     hidden_remainder_x
      - .offset:         164
        .size:           2
        .value_kind:     hidden_remainder_y
      - .offset:         166
        .size:           2
        .value_kind:     hidden_remainder_z
      - .offset:         184
        .size:           8
        .value_kind:     hidden_global_offset_x
      - .offset:         192
        .size:           8
        .value_kind:     hidden_global_offset_y
      - .offset:         200
        .size:           8
        .value_kind:     hidden_global_offset_z
      - .offset:         208
        .size:           2
        .value_kind:     hidden_grid_dims
    .group_segment_fixed_size: 32768
    .kernarg_segment_align: 8
    .kernarg_segment_size: 400
    .language:       OpenCL C
    .language_version:
      - 2
      - 0
    .max_flat_workgroup_size: 1024
    .name:           _ZL30rocblas_trmm_outofplace_kernelI19rocblas_complex_numIdELi32ELi2ELb1ELb0ELb0ELb0ES1_KS1_S1_Ev17rocblas_diagonal_iiT6_lPT7_lllS6_lllPT8_llli
    .private_segment_fixed_size: 0
    .sgpr_count:     60
    .sgpr_spill_count: 0
    .symbol:         _ZL30rocblas_trmm_outofplace_kernelI19rocblas_complex_numIdELi32ELi2ELb1ELb0ELb0ELb0ES1_KS1_S1_Ev17rocblas_diagonal_iiT6_lPT7_lllS6_lllPT8_llli.kd
    .uniform_work_group_size: 1
    .uses_dynamic_stack: false
    .vgpr_count:     93
    .vgpr_spill_count: 0
    .wavefront_size: 32
    .workgroup_processor_mode: 1
  - .args:
      - .offset:         0
        .size:           4
        .value_kind:     by_value
      - .offset:         4
        .size:           4
        .value_kind:     by_value
      - .offset:         8
        .size:           4
        .value_kind:     by_value
      - .address_space:  global
        .offset:         16
        .size:           8
        .value_kind:     global_buffer
      - .offset:         24
        .size:           8
        .value_kind:     by_value
      - .address_space:  global
        .offset:         32
        .size:           8
        .value_kind:     global_buffer
      - .offset:         40
        .size:           8
        .value_kind:     by_value
      - .offset:         48
        .size:           8
        .value_kind:     by_value
      - .offset:         56
        .size:           8
        .value_kind:     by_value
      - .address_space:  global
        .offset:         64
        .size:           8
        .value_kind:     global_buffer
      - .offset:         72
        .size:           8
        .value_kind:     by_value
      - .offset:         80
        .size:           8
        .value_kind:     by_value
      - .offset:         88
        .size:           8
        .value_kind:     by_value
      - .address_space:  global
        .offset:         96
        .size:           8
        .value_kind:     global_buffer
      - .offset:         104
        .size:           8
        .value_kind:     by_value
      - .offset:         112
        .size:           8
        .value_kind:     by_value
      - .offset:         120
        .size:           8
        .value_kind:     by_value
      - .offset:         128
        .size:           4
        .value_kind:     by_value
      - .offset:         136
        .size:           4
        .value_kind:     hidden_block_count_x
      - .offset:         140
        .size:           4
        .value_kind:     hidden_block_count_y
      - .offset:         144
        .size:           4
        .value_kind:     hidden_block_count_z
      - .offset:         148
        .size:           2
        .value_kind:     hidden_group_size_x
      - .offset:         150
        .size:           2
        .value_kind:     hidden_group_size_y
      - .offset:         152
        .size:           2
        .value_kind:     hidden_group_size_z
      - .offset:         154
        .size:           2
        .value_kind:     hidden_remainder_x
      - .offset:         156
        .size:           2
        .value_kind:     hidden_remainder_y
      - .offset:         158
        .size:           2
        .value_kind:     hidden_remainder_z
      - .offset:         176
        .size:           8
        .value_kind:     hidden_global_offset_x
      - .offset:         184
        .size:           8
        .value_kind:     hidden_global_offset_y
      - .offset:         192
        .size:           8
        .value_kind:     hidden_global_offset_z
      - .offset:         200
        .size:           2
        .value_kind:     hidden_grid_dims
    .group_segment_fixed_size: 32768
    .kernarg_segment_align: 8
    .kernarg_segment_size: 392
    .language:       OpenCL C
    .language_version:
      - 2
      - 0
    .max_flat_workgroup_size: 1024
    .name:           _ZL30rocblas_trmm_outofplace_kernelI19rocblas_complex_numIdELi32ELi2ELb1ELb1ELb0ELb0EPKS1_S2_S1_Ev17rocblas_diagonal_iiT6_lPT7_lllS7_lllPT8_llli
    .private_segment_fixed_size: 0
    .sgpr_count:     64
    .sgpr_spill_count: 0
    .symbol:         _ZL30rocblas_trmm_outofplace_kernelI19rocblas_complex_numIdELi32ELi2ELb1ELb1ELb0ELb0EPKS1_S2_S1_Ev17rocblas_diagonal_iiT6_lPT7_lllS7_lllPT8_llli.kd
    .uniform_work_group_size: 1
    .uses_dynamic_stack: false
    .vgpr_count:     93
    .vgpr_spill_count: 0
    .wavefront_size: 32
    .workgroup_processor_mode: 1
  - .args:
      - .offset:         0
        .size:           4
        .value_kind:     by_value
      - .offset:         4
        .size:           4
        .value_kind:     by_value
      - .offset:         8
        .size:           4
        .value_kind:     by_value
      - .offset:         16
        .size:           16
        .value_kind:     by_value
      - .offset:         32
        .size:           8
        .value_kind:     by_value
      - .address_space:  global
        .offset:         40
        .size:           8
        .value_kind:     global_buffer
      - .offset:         48
        .size:           8
        .value_kind:     by_value
      - .offset:         56
        .size:           8
        .value_kind:     by_value
      - .offset:         64
        .size:           8
        .value_kind:     by_value
      - .address_space:  global
        .offset:         72
        .size:           8
        .value_kind:     global_buffer
      - .offset:         80
        .size:           8
        .value_kind:     by_value
      - .offset:         88
        .size:           8
        .value_kind:     by_value
      - .offset:         96
        .size:           8
        .value_kind:     by_value
      - .address_space:  global
        .offset:         104
        .size:           8
        .value_kind:     global_buffer
      - .offset:         112
        .size:           8
        .value_kind:     by_value
      - .offset:         120
        .size:           8
        .value_kind:     by_value
      - .offset:         128
        .size:           8
        .value_kind:     by_value
      - .offset:         136
        .size:           4
        .value_kind:     by_value
      - .offset:         144
        .size:           4
        .value_kind:     hidden_block_count_x
      - .offset:         148
        .size:           4
        .value_kind:     hidden_block_count_y
      - .offset:         152
        .size:           4
        .value_kind:     hidden_block_count_z
      - .offset:         156
        .size:           2
        .value_kind:     hidden_group_size_x
      - .offset:         158
        .size:           2
        .value_kind:     hidden_group_size_y
      - .offset:         160
        .size:           2
        .value_kind:     hidden_group_size_z
      - .offset:         162
        .size:           2
        .value_kind:     hidden_remainder_x
      - .offset:         164
        .size:           2
        .value_kind:     hidden_remainder_y
      - .offset:         166
        .size:           2
        .value_kind:     hidden_remainder_z
      - .offset:         184
        .size:           8
        .value_kind:     hidden_global_offset_x
      - .offset:         192
        .size:           8
        .value_kind:     hidden_global_offset_y
      - .offset:         200
        .size:           8
        .value_kind:     hidden_global_offset_z
      - .offset:         208
        .size:           2
        .value_kind:     hidden_grid_dims
    .group_segment_fixed_size: 32768
    .kernarg_segment_align: 8
    .kernarg_segment_size: 400
    .language:       OpenCL C
    .language_version:
      - 2
      - 0
    .max_flat_workgroup_size: 1024
    .name:           _ZL30rocblas_trmm_outofplace_kernelI19rocblas_complex_numIdELi32ELi2ELb1ELb1ELb0ELb0ES1_KS1_S1_Ev17rocblas_diagonal_iiT6_lPT7_lllS6_lllPT8_llli
    .private_segment_fixed_size: 0
    .sgpr_count:     64
    .sgpr_spill_count: 0
    .symbol:         _ZL30rocblas_trmm_outofplace_kernelI19rocblas_complex_numIdELi32ELi2ELb1ELb1ELb0ELb0ES1_KS1_S1_Ev17rocblas_diagonal_iiT6_lPT7_lllS6_lllPT8_llli.kd
    .uniform_work_group_size: 1
    .uses_dynamic_stack: false
    .vgpr_count:     92
    .vgpr_spill_count: 0
    .wavefront_size: 32
    .workgroup_processor_mode: 1
  - .args:
      - .offset:         0
        .size:           4
        .value_kind:     by_value
      - .offset:         4
        .size:           4
        .value_kind:     by_value
      - .offset:         8
        .size:           4
        .value_kind:     by_value
      - .address_space:  global
        .offset:         16
        .size:           8
        .value_kind:     global_buffer
      - .offset:         24
        .size:           8
        .value_kind:     by_value
      - .address_space:  global
        .offset:         32
        .size:           8
        .value_kind:     global_buffer
      - .offset:         40
        .size:           8
        .value_kind:     by_value
      - .offset:         48
        .size:           8
        .value_kind:     by_value
      - .offset:         56
        .size:           8
        .value_kind:     by_value
      - .address_space:  global
        .offset:         64
        .size:           8
        .value_kind:     global_buffer
      - .offset:         72
        .size:           8
        .value_kind:     by_value
      - .offset:         80
        .size:           8
        .value_kind:     by_value
      - .offset:         88
        .size:           8
        .value_kind:     by_value
      - .address_space:  global
        .offset:         96
        .size:           8
        .value_kind:     global_buffer
      - .offset:         104
        .size:           8
        .value_kind:     by_value
      - .offset:         112
        .size:           8
        .value_kind:     by_value
      - .offset:         120
        .size:           8
        .value_kind:     by_value
      - .offset:         128
        .size:           4
        .value_kind:     by_value
      - .offset:         136
        .size:           4
        .value_kind:     hidden_block_count_x
      - .offset:         140
        .size:           4
        .value_kind:     hidden_block_count_y
      - .offset:         144
        .size:           4
        .value_kind:     hidden_block_count_z
      - .offset:         148
        .size:           2
        .value_kind:     hidden_group_size_x
      - .offset:         150
        .size:           2
        .value_kind:     hidden_group_size_y
      - .offset:         152
        .size:           2
        .value_kind:     hidden_group_size_z
      - .offset:         154
        .size:           2
        .value_kind:     hidden_remainder_x
      - .offset:         156
        .size:           2
        .value_kind:     hidden_remainder_y
      - .offset:         158
        .size:           2
        .value_kind:     hidden_remainder_z
      - .offset:         176
        .size:           8
        .value_kind:     hidden_global_offset_x
      - .offset:         184
        .size:           8
        .value_kind:     hidden_global_offset_y
      - .offset:         192
        .size:           8
        .value_kind:     hidden_global_offset_z
      - .offset:         200
        .size:           2
        .value_kind:     hidden_grid_dims
    .group_segment_fixed_size: 32768
    .kernarg_segment_align: 8
    .kernarg_segment_size: 392
    .language:       OpenCL C
    .language_version:
      - 2
      - 0
    .max_flat_workgroup_size: 1024
    .name:           _ZL30rocblas_trmm_outofplace_kernelI19rocblas_complex_numIdELi32ELi2ELb1ELb0ELb1ELb0EPKS1_S2_S1_Ev17rocblas_diagonal_iiT6_lPT7_lllS7_lllPT8_llli
    .private_segment_fixed_size: 0
    .sgpr_count:     60
    .sgpr_spill_count: 0
    .symbol:         _ZL30rocblas_trmm_outofplace_kernelI19rocblas_complex_numIdELi32ELi2ELb1ELb0ELb1ELb0EPKS1_S2_S1_Ev17rocblas_diagonal_iiT6_lPT7_lllS7_lllPT8_llli.kd
    .uniform_work_group_size: 1
    .uses_dynamic_stack: false
    .vgpr_count:     93
    .vgpr_spill_count: 0
    .wavefront_size: 32
    .workgroup_processor_mode: 1
  - .args:
      - .offset:         0
        .size:           4
        .value_kind:     by_value
      - .offset:         4
        .size:           4
        .value_kind:     by_value
      - .offset:         8
        .size:           4
        .value_kind:     by_value
      - .offset:         16
        .size:           16
        .value_kind:     by_value
      - .offset:         32
        .size:           8
        .value_kind:     by_value
      - .address_space:  global
        .offset:         40
        .size:           8
        .value_kind:     global_buffer
      - .offset:         48
        .size:           8
        .value_kind:     by_value
      - .offset:         56
        .size:           8
        .value_kind:     by_value
      - .offset:         64
        .size:           8
        .value_kind:     by_value
      - .address_space:  global
        .offset:         72
        .size:           8
        .value_kind:     global_buffer
      - .offset:         80
        .size:           8
        .value_kind:     by_value
      - .offset:         88
        .size:           8
        .value_kind:     by_value
      - .offset:         96
        .size:           8
        .value_kind:     by_value
      - .address_space:  global
        .offset:         104
        .size:           8
        .value_kind:     global_buffer
      - .offset:         112
        .size:           8
        .value_kind:     by_value
      - .offset:         120
        .size:           8
        .value_kind:     by_value
      - .offset:         128
        .size:           8
        .value_kind:     by_value
      - .offset:         136
        .size:           4
        .value_kind:     by_value
      - .offset:         144
        .size:           4
        .value_kind:     hidden_block_count_x
      - .offset:         148
        .size:           4
        .value_kind:     hidden_block_count_y
      - .offset:         152
        .size:           4
        .value_kind:     hidden_block_count_z
      - .offset:         156
        .size:           2
        .value_kind:     hidden_group_size_x
      - .offset:         158
        .size:           2
        .value_kind:     hidden_group_size_y
      - .offset:         160
        .size:           2
        .value_kind:     hidden_group_size_z
      - .offset:         162
        .size:           2
        .value_kind:     hidden_remainder_x
      - .offset:         164
        .size:           2
        .value_kind:     hidden_remainder_y
      - .offset:         166
        .size:           2
        .value_kind:     hidden_remainder_z
      - .offset:         184
        .size:           8
        .value_kind:     hidden_global_offset_x
      - .offset:         192
        .size:           8
        .value_kind:     hidden_global_offset_y
      - .offset:         200
        .size:           8
        .value_kind:     hidden_global_offset_z
      - .offset:         208
        .size:           2
        .value_kind:     hidden_grid_dims
    .group_segment_fixed_size: 32768
    .kernarg_segment_align: 8
    .kernarg_segment_size: 400
    .language:       OpenCL C
    .language_version:
      - 2
      - 0
    .max_flat_workgroup_size: 1024
    .name:           _ZL30rocblas_trmm_outofplace_kernelI19rocblas_complex_numIdELi32ELi2ELb1ELb0ELb1ELb0ES1_KS1_S1_Ev17rocblas_diagonal_iiT6_lPT7_lllS6_lllPT8_llli
    .private_segment_fixed_size: 0
    .sgpr_count:     60
    .sgpr_spill_count: 0
    .symbol:         _ZL30rocblas_trmm_outofplace_kernelI19rocblas_complex_numIdELi32ELi2ELb1ELb0ELb1ELb0ES1_KS1_S1_Ev17rocblas_diagonal_iiT6_lPT7_lllS6_lllPT8_llli.kd
    .uniform_work_group_size: 1
    .uses_dynamic_stack: false
    .vgpr_count:     92
    .vgpr_spill_count: 0
    .wavefront_size: 32
    .workgroup_processor_mode: 1
  - .args:
      - .offset:         0
        .size:           4
        .value_kind:     by_value
      - .offset:         4
        .size:           4
        .value_kind:     by_value
      - .offset:         8
        .size:           4
        .value_kind:     by_value
      - .address_space:  global
        .offset:         16
        .size:           8
        .value_kind:     global_buffer
      - .offset:         24
        .size:           8
        .value_kind:     by_value
      - .address_space:  global
        .offset:         32
        .size:           8
        .value_kind:     global_buffer
      - .offset:         40
        .size:           8
        .value_kind:     by_value
      - .offset:         48
        .size:           8
        .value_kind:     by_value
      - .offset:         56
        .size:           8
        .value_kind:     by_value
      - .address_space:  global
        .offset:         64
        .size:           8
        .value_kind:     global_buffer
      - .offset:         72
        .size:           8
        .value_kind:     by_value
      - .offset:         80
        .size:           8
        .value_kind:     by_value
      - .offset:         88
        .size:           8
        .value_kind:     by_value
      - .address_space:  global
        .offset:         96
        .size:           8
        .value_kind:     global_buffer
      - .offset:         104
        .size:           8
        .value_kind:     by_value
      - .offset:         112
        .size:           8
        .value_kind:     by_value
      - .offset:         120
        .size:           8
        .value_kind:     by_value
      - .offset:         128
        .size:           4
        .value_kind:     by_value
      - .offset:         136
        .size:           4
        .value_kind:     hidden_block_count_x
      - .offset:         140
        .size:           4
        .value_kind:     hidden_block_count_y
      - .offset:         144
        .size:           4
        .value_kind:     hidden_block_count_z
      - .offset:         148
        .size:           2
        .value_kind:     hidden_group_size_x
      - .offset:         150
        .size:           2
        .value_kind:     hidden_group_size_y
      - .offset:         152
        .size:           2
        .value_kind:     hidden_group_size_z
      - .offset:         154
        .size:           2
        .value_kind:     hidden_remainder_x
      - .offset:         156
        .size:           2
        .value_kind:     hidden_remainder_y
      - .offset:         158
        .size:           2
        .value_kind:     hidden_remainder_z
      - .offset:         176
        .size:           8
        .value_kind:     hidden_global_offset_x
      - .offset:         184
        .size:           8
        .value_kind:     hidden_global_offset_y
      - .offset:         192
        .size:           8
        .value_kind:     hidden_global_offset_z
      - .offset:         200
        .size:           2
        .value_kind:     hidden_grid_dims
    .group_segment_fixed_size: 32768
    .kernarg_segment_align: 8
    .kernarg_segment_size: 392
    .language:       OpenCL C
    .language_version:
      - 2
      - 0
    .max_flat_workgroup_size: 1024
    .name:           _ZL30rocblas_trmm_outofplace_kernelI19rocblas_complex_numIdELi32ELi2ELb1ELb1ELb1ELb0EPKS1_S2_S1_Ev17rocblas_diagonal_iiT6_lPT7_lllS7_lllPT8_llli
    .private_segment_fixed_size: 0
    .sgpr_count:     60
    .sgpr_spill_count: 0
    .symbol:         _ZL30rocblas_trmm_outofplace_kernelI19rocblas_complex_numIdELi32ELi2ELb1ELb1ELb1ELb0EPKS1_S2_S1_Ev17rocblas_diagonal_iiT6_lPT7_lllS7_lllPT8_llli.kd
    .uniform_work_group_size: 1
    .uses_dynamic_stack: false
    .vgpr_count:     93
    .vgpr_spill_count: 0
    .wavefront_size: 32
    .workgroup_processor_mode: 1
  - .args:
      - .offset:         0
        .size:           4
        .value_kind:     by_value
      - .offset:         4
        .size:           4
        .value_kind:     by_value
      - .offset:         8
        .size:           4
        .value_kind:     by_value
      - .offset:         16
        .size:           16
        .value_kind:     by_value
      - .offset:         32
        .size:           8
        .value_kind:     by_value
      - .address_space:  global
        .offset:         40
        .size:           8
        .value_kind:     global_buffer
      - .offset:         48
        .size:           8
        .value_kind:     by_value
      - .offset:         56
        .size:           8
        .value_kind:     by_value
      - .offset:         64
        .size:           8
        .value_kind:     by_value
      - .address_space:  global
        .offset:         72
        .size:           8
        .value_kind:     global_buffer
      - .offset:         80
        .size:           8
        .value_kind:     by_value
      - .offset:         88
        .size:           8
        .value_kind:     by_value
      - .offset:         96
        .size:           8
        .value_kind:     by_value
      - .address_space:  global
        .offset:         104
        .size:           8
        .value_kind:     global_buffer
      - .offset:         112
        .size:           8
        .value_kind:     by_value
      - .offset:         120
        .size:           8
        .value_kind:     by_value
      - .offset:         128
        .size:           8
        .value_kind:     by_value
      - .offset:         136
        .size:           4
        .value_kind:     by_value
      - .offset:         144
        .size:           4
        .value_kind:     hidden_block_count_x
      - .offset:         148
        .size:           4
        .value_kind:     hidden_block_count_y
      - .offset:         152
        .size:           4
        .value_kind:     hidden_block_count_z
      - .offset:         156
        .size:           2
        .value_kind:     hidden_group_size_x
      - .offset:         158
        .size:           2
        .value_kind:     hidden_group_size_y
      - .offset:         160
        .size:           2
        .value_kind:     hidden_group_size_z
      - .offset:         162
        .size:           2
        .value_kind:     hidden_remainder_x
      - .offset:         164
        .size:           2
        .value_kind:     hidden_remainder_y
      - .offset:         166
        .size:           2
        .value_kind:     hidden_remainder_z
      - .offset:         184
        .size:           8
        .value_kind:     hidden_global_offset_x
      - .offset:         192
        .size:           8
        .value_kind:     hidden_global_offset_y
      - .offset:         200
        .size:           8
        .value_kind:     hidden_global_offset_z
      - .offset:         208
        .size:           2
        .value_kind:     hidden_grid_dims
    .group_segment_fixed_size: 32768
    .kernarg_segment_align: 8
    .kernarg_segment_size: 400
    .language:       OpenCL C
    .language_version:
      - 2
      - 0
    .max_flat_workgroup_size: 1024
    .name:           _ZL30rocblas_trmm_outofplace_kernelI19rocblas_complex_numIdELi32ELi2ELb1ELb1ELb1ELb0ES1_KS1_S1_Ev17rocblas_diagonal_iiT6_lPT7_lllS6_lllPT8_llli
    .private_segment_fixed_size: 0
    .sgpr_count:     60
    .sgpr_spill_count: 0
    .symbol:         _ZL30rocblas_trmm_outofplace_kernelI19rocblas_complex_numIdELi32ELi2ELb1ELb1ELb1ELb0ES1_KS1_S1_Ev17rocblas_diagonal_iiT6_lPT7_lllS6_lllPT8_llli.kd
    .uniform_work_group_size: 1
    .uses_dynamic_stack: false
    .vgpr_count:     91
    .vgpr_spill_count: 0
    .wavefront_size: 32
    .workgroup_processor_mode: 1
  - .args:
      - .offset:         0
        .size:           4
        .value_kind:     by_value
      - .offset:         4
        .size:           4
        .value_kind:     by_value
      - .offset:         8
        .size:           4
        .value_kind:     by_value
      - .address_space:  global
        .offset:         16
        .size:           8
        .value_kind:     global_buffer
      - .offset:         24
        .size:           8
        .value_kind:     by_value
      - .address_space:  global
        .offset:         32
        .size:           8
        .value_kind:     global_buffer
      - .offset:         40
        .size:           8
        .value_kind:     by_value
      - .offset:         48
        .size:           8
        .value_kind:     by_value
      - .offset:         56
        .size:           8
        .value_kind:     by_value
      - .address_space:  global
        .offset:         64
        .size:           8
        .value_kind:     global_buffer
      - .offset:         72
        .size:           8
        .value_kind:     by_value
      - .offset:         80
        .size:           8
        .value_kind:     by_value
      - .offset:         88
        .size:           8
        .value_kind:     by_value
      - .address_space:  global
        .offset:         96
        .size:           8
        .value_kind:     global_buffer
      - .offset:         104
        .size:           8
        .value_kind:     by_value
      - .offset:         112
        .size:           8
        .value_kind:     by_value
      - .offset:         120
        .size:           8
        .value_kind:     by_value
      - .offset:         128
        .size:           4
        .value_kind:     by_value
      - .offset:         136
        .size:           4
        .value_kind:     hidden_block_count_x
      - .offset:         140
        .size:           4
        .value_kind:     hidden_block_count_y
      - .offset:         144
        .size:           4
        .value_kind:     hidden_block_count_z
      - .offset:         148
        .size:           2
        .value_kind:     hidden_group_size_x
      - .offset:         150
        .size:           2
        .value_kind:     hidden_group_size_y
      - .offset:         152
        .size:           2
        .value_kind:     hidden_group_size_z
      - .offset:         154
        .size:           2
        .value_kind:     hidden_remainder_x
      - .offset:         156
        .size:           2
        .value_kind:     hidden_remainder_y
      - .offset:         158
        .size:           2
        .value_kind:     hidden_remainder_z
      - .offset:         176
        .size:           8
        .value_kind:     hidden_global_offset_x
      - .offset:         184
        .size:           8
        .value_kind:     hidden_global_offset_y
      - .offset:         192
        .size:           8
        .value_kind:     hidden_global_offset_z
      - .offset:         200
        .size:           2
        .value_kind:     hidden_grid_dims
    .group_segment_fixed_size: 32768
    .kernarg_segment_align: 8
    .kernarg_segment_size: 392
    .language:       OpenCL C
    .language_version:
      - 2
      - 0
    .max_flat_workgroup_size: 1024
    .name:           _ZL30rocblas_trmm_outofplace_kernelI19rocblas_complex_numIdELi32ELi2ELb1ELb0ELb1ELb1EPKS1_S2_S1_Ev17rocblas_diagonal_iiT6_lPT7_lllS7_lllPT8_llli
    .private_segment_fixed_size: 0
    .sgpr_count:     60
    .sgpr_spill_count: 0
    .symbol:         _ZL30rocblas_trmm_outofplace_kernelI19rocblas_complex_numIdELi32ELi2ELb1ELb0ELb1ELb1EPKS1_S2_S1_Ev17rocblas_diagonal_iiT6_lPT7_lllS7_lllPT8_llli.kd
    .uniform_work_group_size: 1
    .uses_dynamic_stack: false
    .vgpr_count:     93
    .vgpr_spill_count: 0
    .wavefront_size: 32
    .workgroup_processor_mode: 1
  - .args:
      - .offset:         0
        .size:           4
        .value_kind:     by_value
      - .offset:         4
        .size:           4
        .value_kind:     by_value
      - .offset:         8
        .size:           4
        .value_kind:     by_value
      - .offset:         16
        .size:           16
        .value_kind:     by_value
      - .offset:         32
        .size:           8
        .value_kind:     by_value
      - .address_space:  global
        .offset:         40
        .size:           8
        .value_kind:     global_buffer
      - .offset:         48
        .size:           8
        .value_kind:     by_value
      - .offset:         56
        .size:           8
        .value_kind:     by_value
      - .offset:         64
        .size:           8
        .value_kind:     by_value
      - .address_space:  global
        .offset:         72
        .size:           8
        .value_kind:     global_buffer
      - .offset:         80
        .size:           8
        .value_kind:     by_value
      - .offset:         88
        .size:           8
        .value_kind:     by_value
      - .offset:         96
        .size:           8
        .value_kind:     by_value
      - .address_space:  global
        .offset:         104
        .size:           8
        .value_kind:     global_buffer
      - .offset:         112
        .size:           8
        .value_kind:     by_value
      - .offset:         120
        .size:           8
        .value_kind:     by_value
      - .offset:         128
        .size:           8
        .value_kind:     by_value
      - .offset:         136
        .size:           4
        .value_kind:     by_value
      - .offset:         144
        .size:           4
        .value_kind:     hidden_block_count_x
      - .offset:         148
        .size:           4
        .value_kind:     hidden_block_count_y
      - .offset:         152
        .size:           4
        .value_kind:     hidden_block_count_z
      - .offset:         156
        .size:           2
        .value_kind:     hidden_group_size_x
      - .offset:         158
        .size:           2
        .value_kind:     hidden_group_size_y
      - .offset:         160
        .size:           2
        .value_kind:     hidden_group_size_z
      - .offset:         162
        .size:           2
        .value_kind:     hidden_remainder_x
      - .offset:         164
        .size:           2
        .value_kind:     hidden_remainder_y
      - .offset:         166
        .size:           2
        .value_kind:     hidden_remainder_z
      - .offset:         184
        .size:           8
        .value_kind:     hidden_global_offset_x
      - .offset:         192
        .size:           8
        .value_kind:     hidden_global_offset_y
      - .offset:         200
        .size:           8
        .value_kind:     hidden_global_offset_z
      - .offset:         208
        .size:           2
        .value_kind:     hidden_grid_dims
    .group_segment_fixed_size: 32768
    .kernarg_segment_align: 8
    .kernarg_segment_size: 400
    .language:       OpenCL C
    .language_version:
      - 2
      - 0
    .max_flat_workgroup_size: 1024
    .name:           _ZL30rocblas_trmm_outofplace_kernelI19rocblas_complex_numIdELi32ELi2ELb1ELb0ELb1ELb1ES1_KS1_S1_Ev17rocblas_diagonal_iiT6_lPT7_lllS6_lllPT8_llli
    .private_segment_fixed_size: 0
    .sgpr_count:     60
    .sgpr_spill_count: 0
    .symbol:         _ZL30rocblas_trmm_outofplace_kernelI19rocblas_complex_numIdELi32ELi2ELb1ELb0ELb1ELb1ES1_KS1_S1_Ev17rocblas_diagonal_iiT6_lPT7_lllS6_lllPT8_llli.kd
    .uniform_work_group_size: 1
    .uses_dynamic_stack: false
    .vgpr_count:     89
    .vgpr_spill_count: 0
    .wavefront_size: 32
    .workgroup_processor_mode: 1
  - .args:
      - .offset:         0
        .size:           4
        .value_kind:     by_value
      - .offset:         4
        .size:           4
        .value_kind:     by_value
      - .offset:         8
        .size:           4
        .value_kind:     by_value
      - .address_space:  global
        .offset:         16
        .size:           8
        .value_kind:     global_buffer
      - .offset:         24
        .size:           8
        .value_kind:     by_value
      - .address_space:  global
        .offset:         32
        .size:           8
        .value_kind:     global_buffer
      - .offset:         40
        .size:           8
        .value_kind:     by_value
      - .offset:         48
        .size:           8
        .value_kind:     by_value
      - .offset:         56
        .size:           8
        .value_kind:     by_value
      - .address_space:  global
        .offset:         64
        .size:           8
        .value_kind:     global_buffer
      - .offset:         72
        .size:           8
        .value_kind:     by_value
      - .offset:         80
        .size:           8
        .value_kind:     by_value
      - .offset:         88
        .size:           8
        .value_kind:     by_value
      - .address_space:  global
        .offset:         96
        .size:           8
        .value_kind:     global_buffer
      - .offset:         104
        .size:           8
        .value_kind:     by_value
      - .offset:         112
        .size:           8
        .value_kind:     by_value
      - .offset:         120
        .size:           8
        .value_kind:     by_value
      - .offset:         128
        .size:           4
        .value_kind:     by_value
      - .offset:         136
        .size:           4
        .value_kind:     hidden_block_count_x
      - .offset:         140
        .size:           4
        .value_kind:     hidden_block_count_y
      - .offset:         144
        .size:           4
        .value_kind:     hidden_block_count_z
      - .offset:         148
        .size:           2
        .value_kind:     hidden_group_size_x
      - .offset:         150
        .size:           2
        .value_kind:     hidden_group_size_y
      - .offset:         152
        .size:           2
        .value_kind:     hidden_group_size_z
      - .offset:         154
        .size:           2
        .value_kind:     hidden_remainder_x
      - .offset:         156
        .size:           2
        .value_kind:     hidden_remainder_y
      - .offset:         158
        .size:           2
        .value_kind:     hidden_remainder_z
      - .offset:         176
        .size:           8
        .value_kind:     hidden_global_offset_x
      - .offset:         184
        .size:           8
        .value_kind:     hidden_global_offset_y
      - .offset:         192
        .size:           8
        .value_kind:     hidden_global_offset_z
      - .offset:         200
        .size:           2
        .value_kind:     hidden_grid_dims
    .group_segment_fixed_size: 32768
    .kernarg_segment_align: 8
    .kernarg_segment_size: 392
    .language:       OpenCL C
    .language_version:
      - 2
      - 0
    .max_flat_workgroup_size: 1024
    .name:           _ZL30rocblas_trmm_outofplace_kernelI19rocblas_complex_numIdELi32ELi2ELb1ELb1ELb1ELb1EPKS1_S2_S1_Ev17rocblas_diagonal_iiT6_lPT7_lllS7_lllPT8_llli
    .private_segment_fixed_size: 0
    .sgpr_count:     60
    .sgpr_spill_count: 0
    .symbol:         _ZL30rocblas_trmm_outofplace_kernelI19rocblas_complex_numIdELi32ELi2ELb1ELb1ELb1ELb1EPKS1_S2_S1_Ev17rocblas_diagonal_iiT6_lPT7_lllS7_lllPT8_llli.kd
    .uniform_work_group_size: 1
    .uses_dynamic_stack: false
    .vgpr_count:     92
    .vgpr_spill_count: 0
    .wavefront_size: 32
    .workgroup_processor_mode: 1
  - .args:
      - .offset:         0
        .size:           4
        .value_kind:     by_value
      - .offset:         4
        .size:           4
        .value_kind:     by_value
      - .offset:         8
        .size:           4
        .value_kind:     by_value
      - .offset:         16
        .size:           16
        .value_kind:     by_value
      - .offset:         32
        .size:           8
        .value_kind:     by_value
      - .address_space:  global
        .offset:         40
        .size:           8
        .value_kind:     global_buffer
      - .offset:         48
        .size:           8
        .value_kind:     by_value
      - .offset:         56
        .size:           8
        .value_kind:     by_value
      - .offset:         64
        .size:           8
        .value_kind:     by_value
      - .address_space:  global
        .offset:         72
        .size:           8
        .value_kind:     global_buffer
      - .offset:         80
        .size:           8
        .value_kind:     by_value
      - .offset:         88
        .size:           8
        .value_kind:     by_value
      - .offset:         96
        .size:           8
        .value_kind:     by_value
      - .address_space:  global
        .offset:         104
        .size:           8
        .value_kind:     global_buffer
      - .offset:         112
        .size:           8
        .value_kind:     by_value
      - .offset:         120
        .size:           8
        .value_kind:     by_value
      - .offset:         128
        .size:           8
        .value_kind:     by_value
      - .offset:         136
        .size:           4
        .value_kind:     by_value
      - .offset:         144
        .size:           4
        .value_kind:     hidden_block_count_x
      - .offset:         148
        .size:           4
        .value_kind:     hidden_block_count_y
      - .offset:         152
        .size:           4
        .value_kind:     hidden_block_count_z
      - .offset:         156
        .size:           2
        .value_kind:     hidden_group_size_x
      - .offset:         158
        .size:           2
        .value_kind:     hidden_group_size_y
      - .offset:         160
        .size:           2
        .value_kind:     hidden_group_size_z
      - .offset:         162
        .size:           2
        .value_kind:     hidden_remainder_x
      - .offset:         164
        .size:           2
        .value_kind:     hidden_remainder_y
      - .offset:         166
        .size:           2
        .value_kind:     hidden_remainder_z
      - .offset:         184
        .size:           8
        .value_kind:     hidden_global_offset_x
      - .offset:         192
        .size:           8
        .value_kind:     hidden_global_offset_y
      - .offset:         200
        .size:           8
        .value_kind:     hidden_global_offset_z
      - .offset:         208
        .size:           2
        .value_kind:     hidden_grid_dims
    .group_segment_fixed_size: 32768
    .kernarg_segment_align: 8
    .kernarg_segment_size: 400
    .language:       OpenCL C
    .language_version:
      - 2
      - 0
    .max_flat_workgroup_size: 1024
    .name:           _ZL30rocblas_trmm_outofplace_kernelI19rocblas_complex_numIdELi32ELi2ELb1ELb1ELb1ELb1ES1_KS1_S1_Ev17rocblas_diagonal_iiT6_lPT7_lllS6_lllPT8_llli
    .private_segment_fixed_size: 0
    .sgpr_count:     60
    .sgpr_spill_count: 0
    .symbol:         _ZL30rocblas_trmm_outofplace_kernelI19rocblas_complex_numIdELi32ELi2ELb1ELb1ELb1ELb1ES1_KS1_S1_Ev17rocblas_diagonal_iiT6_lPT7_lllS6_lllPT8_llli.kd
    .uniform_work_group_size: 1
    .uses_dynamic_stack: false
    .vgpr_count:     88
    .vgpr_spill_count: 0
    .wavefront_size: 32
    .workgroup_processor_mode: 1
  - .args:
      - .offset:         0
        .size:           4
        .value_kind:     by_value
      - .offset:         4
        .size:           4
        .value_kind:     by_value
      - .offset:         8
        .size:           4
        .value_kind:     by_value
      - .address_space:  global
        .offset:         16
        .size:           8
        .value_kind:     global_buffer
      - .offset:         24
        .size:           8
        .value_kind:     by_value
      - .address_space:  global
        .offset:         32
        .size:           8
        .value_kind:     global_buffer
      - .offset:         40
        .size:           8
        .value_kind:     by_value
      - .offset:         48
        .size:           8
        .value_kind:     by_value
      - .offset:         56
        .size:           8
        .value_kind:     by_value
      - .address_space:  global
        .offset:         64
        .size:           8
        .value_kind:     global_buffer
      - .offset:         72
        .size:           8
        .value_kind:     by_value
      - .offset:         80
        .size:           8
        .value_kind:     by_value
      - .offset:         88
        .size:           8
        .value_kind:     by_value
      - .address_space:  global
        .offset:         96
        .size:           8
        .value_kind:     global_buffer
      - .offset:         104
        .size:           8
        .value_kind:     by_value
      - .offset:         112
        .size:           8
        .value_kind:     by_value
      - .offset:         120
        .size:           8
        .value_kind:     by_value
      - .offset:         128
        .size:           4
        .value_kind:     by_value
      - .offset:         136
        .size:           4
        .value_kind:     hidden_block_count_x
      - .offset:         140
        .size:           4
        .value_kind:     hidden_block_count_y
      - .offset:         144
        .size:           4
        .value_kind:     hidden_block_count_z
      - .offset:         148
        .size:           2
        .value_kind:     hidden_group_size_x
      - .offset:         150
        .size:           2
        .value_kind:     hidden_group_size_y
      - .offset:         152
        .size:           2
        .value_kind:     hidden_group_size_z
      - .offset:         154
        .size:           2
        .value_kind:     hidden_remainder_x
      - .offset:         156
        .size:           2
        .value_kind:     hidden_remainder_y
      - .offset:         158
        .size:           2
        .value_kind:     hidden_remainder_z
      - .offset:         176
        .size:           8
        .value_kind:     hidden_global_offset_x
      - .offset:         184
        .size:           8
        .value_kind:     hidden_global_offset_y
      - .offset:         192
        .size:           8
        .value_kind:     hidden_global_offset_z
      - .offset:         200
        .size:           2
        .value_kind:     hidden_grid_dims
    .group_segment_fixed_size: 32768
    .kernarg_segment_align: 8
    .kernarg_segment_size: 392
    .language:       OpenCL C
    .language_version:
      - 2
      - 0
    .max_flat_workgroup_size: 1024
    .name:           _ZL30rocblas_trmm_outofplace_kernelI19rocblas_complex_numIdELi32ELi2ELb0ELb0ELb0ELb0EPKS1_S2_S1_Ev17rocblas_diagonal_iiT6_lPT7_lllS7_lllPT8_llli
    .private_segment_fixed_size: 0
    .sgpr_count:     66
    .sgpr_spill_count: 0
    .symbol:         _ZL30rocblas_trmm_outofplace_kernelI19rocblas_complex_numIdELi32ELi2ELb0ELb0ELb0ELb0EPKS1_S2_S1_Ev17rocblas_diagonal_iiT6_lPT7_lllS7_lllPT8_llli.kd
    .uniform_work_group_size: 1
    .uses_dynamic_stack: false
    .vgpr_count:     93
    .vgpr_spill_count: 0
    .wavefront_size: 32
    .workgroup_processor_mode: 1
  - .args:
      - .offset:         0
        .size:           4
        .value_kind:     by_value
      - .offset:         4
        .size:           4
        .value_kind:     by_value
      - .offset:         8
        .size:           4
        .value_kind:     by_value
      - .offset:         16
        .size:           16
        .value_kind:     by_value
      - .offset:         32
        .size:           8
        .value_kind:     by_value
      - .address_space:  global
        .offset:         40
        .size:           8
        .value_kind:     global_buffer
      - .offset:         48
        .size:           8
        .value_kind:     by_value
      - .offset:         56
        .size:           8
        .value_kind:     by_value
      - .offset:         64
        .size:           8
        .value_kind:     by_value
      - .address_space:  global
        .offset:         72
        .size:           8
        .value_kind:     global_buffer
      - .offset:         80
        .size:           8
        .value_kind:     by_value
      - .offset:         88
        .size:           8
        .value_kind:     by_value
      - .offset:         96
        .size:           8
        .value_kind:     by_value
      - .address_space:  global
        .offset:         104
        .size:           8
        .value_kind:     global_buffer
      - .offset:         112
        .size:           8
        .value_kind:     by_value
      - .offset:         120
        .size:           8
        .value_kind:     by_value
      - .offset:         128
        .size:           8
        .value_kind:     by_value
      - .offset:         136
        .size:           4
        .value_kind:     by_value
      - .offset:         144
        .size:           4
        .value_kind:     hidden_block_count_x
      - .offset:         148
        .size:           4
        .value_kind:     hidden_block_count_y
      - .offset:         152
        .size:           4
        .value_kind:     hidden_block_count_z
      - .offset:         156
        .size:           2
        .value_kind:     hidden_group_size_x
      - .offset:         158
        .size:           2
        .value_kind:     hidden_group_size_y
      - .offset:         160
        .size:           2
        .value_kind:     hidden_group_size_z
      - .offset:         162
        .size:           2
        .value_kind:     hidden_remainder_x
      - .offset:         164
        .size:           2
        .value_kind:     hidden_remainder_y
      - .offset:         166
        .size:           2
        .value_kind:     hidden_remainder_z
      - .offset:         184
        .size:           8
        .value_kind:     hidden_global_offset_x
      - .offset:         192
        .size:           8
        .value_kind:     hidden_global_offset_y
      - .offset:         200
        .size:           8
        .value_kind:     hidden_global_offset_z
      - .offset:         208
        .size:           2
        .value_kind:     hidden_grid_dims
    .group_segment_fixed_size: 32768
    .kernarg_segment_align: 8
    .kernarg_segment_size: 400
    .language:       OpenCL C
    .language_version:
      - 2
      - 0
    .max_flat_workgroup_size: 1024
    .name:           _ZL30rocblas_trmm_outofplace_kernelI19rocblas_complex_numIdELi32ELi2ELb0ELb0ELb0ELb0ES1_KS1_S1_Ev17rocblas_diagonal_iiT6_lPT7_lllS6_lllPT8_llli
    .private_segment_fixed_size: 0
    .sgpr_count:     66
    .sgpr_spill_count: 0
    .symbol:         _ZL30rocblas_trmm_outofplace_kernelI19rocblas_complex_numIdELi32ELi2ELb0ELb0ELb0ELb0ES1_KS1_S1_Ev17rocblas_diagonal_iiT6_lPT7_lllS6_lllPT8_llli.kd
    .uniform_work_group_size: 1
    .uses_dynamic_stack: false
    .vgpr_count:     91
    .vgpr_spill_count: 0
    .wavefront_size: 32
    .workgroup_processor_mode: 1
  - .args:
      - .offset:         0
        .size:           4
        .value_kind:     by_value
      - .offset:         4
        .size:           4
        .value_kind:     by_value
      - .offset:         8
        .size:           4
        .value_kind:     by_value
      - .address_space:  global
        .offset:         16
        .size:           8
        .value_kind:     global_buffer
      - .offset:         24
        .size:           8
        .value_kind:     by_value
      - .address_space:  global
        .offset:         32
        .size:           8
        .value_kind:     global_buffer
      - .offset:         40
        .size:           8
        .value_kind:     by_value
      - .offset:         48
        .size:           8
        .value_kind:     by_value
      - .offset:         56
        .size:           8
        .value_kind:     by_value
      - .address_space:  global
        .offset:         64
        .size:           8
        .value_kind:     global_buffer
      - .offset:         72
        .size:           8
        .value_kind:     by_value
      - .offset:         80
        .size:           8
        .value_kind:     by_value
      - .offset:         88
        .size:           8
        .value_kind:     by_value
      - .address_space:  global
        .offset:         96
        .size:           8
        .value_kind:     global_buffer
      - .offset:         104
        .size:           8
        .value_kind:     by_value
      - .offset:         112
        .size:           8
        .value_kind:     by_value
      - .offset:         120
        .size:           8
        .value_kind:     by_value
      - .offset:         128
        .size:           4
        .value_kind:     by_value
      - .offset:         136
        .size:           4
        .value_kind:     hidden_block_count_x
      - .offset:         140
        .size:           4
        .value_kind:     hidden_block_count_y
      - .offset:         144
        .size:           4
        .value_kind:     hidden_block_count_z
      - .offset:         148
        .size:           2
        .value_kind:     hidden_group_size_x
      - .offset:         150
        .size:           2
        .value_kind:     hidden_group_size_y
      - .offset:         152
        .size:           2
        .value_kind:     hidden_group_size_z
      - .offset:         154
        .size:           2
        .value_kind:     hidden_remainder_x
      - .offset:         156
        .size:           2
        .value_kind:     hidden_remainder_y
      - .offset:         158
        .size:           2
        .value_kind:     hidden_remainder_z
      - .offset:         176
        .size:           8
        .value_kind:     hidden_global_offset_x
      - .offset:         184
        .size:           8
        .value_kind:     hidden_global_offset_y
      - .offset:         192
        .size:           8
        .value_kind:     hidden_global_offset_z
      - .offset:         200
        .size:           2
        .value_kind:     hidden_grid_dims
    .group_segment_fixed_size: 32768
    .kernarg_segment_align: 8
    .kernarg_segment_size: 392
    .language:       OpenCL C
    .language_version:
      - 2
      - 0
    .max_flat_workgroup_size: 1024
    .name:           _ZL30rocblas_trmm_outofplace_kernelI19rocblas_complex_numIdELi32ELi2ELb0ELb1ELb0ELb0EPKS1_S2_S1_Ev17rocblas_diagonal_iiT6_lPT7_lllS7_lllPT8_llli
    .private_segment_fixed_size: 0
    .sgpr_count:     62
    .sgpr_spill_count: 0
    .symbol:         _ZL30rocblas_trmm_outofplace_kernelI19rocblas_complex_numIdELi32ELi2ELb0ELb1ELb0ELb0EPKS1_S2_S1_Ev17rocblas_diagonal_iiT6_lPT7_lllS7_lllPT8_llli.kd
    .uniform_work_group_size: 1
    .uses_dynamic_stack: false
    .vgpr_count:     94
    .vgpr_spill_count: 0
    .wavefront_size: 32
    .workgroup_processor_mode: 1
  - .args:
      - .offset:         0
        .size:           4
        .value_kind:     by_value
      - .offset:         4
        .size:           4
        .value_kind:     by_value
      - .offset:         8
        .size:           4
        .value_kind:     by_value
      - .offset:         16
        .size:           16
        .value_kind:     by_value
      - .offset:         32
        .size:           8
        .value_kind:     by_value
      - .address_space:  global
        .offset:         40
        .size:           8
        .value_kind:     global_buffer
      - .offset:         48
        .size:           8
        .value_kind:     by_value
      - .offset:         56
        .size:           8
        .value_kind:     by_value
      - .offset:         64
        .size:           8
        .value_kind:     by_value
      - .address_space:  global
        .offset:         72
        .size:           8
        .value_kind:     global_buffer
      - .offset:         80
        .size:           8
        .value_kind:     by_value
      - .offset:         88
        .size:           8
        .value_kind:     by_value
      - .offset:         96
        .size:           8
        .value_kind:     by_value
      - .address_space:  global
        .offset:         104
        .size:           8
        .value_kind:     global_buffer
      - .offset:         112
        .size:           8
        .value_kind:     by_value
      - .offset:         120
        .size:           8
        .value_kind:     by_value
      - .offset:         128
        .size:           8
        .value_kind:     by_value
      - .offset:         136
        .size:           4
        .value_kind:     by_value
      - .offset:         144
        .size:           4
        .value_kind:     hidden_block_count_x
      - .offset:         148
        .size:           4
        .value_kind:     hidden_block_count_y
      - .offset:         152
        .size:           4
        .value_kind:     hidden_block_count_z
      - .offset:         156
        .size:           2
        .value_kind:     hidden_group_size_x
      - .offset:         158
        .size:           2
        .value_kind:     hidden_group_size_y
      - .offset:         160
        .size:           2
        .value_kind:     hidden_group_size_z
      - .offset:         162
        .size:           2
        .value_kind:     hidden_remainder_x
      - .offset:         164
        .size:           2
        .value_kind:     hidden_remainder_y
      - .offset:         166
        .size:           2
        .value_kind:     hidden_remainder_z
      - .offset:         184
        .size:           8
        .value_kind:     hidden_global_offset_x
      - .offset:         192
        .size:           8
        .value_kind:     hidden_global_offset_y
      - .offset:         200
        .size:           8
        .value_kind:     hidden_global_offset_z
      - .offset:         208
        .size:           2
        .value_kind:     hidden_grid_dims
    .group_segment_fixed_size: 32768
    .kernarg_segment_align: 8
    .kernarg_segment_size: 400
    .language:       OpenCL C
    .language_version:
      - 2
      - 0
    .max_flat_workgroup_size: 1024
    .name:           _ZL30rocblas_trmm_outofplace_kernelI19rocblas_complex_numIdELi32ELi2ELb0ELb1ELb0ELb0ES1_KS1_S1_Ev17rocblas_diagonal_iiT6_lPT7_lllS6_lllPT8_llli
    .private_segment_fixed_size: 0
    .sgpr_count:     62
    .sgpr_spill_count: 0
    .symbol:         _ZL30rocblas_trmm_outofplace_kernelI19rocblas_complex_numIdELi32ELi2ELb0ELb1ELb0ELb0ES1_KS1_S1_Ev17rocblas_diagonal_iiT6_lPT7_lllS6_lllPT8_llli.kd
    .uniform_work_group_size: 1
    .uses_dynamic_stack: false
    .vgpr_count:     90
    .vgpr_spill_count: 0
    .wavefront_size: 32
    .workgroup_processor_mode: 1
  - .args:
      - .offset:         0
        .size:           4
        .value_kind:     by_value
      - .offset:         4
        .size:           4
        .value_kind:     by_value
      - .offset:         8
        .size:           4
        .value_kind:     by_value
      - .address_space:  global
        .offset:         16
        .size:           8
        .value_kind:     global_buffer
      - .offset:         24
        .size:           8
        .value_kind:     by_value
      - .address_space:  global
        .offset:         32
        .size:           8
        .value_kind:     global_buffer
      - .offset:         40
        .size:           8
        .value_kind:     by_value
      - .offset:         48
        .size:           8
        .value_kind:     by_value
      - .offset:         56
        .size:           8
        .value_kind:     by_value
      - .address_space:  global
        .offset:         64
        .size:           8
        .value_kind:     global_buffer
      - .offset:         72
        .size:           8
        .value_kind:     by_value
      - .offset:         80
        .size:           8
        .value_kind:     by_value
      - .offset:         88
        .size:           8
        .value_kind:     by_value
      - .address_space:  global
        .offset:         96
        .size:           8
        .value_kind:     global_buffer
      - .offset:         104
        .size:           8
        .value_kind:     by_value
      - .offset:         112
        .size:           8
        .value_kind:     by_value
      - .offset:         120
        .size:           8
        .value_kind:     by_value
      - .offset:         128
        .size:           4
        .value_kind:     by_value
      - .offset:         136
        .size:           4
        .value_kind:     hidden_block_count_x
      - .offset:         140
        .size:           4
        .value_kind:     hidden_block_count_y
      - .offset:         144
        .size:           4
        .value_kind:     hidden_block_count_z
      - .offset:         148
        .size:           2
        .value_kind:     hidden_group_size_x
      - .offset:         150
        .size:           2
        .value_kind:     hidden_group_size_y
      - .offset:         152
        .size:           2
        .value_kind:     hidden_group_size_z
      - .offset:         154
        .size:           2
        .value_kind:     hidden_remainder_x
      - .offset:         156
        .size:           2
        .value_kind:     hidden_remainder_y
      - .offset:         158
        .size:           2
        .value_kind:     hidden_remainder_z
      - .offset:         176
        .size:           8
        .value_kind:     hidden_global_offset_x
      - .offset:         184
        .size:           8
        .value_kind:     hidden_global_offset_y
      - .offset:         192
        .size:           8
        .value_kind:     hidden_global_offset_z
      - .offset:         200
        .size:           2
        .value_kind:     hidden_grid_dims
    .group_segment_fixed_size: 32768
    .kernarg_segment_align: 8
    .kernarg_segment_size: 392
    .language:       OpenCL C
    .language_version:
      - 2
      - 0
    .max_flat_workgroup_size: 1024
    .name:           _ZL30rocblas_trmm_outofplace_kernelI19rocblas_complex_numIdELi32ELi2ELb0ELb0ELb1ELb0EPKS1_S2_S1_Ev17rocblas_diagonal_iiT6_lPT7_lllS7_lllPT8_llli
    .private_segment_fixed_size: 0
    .sgpr_count:     56
    .sgpr_spill_count: 0
    .symbol:         _ZL30rocblas_trmm_outofplace_kernelI19rocblas_complex_numIdELi32ELi2ELb0ELb0ELb1ELb0EPKS1_S2_S1_Ev17rocblas_diagonal_iiT6_lPT7_lllS7_lllPT8_llli.kd
    .uniform_work_group_size: 1
    .uses_dynamic_stack: false
    .vgpr_count:     103
    .vgpr_spill_count: 0
    .wavefront_size: 32
    .workgroup_processor_mode: 1
  - .args:
      - .offset:         0
        .size:           4
        .value_kind:     by_value
      - .offset:         4
        .size:           4
        .value_kind:     by_value
      - .offset:         8
        .size:           4
        .value_kind:     by_value
      - .offset:         16
        .size:           16
        .value_kind:     by_value
      - .offset:         32
        .size:           8
        .value_kind:     by_value
      - .address_space:  global
        .offset:         40
        .size:           8
        .value_kind:     global_buffer
      - .offset:         48
        .size:           8
        .value_kind:     by_value
      - .offset:         56
        .size:           8
        .value_kind:     by_value
      - .offset:         64
        .size:           8
        .value_kind:     by_value
      - .address_space:  global
        .offset:         72
        .size:           8
        .value_kind:     global_buffer
      - .offset:         80
        .size:           8
        .value_kind:     by_value
      - .offset:         88
        .size:           8
        .value_kind:     by_value
      - .offset:         96
        .size:           8
        .value_kind:     by_value
      - .address_space:  global
        .offset:         104
        .size:           8
        .value_kind:     global_buffer
      - .offset:         112
        .size:           8
        .value_kind:     by_value
      - .offset:         120
        .size:           8
        .value_kind:     by_value
      - .offset:         128
        .size:           8
        .value_kind:     by_value
      - .offset:         136
        .size:           4
        .value_kind:     by_value
      - .offset:         144
        .size:           4
        .value_kind:     hidden_block_count_x
      - .offset:         148
        .size:           4
        .value_kind:     hidden_block_count_y
      - .offset:         152
        .size:           4
        .value_kind:     hidden_block_count_z
      - .offset:         156
        .size:           2
        .value_kind:     hidden_group_size_x
      - .offset:         158
        .size:           2
        .value_kind:     hidden_group_size_y
      - .offset:         160
        .size:           2
        .value_kind:     hidden_group_size_z
      - .offset:         162
        .size:           2
        .value_kind:     hidden_remainder_x
      - .offset:         164
        .size:           2
        .value_kind:     hidden_remainder_y
      - .offset:         166
        .size:           2
        .value_kind:     hidden_remainder_z
      - .offset:         184
        .size:           8
        .value_kind:     hidden_global_offset_x
      - .offset:         192
        .size:           8
        .value_kind:     hidden_global_offset_y
      - .offset:         200
        .size:           8
        .value_kind:     hidden_global_offset_z
      - .offset:         208
        .size:           2
        .value_kind:     hidden_grid_dims
    .group_segment_fixed_size: 32768
    .kernarg_segment_align: 8
    .kernarg_segment_size: 400
    .language:       OpenCL C
    .language_version:
      - 2
      - 0
    .max_flat_workgroup_size: 1024
    .name:           _ZL30rocblas_trmm_outofplace_kernelI19rocblas_complex_numIdELi32ELi2ELb0ELb0ELb1ELb0ES1_KS1_S1_Ev17rocblas_diagonal_iiT6_lPT7_lllS6_lllPT8_llli
    .private_segment_fixed_size: 0
    .sgpr_count:     56
    .sgpr_spill_count: 0
    .symbol:         _ZL30rocblas_trmm_outofplace_kernelI19rocblas_complex_numIdELi32ELi2ELb0ELb0ELb1ELb0ES1_KS1_S1_Ev17rocblas_diagonal_iiT6_lPT7_lllS6_lllPT8_llli.kd
    .uniform_work_group_size: 1
    .uses_dynamic_stack: false
    .vgpr_count:     94
    .vgpr_spill_count: 0
    .wavefront_size: 32
    .workgroup_processor_mode: 1
  - .args:
      - .offset:         0
        .size:           4
        .value_kind:     by_value
      - .offset:         4
        .size:           4
        .value_kind:     by_value
      - .offset:         8
        .size:           4
        .value_kind:     by_value
      - .address_space:  global
        .offset:         16
        .size:           8
        .value_kind:     global_buffer
      - .offset:         24
        .size:           8
        .value_kind:     by_value
      - .address_space:  global
        .offset:         32
        .size:           8
        .value_kind:     global_buffer
      - .offset:         40
        .size:           8
        .value_kind:     by_value
      - .offset:         48
        .size:           8
        .value_kind:     by_value
      - .offset:         56
        .size:           8
        .value_kind:     by_value
      - .address_space:  global
        .offset:         64
        .size:           8
        .value_kind:     global_buffer
      - .offset:         72
        .size:           8
        .value_kind:     by_value
      - .offset:         80
        .size:           8
        .value_kind:     by_value
      - .offset:         88
        .size:           8
        .value_kind:     by_value
      - .address_space:  global
        .offset:         96
        .size:           8
        .value_kind:     global_buffer
      - .offset:         104
        .size:           8
        .value_kind:     by_value
      - .offset:         112
        .size:           8
        .value_kind:     by_value
      - .offset:         120
        .size:           8
        .value_kind:     by_value
      - .offset:         128
        .size:           4
        .value_kind:     by_value
      - .offset:         136
        .size:           4
        .value_kind:     hidden_block_count_x
      - .offset:         140
        .size:           4
        .value_kind:     hidden_block_count_y
      - .offset:         144
        .size:           4
        .value_kind:     hidden_block_count_z
      - .offset:         148
        .size:           2
        .value_kind:     hidden_group_size_x
      - .offset:         150
        .size:           2
        .value_kind:     hidden_group_size_y
      - .offset:         152
        .size:           2
        .value_kind:     hidden_group_size_z
      - .offset:         154
        .size:           2
        .value_kind:     hidden_remainder_x
      - .offset:         156
        .size:           2
        .value_kind:     hidden_remainder_y
      - .offset:         158
        .size:           2
        .value_kind:     hidden_remainder_z
      - .offset:         176
        .size:           8
        .value_kind:     hidden_global_offset_x
      - .offset:         184
        .size:           8
        .value_kind:     hidden_global_offset_y
      - .offset:         192
        .size:           8
        .value_kind:     hidden_global_offset_z
      - .offset:         200
        .size:           2
        .value_kind:     hidden_grid_dims
    .group_segment_fixed_size: 32768
    .kernarg_segment_align: 8
    .kernarg_segment_size: 392
    .language:       OpenCL C
    .language_version:
      - 2
      - 0
    .max_flat_workgroup_size: 1024
    .name:           _ZL30rocblas_trmm_outofplace_kernelI19rocblas_complex_numIdELi32ELi2ELb0ELb1ELb1ELb0EPKS1_S2_S1_Ev17rocblas_diagonal_iiT6_lPT7_lllS7_lllPT8_llli
    .private_segment_fixed_size: 0
    .sgpr_count:     72
    .sgpr_spill_count: 0
    .symbol:         _ZL30rocblas_trmm_outofplace_kernelI19rocblas_complex_numIdELi32ELi2ELb0ELb1ELb1ELb0EPKS1_S2_S1_Ev17rocblas_diagonal_iiT6_lPT7_lllS7_lllPT8_llli.kd
    .uniform_work_group_size: 1
    .uses_dynamic_stack: false
    .vgpr_count:     93
    .vgpr_spill_count: 0
    .wavefront_size: 32
    .workgroup_processor_mode: 1
  - .args:
      - .offset:         0
        .size:           4
        .value_kind:     by_value
      - .offset:         4
        .size:           4
        .value_kind:     by_value
      - .offset:         8
        .size:           4
        .value_kind:     by_value
      - .offset:         16
        .size:           16
        .value_kind:     by_value
      - .offset:         32
        .size:           8
        .value_kind:     by_value
      - .address_space:  global
        .offset:         40
        .size:           8
        .value_kind:     global_buffer
      - .offset:         48
        .size:           8
        .value_kind:     by_value
      - .offset:         56
        .size:           8
        .value_kind:     by_value
      - .offset:         64
        .size:           8
        .value_kind:     by_value
      - .address_space:  global
        .offset:         72
        .size:           8
        .value_kind:     global_buffer
      - .offset:         80
        .size:           8
        .value_kind:     by_value
      - .offset:         88
        .size:           8
        .value_kind:     by_value
      - .offset:         96
        .size:           8
        .value_kind:     by_value
      - .address_space:  global
        .offset:         104
        .size:           8
        .value_kind:     global_buffer
      - .offset:         112
        .size:           8
        .value_kind:     by_value
      - .offset:         120
        .size:           8
        .value_kind:     by_value
      - .offset:         128
        .size:           8
        .value_kind:     by_value
      - .offset:         136
        .size:           4
        .value_kind:     by_value
      - .offset:         144
        .size:           4
        .value_kind:     hidden_block_count_x
      - .offset:         148
        .size:           4
        .value_kind:     hidden_block_count_y
      - .offset:         152
        .size:           4
        .value_kind:     hidden_block_count_z
      - .offset:         156
        .size:           2
        .value_kind:     hidden_group_size_x
      - .offset:         158
        .size:           2
        .value_kind:     hidden_group_size_y
      - .offset:         160
        .size:           2
        .value_kind:     hidden_group_size_z
      - .offset:         162
        .size:           2
        .value_kind:     hidden_remainder_x
      - .offset:         164
        .size:           2
        .value_kind:     hidden_remainder_y
      - .offset:         166
        .size:           2
        .value_kind:     hidden_remainder_z
      - .offset:         184
        .size:           8
        .value_kind:     hidden_global_offset_x
      - .offset:         192
        .size:           8
        .value_kind:     hidden_global_offset_y
      - .offset:         200
        .size:           8
        .value_kind:     hidden_global_offset_z
      - .offset:         208
        .size:           2
        .value_kind:     hidden_grid_dims
    .group_segment_fixed_size: 32768
    .kernarg_segment_align: 8
    .kernarg_segment_size: 400
    .language:       OpenCL C
    .language_version:
      - 2
      - 0
    .max_flat_workgroup_size: 1024
    .name:           _ZL30rocblas_trmm_outofplace_kernelI19rocblas_complex_numIdELi32ELi2ELb0ELb1ELb1ELb0ES1_KS1_S1_Ev17rocblas_diagonal_iiT6_lPT7_lllS6_lllPT8_llli
    .private_segment_fixed_size: 0
    .sgpr_count:     72
    .sgpr_spill_count: 0
    .symbol:         _ZL30rocblas_trmm_outofplace_kernelI19rocblas_complex_numIdELi32ELi2ELb0ELb1ELb1ELb0ES1_KS1_S1_Ev17rocblas_diagonal_iiT6_lPT7_lllS6_lllPT8_llli.kd
    .uniform_work_group_size: 1
    .uses_dynamic_stack: false
    .vgpr_count:     91
    .vgpr_spill_count: 0
    .wavefront_size: 32
    .workgroup_processor_mode: 1
  - .args:
      - .offset:         0
        .size:           4
        .value_kind:     by_value
      - .offset:         4
        .size:           4
        .value_kind:     by_value
      - .offset:         8
        .size:           4
        .value_kind:     by_value
      - .address_space:  global
        .offset:         16
        .size:           8
        .value_kind:     global_buffer
      - .offset:         24
        .size:           8
        .value_kind:     by_value
      - .address_space:  global
        .offset:         32
        .size:           8
        .value_kind:     global_buffer
      - .offset:         40
        .size:           8
        .value_kind:     by_value
      - .offset:         48
        .size:           8
        .value_kind:     by_value
      - .offset:         56
        .size:           8
        .value_kind:     by_value
      - .address_space:  global
        .offset:         64
        .size:           8
        .value_kind:     global_buffer
      - .offset:         72
        .size:           8
        .value_kind:     by_value
      - .offset:         80
        .size:           8
        .value_kind:     by_value
      - .offset:         88
        .size:           8
        .value_kind:     by_value
      - .address_space:  global
        .offset:         96
        .size:           8
        .value_kind:     global_buffer
      - .offset:         104
        .size:           8
        .value_kind:     by_value
      - .offset:         112
        .size:           8
        .value_kind:     by_value
      - .offset:         120
        .size:           8
        .value_kind:     by_value
      - .offset:         128
        .size:           4
        .value_kind:     by_value
      - .offset:         136
        .size:           4
        .value_kind:     hidden_block_count_x
      - .offset:         140
        .size:           4
        .value_kind:     hidden_block_count_y
      - .offset:         144
        .size:           4
        .value_kind:     hidden_block_count_z
      - .offset:         148
        .size:           2
        .value_kind:     hidden_group_size_x
      - .offset:         150
        .size:           2
        .value_kind:     hidden_group_size_y
      - .offset:         152
        .size:           2
        .value_kind:     hidden_group_size_z
      - .offset:         154
        .size:           2
        .value_kind:     hidden_remainder_x
      - .offset:         156
        .size:           2
        .value_kind:     hidden_remainder_y
      - .offset:         158
        .size:           2
        .value_kind:     hidden_remainder_z
      - .offset:         176
        .size:           8
        .value_kind:     hidden_global_offset_x
      - .offset:         184
        .size:           8
        .value_kind:     hidden_global_offset_y
      - .offset:         192
        .size:           8
        .value_kind:     hidden_global_offset_z
      - .offset:         200
        .size:           2
        .value_kind:     hidden_grid_dims
    .group_segment_fixed_size: 32768
    .kernarg_segment_align: 8
    .kernarg_segment_size: 392
    .language:       OpenCL C
    .language_version:
      - 2
      - 0
    .max_flat_workgroup_size: 1024
    .name:           _ZL30rocblas_trmm_outofplace_kernelI19rocblas_complex_numIdELi32ELi2ELb0ELb0ELb1ELb1EPKS1_S2_S1_Ev17rocblas_diagonal_iiT6_lPT7_lllS7_lllPT8_llli
    .private_segment_fixed_size: 0
    .sgpr_count:     56
    .sgpr_spill_count: 0
    .symbol:         _ZL30rocblas_trmm_outofplace_kernelI19rocblas_complex_numIdELi32ELi2ELb0ELb0ELb1ELb1EPKS1_S2_S1_Ev17rocblas_diagonal_iiT6_lPT7_lllS7_lllPT8_llli.kd
    .uniform_work_group_size: 1
    .uses_dynamic_stack: false
    .vgpr_count:     100
    .vgpr_spill_count: 0
    .wavefront_size: 32
    .workgroup_processor_mode: 1
  - .args:
      - .offset:         0
        .size:           4
        .value_kind:     by_value
      - .offset:         4
        .size:           4
        .value_kind:     by_value
      - .offset:         8
        .size:           4
        .value_kind:     by_value
      - .offset:         16
        .size:           16
        .value_kind:     by_value
      - .offset:         32
        .size:           8
        .value_kind:     by_value
      - .address_space:  global
        .offset:         40
        .size:           8
        .value_kind:     global_buffer
      - .offset:         48
        .size:           8
        .value_kind:     by_value
      - .offset:         56
        .size:           8
        .value_kind:     by_value
      - .offset:         64
        .size:           8
        .value_kind:     by_value
      - .address_space:  global
        .offset:         72
        .size:           8
        .value_kind:     global_buffer
      - .offset:         80
        .size:           8
        .value_kind:     by_value
      - .offset:         88
        .size:           8
        .value_kind:     by_value
      - .offset:         96
        .size:           8
        .value_kind:     by_value
      - .address_space:  global
        .offset:         104
        .size:           8
        .value_kind:     global_buffer
      - .offset:         112
        .size:           8
        .value_kind:     by_value
      - .offset:         120
        .size:           8
        .value_kind:     by_value
      - .offset:         128
        .size:           8
        .value_kind:     by_value
      - .offset:         136
        .size:           4
        .value_kind:     by_value
      - .offset:         144
        .size:           4
        .value_kind:     hidden_block_count_x
      - .offset:         148
        .size:           4
        .value_kind:     hidden_block_count_y
      - .offset:         152
        .size:           4
        .value_kind:     hidden_block_count_z
      - .offset:         156
        .size:           2
        .value_kind:     hidden_group_size_x
      - .offset:         158
        .size:           2
        .value_kind:     hidden_group_size_y
      - .offset:         160
        .size:           2
        .value_kind:     hidden_group_size_z
      - .offset:         162
        .size:           2
        .value_kind:     hidden_remainder_x
      - .offset:         164
        .size:           2
        .value_kind:     hidden_remainder_y
      - .offset:         166
        .size:           2
        .value_kind:     hidden_remainder_z
      - .offset:         184
        .size:           8
        .value_kind:     hidden_global_offset_x
      - .offset:         192
        .size:           8
        .value_kind:     hidden_global_offset_y
      - .offset:         200
        .size:           8
        .value_kind:     hidden_global_offset_z
      - .offset:         208
        .size:           2
        .value_kind:     hidden_grid_dims
    .group_segment_fixed_size: 32768
    .kernarg_segment_align: 8
    .kernarg_segment_size: 400
    .language:       OpenCL C
    .language_version:
      - 2
      - 0
    .max_flat_workgroup_size: 1024
    .name:           _ZL30rocblas_trmm_outofplace_kernelI19rocblas_complex_numIdELi32ELi2ELb0ELb0ELb1ELb1ES1_KS1_S1_Ev17rocblas_diagonal_iiT6_lPT7_lllS6_lllPT8_llli
    .private_segment_fixed_size: 0
    .sgpr_count:     56
    .sgpr_spill_count: 0
    .symbol:         _ZL30rocblas_trmm_outofplace_kernelI19rocblas_complex_numIdELi32ELi2ELb0ELb0ELb1ELb1ES1_KS1_S1_Ev17rocblas_diagonal_iiT6_lPT7_lllS6_lllPT8_llli.kd
    .uniform_work_group_size: 1
    .uses_dynamic_stack: false
    .vgpr_count:     94
    .vgpr_spill_count: 0
    .wavefront_size: 32
    .workgroup_processor_mode: 1
  - .args:
      - .offset:         0
        .size:           4
        .value_kind:     by_value
      - .offset:         4
        .size:           4
        .value_kind:     by_value
      - .offset:         8
        .size:           4
        .value_kind:     by_value
      - .address_space:  global
        .offset:         16
        .size:           8
        .value_kind:     global_buffer
      - .offset:         24
        .size:           8
        .value_kind:     by_value
      - .address_space:  global
        .offset:         32
        .size:           8
        .value_kind:     global_buffer
      - .offset:         40
        .size:           8
        .value_kind:     by_value
      - .offset:         48
        .size:           8
        .value_kind:     by_value
      - .offset:         56
        .size:           8
        .value_kind:     by_value
      - .address_space:  global
        .offset:         64
        .size:           8
        .value_kind:     global_buffer
      - .offset:         72
        .size:           8
        .value_kind:     by_value
      - .offset:         80
        .size:           8
        .value_kind:     by_value
      - .offset:         88
        .size:           8
        .value_kind:     by_value
      - .address_space:  global
        .offset:         96
        .size:           8
        .value_kind:     global_buffer
      - .offset:         104
        .size:           8
        .value_kind:     by_value
      - .offset:         112
        .size:           8
        .value_kind:     by_value
      - .offset:         120
        .size:           8
        .value_kind:     by_value
      - .offset:         128
        .size:           4
        .value_kind:     by_value
      - .offset:         136
        .size:           4
        .value_kind:     hidden_block_count_x
      - .offset:         140
        .size:           4
        .value_kind:     hidden_block_count_y
      - .offset:         144
        .size:           4
        .value_kind:     hidden_block_count_z
      - .offset:         148
        .size:           2
        .value_kind:     hidden_group_size_x
      - .offset:         150
        .size:           2
        .value_kind:     hidden_group_size_y
      - .offset:         152
        .size:           2
        .value_kind:     hidden_group_size_z
      - .offset:         154
        .size:           2
        .value_kind:     hidden_remainder_x
      - .offset:         156
        .size:           2
        .value_kind:     hidden_remainder_y
      - .offset:         158
        .size:           2
        .value_kind:     hidden_remainder_z
      - .offset:         176
        .size:           8
        .value_kind:     hidden_global_offset_x
      - .offset:         184
        .size:           8
        .value_kind:     hidden_global_offset_y
      - .offset:         192
        .size:           8
        .value_kind:     hidden_global_offset_z
      - .offset:         200
        .size:           2
        .value_kind:     hidden_grid_dims
    .group_segment_fixed_size: 32768
    .kernarg_segment_align: 8
    .kernarg_segment_size: 392
    .language:       OpenCL C
    .language_version:
      - 2
      - 0
    .max_flat_workgroup_size: 1024
    .name:           _ZL30rocblas_trmm_outofplace_kernelI19rocblas_complex_numIdELi32ELi2ELb0ELb1ELb1ELb1EPKS1_S2_S1_Ev17rocblas_diagonal_iiT6_lPT7_lllS7_lllPT8_llli
    .private_segment_fixed_size: 0
    .sgpr_count:     68
    .sgpr_spill_count: 0
    .symbol:         _ZL30rocblas_trmm_outofplace_kernelI19rocblas_complex_numIdELi32ELi2ELb0ELb1ELb1ELb1EPKS1_S2_S1_Ev17rocblas_diagonal_iiT6_lPT7_lllS7_lllPT8_llli.kd
    .uniform_work_group_size: 1
    .uses_dynamic_stack: false
    .vgpr_count:     92
    .vgpr_spill_count: 0
    .wavefront_size: 32
    .workgroup_processor_mode: 1
  - .args:
      - .offset:         0
        .size:           4
        .value_kind:     by_value
      - .offset:         4
        .size:           4
        .value_kind:     by_value
      - .offset:         8
        .size:           4
        .value_kind:     by_value
      - .offset:         16
        .size:           16
        .value_kind:     by_value
      - .offset:         32
        .size:           8
        .value_kind:     by_value
      - .address_space:  global
        .offset:         40
        .size:           8
        .value_kind:     global_buffer
      - .offset:         48
        .size:           8
        .value_kind:     by_value
      - .offset:         56
        .size:           8
        .value_kind:     by_value
      - .offset:         64
        .size:           8
        .value_kind:     by_value
      - .address_space:  global
        .offset:         72
        .size:           8
        .value_kind:     global_buffer
      - .offset:         80
        .size:           8
        .value_kind:     by_value
      - .offset:         88
        .size:           8
        .value_kind:     by_value
      - .offset:         96
        .size:           8
        .value_kind:     by_value
      - .address_space:  global
        .offset:         104
        .size:           8
        .value_kind:     global_buffer
      - .offset:         112
        .size:           8
        .value_kind:     by_value
      - .offset:         120
        .size:           8
        .value_kind:     by_value
      - .offset:         128
        .size:           8
        .value_kind:     by_value
      - .offset:         136
        .size:           4
        .value_kind:     by_value
      - .offset:         144
        .size:           4
        .value_kind:     hidden_block_count_x
      - .offset:         148
        .size:           4
        .value_kind:     hidden_block_count_y
      - .offset:         152
        .size:           4
        .value_kind:     hidden_block_count_z
      - .offset:         156
        .size:           2
        .value_kind:     hidden_group_size_x
      - .offset:         158
        .size:           2
        .value_kind:     hidden_group_size_y
      - .offset:         160
        .size:           2
        .value_kind:     hidden_group_size_z
      - .offset:         162
        .size:           2
        .value_kind:     hidden_remainder_x
      - .offset:         164
        .size:           2
        .value_kind:     hidden_remainder_y
      - .offset:         166
        .size:           2
        .value_kind:     hidden_remainder_z
      - .offset:         184
        .size:           8
        .value_kind:     hidden_global_offset_x
      - .offset:         192
        .size:           8
        .value_kind:     hidden_global_offset_y
      - .offset:         200
        .size:           8
        .value_kind:     hidden_global_offset_z
      - .offset:         208
        .size:           2
        .value_kind:     hidden_grid_dims
    .group_segment_fixed_size: 32768
    .kernarg_segment_align: 8
    .kernarg_segment_size: 400
    .language:       OpenCL C
    .language_version:
      - 2
      - 0
    .max_flat_workgroup_size: 1024
    .name:           _ZL30rocblas_trmm_outofplace_kernelI19rocblas_complex_numIdELi32ELi2ELb0ELb1ELb1ELb1ES1_KS1_S1_Ev17rocblas_diagonal_iiT6_lPT7_lllS6_lllPT8_llli
    .private_segment_fixed_size: 0
    .sgpr_count:     68
    .sgpr_spill_count: 0
    .symbol:         _ZL30rocblas_trmm_outofplace_kernelI19rocblas_complex_numIdELi32ELi2ELb0ELb1ELb1ELb1ES1_KS1_S1_Ev17rocblas_diagonal_iiT6_lPT7_lllS6_lllPT8_llli.kd
    .uniform_work_group_size: 1
    .uses_dynamic_stack: false
    .vgpr_count:     88
    .vgpr_spill_count: 0
    .wavefront_size: 32
    .workgroup_processor_mode: 1
  - .args:
      - .offset:         0
        .size:           4
        .value_kind:     by_value
      - .offset:         4
        .size:           4
        .value_kind:     by_value
      - .offset:         8
        .size:           4
        .value_kind:     by_value
      - .offset:         12
        .size:           4
        .value_kind:     by_value
      - .address_space:  global
        .offset:         16
        .size:           8
        .value_kind:     global_buffer
      - .offset:         24
        .size:           8
        .value_kind:     by_value
      - .address_space:  global
        .offset:         32
        .size:           8
        .value_kind:     global_buffer
      - .offset:         40
        .size:           8
        .value_kind:     by_value
      - .offset:         48
        .size:           8
        .value_kind:     by_value
      - .address_space:  global
        .offset:         56
        .size:           8
        .value_kind:     global_buffer
      - .offset:         64
        .size:           8
        .value_kind:     by_value
      - .offset:         72
        .size:           8
        .value_kind:     by_value
      - .address_space:  global
        .offset:         80
        .size:           8
        .value_kind:     global_buffer
      - .offset:         88
        .size:           8
        .value_kind:     by_value
      - .offset:         96
        .size:           8
        .value_kind:     by_value
      - .offset:         104
        .size:           4
        .value_kind:     by_value
    .group_segment_fixed_size: 8192
    .kernarg_segment_align: 8
    .kernarg_segment_size: 108
    .language:       OpenCL C
    .language_version:
      - 2
      - 0
    .max_flat_workgroup_size: 256
    .name:           _ZL23rocblas_trmm_lNx_kernelILi16E19rocblas_complex_numIdEPKS1_S2_S1_Ev13rocblas_fill_17rocblas_diagonal_iiT1_lPT2_llS8_llPT3_lli
    .private_segment_fixed_size: 0
    .sgpr_count:     34
    .sgpr_spill_count: 0
    .symbol:         _ZL23rocblas_trmm_lNx_kernelILi16E19rocblas_complex_numIdEPKS1_S2_S1_Ev13rocblas_fill_17rocblas_diagonal_iiT1_lPT2_llS8_llPT3_lli.kd
    .uniform_work_group_size: 1
    .uses_dynamic_stack: false
    .vgpr_count:     58
    .vgpr_spill_count: 0
    .wavefront_size: 32
    .workgroup_processor_mode: 1
  - .args:
      - .offset:         0
        .size:           4
        .value_kind:     by_value
      - .offset:         4
        .size:           4
        .value_kind:     by_value
      - .offset:         8
        .size:           4
        .value_kind:     by_value
      - .offset:         12
        .size:           4
        .value_kind:     by_value
      - .offset:         16
        .size:           16
        .value_kind:     by_value
      - .offset:         32
        .size:           8
        .value_kind:     by_value
      - .address_space:  global
        .offset:         40
        .size:           8
        .value_kind:     global_buffer
      - .offset:         48
        .size:           8
        .value_kind:     by_value
      - .offset:         56
        .size:           8
        .value_kind:     by_value
      - .address_space:  global
        .offset:         64
        .size:           8
        .value_kind:     global_buffer
      - .offset:         72
        .size:           8
        .value_kind:     by_value
      - .offset:         80
        .size:           8
        .value_kind:     by_value
      - .address_space:  global
        .offset:         88
        .size:           8
        .value_kind:     global_buffer
      - .offset:         96
        .size:           8
        .value_kind:     by_value
      - .offset:         104
        .size:           8
        .value_kind:     by_value
      - .offset:         112
        .size:           4
        .value_kind:     by_value
    .group_segment_fixed_size: 8192
    .kernarg_segment_align: 8
    .kernarg_segment_size: 116
    .language:       OpenCL C
    .language_version:
      - 2
      - 0
    .max_flat_workgroup_size: 256
    .name:           _ZL23rocblas_trmm_lNx_kernelILi16E19rocblas_complex_numIdES1_KS1_S1_Ev13rocblas_fill_17rocblas_diagonal_iiT1_lPT2_llS7_llPT3_lli
    .private_segment_fixed_size: 0
    .sgpr_count:     37
    .sgpr_spill_count: 0
    .symbol:         _ZL23rocblas_trmm_lNx_kernelILi16E19rocblas_complex_numIdES1_KS1_S1_Ev13rocblas_fill_17rocblas_diagonal_iiT1_lPT2_llS7_llPT3_lli.kd
    .uniform_work_group_size: 1
    .uses_dynamic_stack: false
    .vgpr_count:     54
    .vgpr_spill_count: 0
    .wavefront_size: 32
    .workgroup_processor_mode: 1
  - .args:
      - .offset:         0
        .size:           4
        .value_kind:     by_value
      - .offset:         4
        .size:           4
        .value_kind:     by_value
      - .offset:         8
        .size:           4
        .value_kind:     by_value
      - .offset:         12
        .size:           4
        .value_kind:     by_value
      - .address_space:  global
        .offset:         16
        .size:           8
        .value_kind:     global_buffer
      - .offset:         24
        .size:           8
        .value_kind:     by_value
      - .address_space:  global
        .offset:         32
        .size:           8
        .value_kind:     global_buffer
      - .offset:         40
        .size:           8
        .value_kind:     by_value
      - .offset:         48
        .size:           8
        .value_kind:     by_value
      - .address_space:  global
        .offset:         56
        .size:           8
        .value_kind:     global_buffer
      - .offset:         64
        .size:           8
        .value_kind:     by_value
      - .offset:         72
        .size:           8
        .value_kind:     by_value
      - .address_space:  global
        .offset:         80
        .size:           8
        .value_kind:     global_buffer
      - .offset:         88
        .size:           8
        .value_kind:     by_value
      - .offset:         96
        .size:           8
        .value_kind:     by_value
      - .offset:         104
        .size:           4
        .value_kind:     by_value
    .group_segment_fixed_size: 8192
    .kernarg_segment_align: 8
    .kernarg_segment_size: 108
    .language:       OpenCL C
    .language_version:
      - 2
      - 0
    .max_flat_workgroup_size: 256
    .name:           _ZL23rocblas_trmm_lTx_kernelILi16ELb0E19rocblas_complex_numIdEPKS1_S2_S1_Ev13rocblas_fill_17rocblas_diagonal_iiT2_lPT3_llS8_llPT4_lli
    .private_segment_fixed_size: 0
    .sgpr_count:     34
    .sgpr_spill_count: 0
    .symbol:         _ZL23rocblas_trmm_lTx_kernelILi16ELb0E19rocblas_complex_numIdEPKS1_S2_S1_Ev13rocblas_fill_17rocblas_diagonal_iiT2_lPT3_llS8_llPT4_lli.kd
    .uniform_work_group_size: 1
    .uses_dynamic_stack: false
    .vgpr_count:     59
    .vgpr_spill_count: 0
    .wavefront_size: 32
    .workgroup_processor_mode: 1
  - .args:
      - .offset:         0
        .size:           4
        .value_kind:     by_value
      - .offset:         4
        .size:           4
        .value_kind:     by_value
      - .offset:         8
        .size:           4
        .value_kind:     by_value
      - .offset:         12
        .size:           4
        .value_kind:     by_value
      - .offset:         16
        .size:           16
        .value_kind:     by_value
      - .offset:         32
        .size:           8
        .value_kind:     by_value
      - .address_space:  global
        .offset:         40
        .size:           8
        .value_kind:     global_buffer
      - .offset:         48
        .size:           8
        .value_kind:     by_value
      - .offset:         56
        .size:           8
        .value_kind:     by_value
      - .address_space:  global
        .offset:         64
        .size:           8
        .value_kind:     global_buffer
      - .offset:         72
        .size:           8
        .value_kind:     by_value
      - .offset:         80
        .size:           8
        .value_kind:     by_value
      - .address_space:  global
        .offset:         88
        .size:           8
        .value_kind:     global_buffer
      - .offset:         96
        .size:           8
        .value_kind:     by_value
      - .offset:         104
        .size:           8
        .value_kind:     by_value
      - .offset:         112
        .size:           4
        .value_kind:     by_value
    .group_segment_fixed_size: 8192
    .kernarg_segment_align: 8
    .kernarg_segment_size: 116
    .language:       OpenCL C
    .language_version:
      - 2
      - 0
    .max_flat_workgroup_size: 256
    .name:           _ZL23rocblas_trmm_lTx_kernelILi16ELb0E19rocblas_complex_numIdES1_KS1_S1_Ev13rocblas_fill_17rocblas_diagonal_iiT2_lPT3_llS7_llPT4_lli
    .private_segment_fixed_size: 0
    .sgpr_count:     36
    .sgpr_spill_count: 0
    .symbol:         _ZL23rocblas_trmm_lTx_kernelILi16ELb0E19rocblas_complex_numIdES1_KS1_S1_Ev13rocblas_fill_17rocblas_diagonal_iiT2_lPT3_llS7_llPT4_lli.kd
    .uniform_work_group_size: 1
    .uses_dynamic_stack: false
    .vgpr_count:     55
    .vgpr_spill_count: 0
    .wavefront_size: 32
    .workgroup_processor_mode: 1
  - .args:
      - .offset:         0
        .size:           4
        .value_kind:     by_value
      - .offset:         4
        .size:           4
        .value_kind:     by_value
      - .offset:         8
        .size:           4
        .value_kind:     by_value
      - .offset:         12
        .size:           4
        .value_kind:     by_value
      - .address_space:  global
        .offset:         16
        .size:           8
        .value_kind:     global_buffer
      - .offset:         24
        .size:           8
        .value_kind:     by_value
      - .address_space:  global
        .offset:         32
        .size:           8
        .value_kind:     global_buffer
      - .offset:         40
        .size:           8
        .value_kind:     by_value
      - .offset:         48
        .size:           8
        .value_kind:     by_value
      - .address_space:  global
        .offset:         56
        .size:           8
        .value_kind:     global_buffer
      - .offset:         64
        .size:           8
        .value_kind:     by_value
      - .offset:         72
        .size:           8
        .value_kind:     by_value
      - .address_space:  global
        .offset:         80
        .size:           8
        .value_kind:     global_buffer
      - .offset:         88
        .size:           8
        .value_kind:     by_value
      - .offset:         96
        .size:           8
        .value_kind:     by_value
      - .offset:         104
        .size:           4
        .value_kind:     by_value
    .group_segment_fixed_size: 8192
    .kernarg_segment_align: 8
    .kernarg_segment_size: 108
    .language:       OpenCL C
    .language_version:
      - 2
      - 0
    .max_flat_workgroup_size: 256
    .name:           _ZL23rocblas_trmm_lTx_kernelILi16ELb1E19rocblas_complex_numIdEPKS1_S2_S1_Ev13rocblas_fill_17rocblas_diagonal_iiT2_lPT3_llS8_llPT4_lli
    .private_segment_fixed_size: 0
    .sgpr_count:     34
    .sgpr_spill_count: 0
    .symbol:         _ZL23rocblas_trmm_lTx_kernelILi16ELb1E19rocblas_complex_numIdEPKS1_S2_S1_Ev13rocblas_fill_17rocblas_diagonal_iiT2_lPT3_llS8_llPT4_lli.kd
    .uniform_work_group_size: 1
    .uses_dynamic_stack: false
    .vgpr_count:     59
    .vgpr_spill_count: 0
    .wavefront_size: 32
    .workgroup_processor_mode: 1
  - .args:
      - .offset:         0
        .size:           4
        .value_kind:     by_value
      - .offset:         4
        .size:           4
        .value_kind:     by_value
      - .offset:         8
        .size:           4
        .value_kind:     by_value
      - .offset:         12
        .size:           4
        .value_kind:     by_value
      - .offset:         16
        .size:           16
        .value_kind:     by_value
      - .offset:         32
        .size:           8
        .value_kind:     by_value
      - .address_space:  global
        .offset:         40
        .size:           8
        .value_kind:     global_buffer
      - .offset:         48
        .size:           8
        .value_kind:     by_value
      - .offset:         56
        .size:           8
        .value_kind:     by_value
      - .address_space:  global
        .offset:         64
        .size:           8
        .value_kind:     global_buffer
      - .offset:         72
        .size:           8
        .value_kind:     by_value
      - .offset:         80
        .size:           8
        .value_kind:     by_value
      - .address_space:  global
        .offset:         88
        .size:           8
        .value_kind:     global_buffer
      - .offset:         96
        .size:           8
        .value_kind:     by_value
      - .offset:         104
        .size:           8
        .value_kind:     by_value
      - .offset:         112
        .size:           4
        .value_kind:     by_value
    .group_segment_fixed_size: 8192
    .kernarg_segment_align: 8
    .kernarg_segment_size: 116
    .language:       OpenCL C
    .language_version:
      - 2
      - 0
    .max_flat_workgroup_size: 256
    .name:           _ZL23rocblas_trmm_lTx_kernelILi16ELb1E19rocblas_complex_numIdES1_KS1_S1_Ev13rocblas_fill_17rocblas_diagonal_iiT2_lPT3_llS7_llPT4_lli
    .private_segment_fixed_size: 0
    .sgpr_count:     36
    .sgpr_spill_count: 0
    .symbol:         _ZL23rocblas_trmm_lTx_kernelILi16ELb1E19rocblas_complex_numIdES1_KS1_S1_Ev13rocblas_fill_17rocblas_diagonal_iiT2_lPT3_llS7_llPT4_lli.kd
    .uniform_work_group_size: 1
    .uses_dynamic_stack: false
    .vgpr_count:     55
    .vgpr_spill_count: 0
    .wavefront_size: 32
    .workgroup_processor_mode: 1
  - .args:
      - .offset:         0
        .size:           4
        .value_kind:     by_value
      - .offset:         4
        .size:           4
        .value_kind:     by_value
      - .offset:         8
        .size:           4
        .value_kind:     by_value
      - .offset:         12
        .size:           4
        .value_kind:     by_value
      - .address_space:  global
        .offset:         16
        .size:           8
        .value_kind:     global_buffer
      - .offset:         24
        .size:           8
        .value_kind:     by_value
      - .address_space:  global
        .offset:         32
        .size:           8
        .value_kind:     global_buffer
      - .offset:         40
        .size:           8
        .value_kind:     by_value
      - .offset:         48
        .size:           8
        .value_kind:     by_value
      - .address_space:  global
        .offset:         56
        .size:           8
        .value_kind:     global_buffer
      - .offset:         64
        .size:           8
        .value_kind:     by_value
      - .offset:         72
        .size:           8
        .value_kind:     by_value
      - .address_space:  global
        .offset:         80
        .size:           8
        .value_kind:     global_buffer
      - .offset:         88
        .size:           8
        .value_kind:     by_value
      - .offset:         96
        .size:           8
        .value_kind:     by_value
      - .offset:         104
        .size:           4
        .value_kind:     by_value
    .group_segment_fixed_size: 8192
    .kernarg_segment_align: 8
    .kernarg_segment_size: 108
    .language:       OpenCL C
    .language_version:
      - 2
      - 0
    .max_flat_workgroup_size: 256
    .name:           _ZL23rocblas_trmm_rNx_kernelILi16E19rocblas_complex_numIdEPKS1_S2_S1_Ev13rocblas_fill_17rocblas_diagonal_iiT1_lPT2_llS8_llPT3_lli
    .private_segment_fixed_size: 0
    .sgpr_count:     34
    .sgpr_spill_count: 0
    .symbol:         _ZL23rocblas_trmm_rNx_kernelILi16E19rocblas_complex_numIdEPKS1_S2_S1_Ev13rocblas_fill_17rocblas_diagonal_iiT1_lPT2_llS8_llPT3_lli.kd
    .uniform_work_group_size: 1
    .uses_dynamic_stack: false
    .vgpr_count:     58
    .vgpr_spill_count: 0
    .wavefront_size: 32
    .workgroup_processor_mode: 1
  - .args:
      - .offset:         0
        .size:           4
        .value_kind:     by_value
      - .offset:         4
        .size:           4
        .value_kind:     by_value
      - .offset:         8
        .size:           4
        .value_kind:     by_value
      - .offset:         12
        .size:           4
        .value_kind:     by_value
      - .offset:         16
        .size:           16
        .value_kind:     by_value
      - .offset:         32
        .size:           8
        .value_kind:     by_value
      - .address_space:  global
        .offset:         40
        .size:           8
        .value_kind:     global_buffer
      - .offset:         48
        .size:           8
        .value_kind:     by_value
      - .offset:         56
        .size:           8
        .value_kind:     by_value
      - .address_space:  global
        .offset:         64
        .size:           8
        .value_kind:     global_buffer
      - .offset:         72
        .size:           8
        .value_kind:     by_value
      - .offset:         80
        .size:           8
        .value_kind:     by_value
      - .address_space:  global
        .offset:         88
        .size:           8
        .value_kind:     global_buffer
      - .offset:         96
        .size:           8
        .value_kind:     by_value
      - .offset:         104
        .size:           8
        .value_kind:     by_value
      - .offset:         112
        .size:           4
        .value_kind:     by_value
    .group_segment_fixed_size: 8192
    .kernarg_segment_align: 8
    .kernarg_segment_size: 116
    .language:       OpenCL C
    .language_version:
      - 2
      - 0
    .max_flat_workgroup_size: 256
    .name:           _ZL23rocblas_trmm_rNx_kernelILi16E19rocblas_complex_numIdES1_KS1_S1_Ev13rocblas_fill_17rocblas_diagonal_iiT1_lPT2_llS7_llPT3_lli
    .private_segment_fixed_size: 0
    .sgpr_count:     36
    .sgpr_spill_count: 0
    .symbol:         _ZL23rocblas_trmm_rNx_kernelILi16E19rocblas_complex_numIdES1_KS1_S1_Ev13rocblas_fill_17rocblas_diagonal_iiT1_lPT2_llS7_llPT3_lli.kd
    .uniform_work_group_size: 1
    .uses_dynamic_stack: false
    .vgpr_count:     54
    .vgpr_spill_count: 0
    .wavefront_size: 32
    .workgroup_processor_mode: 1
  - .args:
      - .offset:         0
        .size:           4
        .value_kind:     by_value
      - .offset:         4
        .size:           4
        .value_kind:     by_value
      - .offset:         8
        .size:           4
        .value_kind:     by_value
      - .offset:         12
        .size:           4
        .value_kind:     by_value
      - .address_space:  global
        .offset:         16
        .size:           8
        .value_kind:     global_buffer
      - .offset:         24
        .size:           8
        .value_kind:     by_value
      - .address_space:  global
        .offset:         32
        .size:           8
        .value_kind:     global_buffer
      - .offset:         40
        .size:           8
        .value_kind:     by_value
      - .offset:         48
        .size:           8
        .value_kind:     by_value
      - .address_space:  global
        .offset:         56
        .size:           8
        .value_kind:     global_buffer
      - .offset:         64
        .size:           8
        .value_kind:     by_value
      - .offset:         72
        .size:           8
        .value_kind:     by_value
      - .address_space:  global
        .offset:         80
        .size:           8
        .value_kind:     global_buffer
      - .offset:         88
        .size:           8
        .value_kind:     by_value
      - .offset:         96
        .size:           8
        .value_kind:     by_value
      - .offset:         104
        .size:           4
        .value_kind:     by_value
    .group_segment_fixed_size: 8192
    .kernarg_segment_align: 8
    .kernarg_segment_size: 108
    .language:       OpenCL C
    .language_version:
      - 2
      - 0
    .max_flat_workgroup_size: 256
    .name:           _ZL23rocblas_trmm_rTx_kernelILi16ELb0E19rocblas_complex_numIdEPKS1_S2_S1_Ev13rocblas_fill_17rocblas_diagonal_iiT2_lPT3_llS8_llPT4_lli
    .private_segment_fixed_size: 0
    .sgpr_count:     34
    .sgpr_spill_count: 0
    .symbol:         _ZL23rocblas_trmm_rTx_kernelILi16ELb0E19rocblas_complex_numIdEPKS1_S2_S1_Ev13rocblas_fill_17rocblas_diagonal_iiT2_lPT3_llS8_llPT4_lli.kd
    .uniform_work_group_size: 1
    .uses_dynamic_stack: false
    .vgpr_count:     58
    .vgpr_spill_count: 0
    .wavefront_size: 32
    .workgroup_processor_mode: 1
  - .args:
      - .offset:         0
        .size:           4
        .value_kind:     by_value
      - .offset:         4
        .size:           4
        .value_kind:     by_value
      - .offset:         8
        .size:           4
        .value_kind:     by_value
      - .offset:         12
        .size:           4
        .value_kind:     by_value
      - .offset:         16
        .size:           16
        .value_kind:     by_value
      - .offset:         32
        .size:           8
        .value_kind:     by_value
      - .address_space:  global
        .offset:         40
        .size:           8
        .value_kind:     global_buffer
      - .offset:         48
        .size:           8
        .value_kind:     by_value
      - .offset:         56
        .size:           8
        .value_kind:     by_value
      - .address_space:  global
        .offset:         64
        .size:           8
        .value_kind:     global_buffer
      - .offset:         72
        .size:           8
        .value_kind:     by_value
      - .offset:         80
        .size:           8
        .value_kind:     by_value
      - .address_space:  global
        .offset:         88
        .size:           8
        .value_kind:     global_buffer
      - .offset:         96
        .size:           8
        .value_kind:     by_value
      - .offset:         104
        .size:           8
        .value_kind:     by_value
      - .offset:         112
        .size:           4
        .value_kind:     by_value
    .group_segment_fixed_size: 8192
    .kernarg_segment_align: 8
    .kernarg_segment_size: 116
    .language:       OpenCL C
    .language_version:
      - 2
      - 0
    .max_flat_workgroup_size: 256
    .name:           _ZL23rocblas_trmm_rTx_kernelILi16ELb0E19rocblas_complex_numIdES1_KS1_S1_Ev13rocblas_fill_17rocblas_diagonal_iiT2_lPT3_llS7_llPT4_lli
    .private_segment_fixed_size: 0
    .sgpr_count:     36
    .sgpr_spill_count: 0
    .symbol:         _ZL23rocblas_trmm_rTx_kernelILi16ELb0E19rocblas_complex_numIdES1_KS1_S1_Ev13rocblas_fill_17rocblas_diagonal_iiT2_lPT3_llS7_llPT4_lli.kd
    .uniform_work_group_size: 1
    .uses_dynamic_stack: false
    .vgpr_count:     54
    .vgpr_spill_count: 0
    .wavefront_size: 32
    .workgroup_processor_mode: 1
  - .args:
      - .offset:         0
        .size:           4
        .value_kind:     by_value
      - .offset:         4
        .size:           4
        .value_kind:     by_value
      - .offset:         8
        .size:           4
        .value_kind:     by_value
      - .offset:         12
        .size:           4
        .value_kind:     by_value
      - .address_space:  global
        .offset:         16
        .size:           8
        .value_kind:     global_buffer
      - .offset:         24
        .size:           8
        .value_kind:     by_value
      - .address_space:  global
        .offset:         32
        .size:           8
        .value_kind:     global_buffer
      - .offset:         40
        .size:           8
        .value_kind:     by_value
      - .offset:         48
        .size:           8
        .value_kind:     by_value
      - .address_space:  global
        .offset:         56
        .size:           8
        .value_kind:     global_buffer
      - .offset:         64
        .size:           8
        .value_kind:     by_value
      - .offset:         72
        .size:           8
        .value_kind:     by_value
      - .address_space:  global
        .offset:         80
        .size:           8
        .value_kind:     global_buffer
      - .offset:         88
        .size:           8
        .value_kind:     by_value
      - .offset:         96
        .size:           8
        .value_kind:     by_value
      - .offset:         104
        .size:           4
        .value_kind:     by_value
    .group_segment_fixed_size: 8192
    .kernarg_segment_align: 8
    .kernarg_segment_size: 108
    .language:       OpenCL C
    .language_version:
      - 2
      - 0
    .max_flat_workgroup_size: 256
    .name:           _ZL23rocblas_trmm_rTx_kernelILi16ELb1E19rocblas_complex_numIdEPKS1_S2_S1_Ev13rocblas_fill_17rocblas_diagonal_iiT2_lPT3_llS8_llPT4_lli
    .private_segment_fixed_size: 0
    .sgpr_count:     34
    .sgpr_spill_count: 0
    .symbol:         _ZL23rocblas_trmm_rTx_kernelILi16ELb1E19rocblas_complex_numIdEPKS1_S2_S1_Ev13rocblas_fill_17rocblas_diagonal_iiT2_lPT3_llS8_llPT4_lli.kd
    .uniform_work_group_size: 1
    .uses_dynamic_stack: false
    .vgpr_count:     58
    .vgpr_spill_count: 0
    .wavefront_size: 32
    .workgroup_processor_mode: 1
  - .args:
      - .offset:         0
        .size:           4
        .value_kind:     by_value
      - .offset:         4
        .size:           4
        .value_kind:     by_value
      - .offset:         8
        .size:           4
        .value_kind:     by_value
      - .offset:         12
        .size:           4
        .value_kind:     by_value
      - .offset:         16
        .size:           16
        .value_kind:     by_value
      - .offset:         32
        .size:           8
        .value_kind:     by_value
      - .address_space:  global
        .offset:         40
        .size:           8
        .value_kind:     global_buffer
      - .offset:         48
        .size:           8
        .value_kind:     by_value
      - .offset:         56
        .size:           8
        .value_kind:     by_value
      - .address_space:  global
        .offset:         64
        .size:           8
        .value_kind:     global_buffer
      - .offset:         72
        .size:           8
        .value_kind:     by_value
      - .offset:         80
        .size:           8
        .value_kind:     by_value
      - .address_space:  global
        .offset:         88
        .size:           8
        .value_kind:     global_buffer
      - .offset:         96
        .size:           8
        .value_kind:     by_value
      - .offset:         104
        .size:           8
        .value_kind:     by_value
      - .offset:         112
        .size:           4
        .value_kind:     by_value
    .group_segment_fixed_size: 8192
    .kernarg_segment_align: 8
    .kernarg_segment_size: 116
    .language:       OpenCL C
    .language_version:
      - 2
      - 0
    .max_flat_workgroup_size: 256
    .name:           _ZL23rocblas_trmm_rTx_kernelILi16ELb1E19rocblas_complex_numIdES1_KS1_S1_Ev13rocblas_fill_17rocblas_diagonal_iiT2_lPT3_llS7_llPT4_lli
    .private_segment_fixed_size: 0
    .sgpr_count:     36
    .sgpr_spill_count: 0
    .symbol:         _ZL23rocblas_trmm_rTx_kernelILi16ELb1E19rocblas_complex_numIdES1_KS1_S1_Ev13rocblas_fill_17rocblas_diagonal_iiT2_lPT3_llS7_llPT4_lli.kd
    .uniform_work_group_size: 1
    .uses_dynamic_stack: false
    .vgpr_count:     54
    .vgpr_spill_count: 0
    .wavefront_size: 32
    .workgroup_processor_mode: 1
  - .args:
      - .offset:         0
        .size:           4
        .value_kind:     by_value
      - .offset:         4
        .size:           4
        .value_kind:     by_value
      - .offset:         8
        .size:           4
        .value_kind:     by_value
      - .offset:         12
        .size:           4
        .value_kind:     by_value
      - .address_space:  global
        .offset:         16
        .size:           8
        .value_kind:     global_buffer
      - .offset:         24
        .size:           8
        .value_kind:     by_value
      - .address_space:  global
        .offset:         32
        .size:           8
        .value_kind:     global_buffer
      - .offset:         40
        .size:           8
        .value_kind:     by_value
      - .offset:         48
        .size:           8
        .value_kind:     by_value
      - .address_space:  global
        .offset:         56
        .size:           8
        .value_kind:     global_buffer
      - .offset:         64
        .size:           8
        .value_kind:     by_value
      - .offset:         72
        .size:           8
        .value_kind:     by_value
      - .address_space:  global
        .offset:         80
        .size:           8
        .value_kind:     global_buffer
      - .offset:         88
        .size:           8
        .value_kind:     by_value
      - .offset:         96
        .size:           8
        .value_kind:     by_value
      - .offset:         104
        .size:           4
        .value_kind:     by_value
    .group_segment_fixed_size: 8192
    .kernarg_segment_align: 8
    .kernarg_segment_size: 108
    .language:       OpenCL C
    .language_version:
      - 2
      - 0
    .max_flat_workgroup_size: 1024
    .name:           _ZL23rocblas_trmm_lNx_kernelILi32EfPKfKS1_KPfEv13rocblas_fill_17rocblas_diagonal_iiT1_lPT2_llS9_llPT3_lli
    .private_segment_fixed_size: 0
    .sgpr_count:     40
    .sgpr_spill_count: 0
    .symbol:         _ZL23rocblas_trmm_lNx_kernelILi32EfPKfKS1_KPfEv13rocblas_fill_17rocblas_diagonal_iiT1_lPT2_llS9_llPT3_lli.kd
    .uniform_work_group_size: 1
    .uses_dynamic_stack: false
    .vgpr_count:     34
    .vgpr_spill_count: 0
    .wavefront_size: 32
    .workgroup_processor_mode: 1
  - .args:
      - .offset:         0
        .size:           4
        .value_kind:     by_value
      - .offset:         4
        .size:           4
        .value_kind:     by_value
      - .offset:         8
        .size:           4
        .value_kind:     by_value
      - .offset:         12
        .size:           4
        .value_kind:     by_value
      - .offset:         16
        .size:           4
        .value_kind:     by_value
      - .offset:         24
        .size:           8
        .value_kind:     by_value
      - .address_space:  global
        .offset:         32
        .size:           8
        .value_kind:     global_buffer
      - .offset:         40
        .size:           8
        .value_kind:     by_value
      - .offset:         48
        .size:           8
        .value_kind:     by_value
      - .address_space:  global
        .offset:         56
        .size:           8
        .value_kind:     global_buffer
      - .offset:         64
        .size:           8
        .value_kind:     by_value
      - .offset:         72
        .size:           8
        .value_kind:     by_value
      - .address_space:  global
        .offset:         80
        .size:           8
        .value_kind:     global_buffer
      - .offset:         88
        .size:           8
        .value_kind:     by_value
      - .offset:         96
        .size:           8
        .value_kind:     by_value
      - .offset:         104
        .size:           4
        .value_kind:     by_value
    .group_segment_fixed_size: 8192
    .kernarg_segment_align: 8
    .kernarg_segment_size: 108
    .language:       OpenCL C
    .language_version:
      - 2
      - 0
    .max_flat_workgroup_size: 1024
    .name:           _ZL23rocblas_trmm_lNx_kernelILi32EffKPKfKPfEv13rocblas_fill_17rocblas_diagonal_iiT1_lPT2_llS9_llPT3_lli
    .private_segment_fixed_size: 0
    .sgpr_count:     38
    .sgpr_spill_count: 0
    .symbol:         _ZL23rocblas_trmm_lNx_kernelILi32EffKPKfKPfEv13rocblas_fill_17rocblas_diagonal_iiT1_lPT2_llS9_llPT3_lli.kd
    .uniform_work_group_size: 1
    .uses_dynamic_stack: false
    .vgpr_count:     33
    .vgpr_spill_count: 0
    .wavefront_size: 32
    .workgroup_processor_mode: 1
  - .args:
      - .offset:         0
        .size:           4
        .value_kind:     by_value
      - .offset:         4
        .size:           4
        .value_kind:     by_value
      - .offset:         8
        .size:           4
        .value_kind:     by_value
      - .offset:         12
        .size:           4
        .value_kind:     by_value
      - .address_space:  global
        .offset:         16
        .size:           8
        .value_kind:     global_buffer
      - .offset:         24
        .size:           8
        .value_kind:     by_value
      - .address_space:  global
        .offset:         32
        .size:           8
        .value_kind:     global_buffer
      - .offset:         40
        .size:           8
        .value_kind:     by_value
      - .offset:         48
        .size:           8
        .value_kind:     by_value
      - .address_space:  global
        .offset:         56
        .size:           8
        .value_kind:     global_buffer
      - .offset:         64
        .size:           8
        .value_kind:     by_value
      - .offset:         72
        .size:           8
        .value_kind:     by_value
      - .address_space:  global
        .offset:         80
        .size:           8
        .value_kind:     global_buffer
      - .offset:         88
        .size:           8
        .value_kind:     by_value
      - .offset:         96
        .size:           8
        .value_kind:     by_value
      - .offset:         104
        .size:           4
        .value_kind:     by_value
    .group_segment_fixed_size: 8192
    .kernarg_segment_align: 8
    .kernarg_segment_size: 108
    .language:       OpenCL C
    .language_version:
      - 2
      - 0
    .max_flat_workgroup_size: 1024
    .name:           _ZL23rocblas_trmm_lTx_kernelILi32ELb0EfPKfKS1_KPfEv13rocblas_fill_17rocblas_diagonal_iiT2_lPT3_llS9_llPT4_lli
    .private_segment_fixed_size: 0
    .sgpr_count:     40
    .sgpr_spill_count: 0
    .symbol:         _ZL23rocblas_trmm_lTx_kernelILi32ELb0EfPKfKS1_KPfEv13rocblas_fill_17rocblas_diagonal_iiT2_lPT3_llS9_llPT4_lli.kd
    .uniform_work_group_size: 1
    .uses_dynamic_stack: false
    .vgpr_count:     35
    .vgpr_spill_count: 0
    .wavefront_size: 32
    .workgroup_processor_mode: 1
  - .args:
      - .offset:         0
        .size:           4
        .value_kind:     by_value
      - .offset:         4
        .size:           4
        .value_kind:     by_value
      - .offset:         8
        .size:           4
        .value_kind:     by_value
      - .offset:         12
        .size:           4
        .value_kind:     by_value
      - .offset:         16
        .size:           4
        .value_kind:     by_value
      - .offset:         24
        .size:           8
        .value_kind:     by_value
      - .address_space:  global
        .offset:         32
        .size:           8
        .value_kind:     global_buffer
      - .offset:         40
        .size:           8
        .value_kind:     by_value
      - .offset:         48
        .size:           8
        .value_kind:     by_value
      - .address_space:  global
        .offset:         56
        .size:           8
        .value_kind:     global_buffer
      - .offset:         64
        .size:           8
        .value_kind:     by_value
      - .offset:         72
        .size:           8
        .value_kind:     by_value
      - .address_space:  global
        .offset:         80
        .size:           8
        .value_kind:     global_buffer
      - .offset:         88
        .size:           8
        .value_kind:     by_value
      - .offset:         96
        .size:           8
        .value_kind:     by_value
      - .offset:         104
        .size:           4
        .value_kind:     by_value
    .group_segment_fixed_size: 8192
    .kernarg_segment_align: 8
    .kernarg_segment_size: 108
    .language:       OpenCL C
    .language_version:
      - 2
      - 0
    .max_flat_workgroup_size: 1024
    .name:           _ZL23rocblas_trmm_lTx_kernelILi32ELb0EffKPKfKPfEv13rocblas_fill_17rocblas_diagonal_iiT2_lPT3_llS9_llPT4_lli
    .private_segment_fixed_size: 0
    .sgpr_count:     38
    .sgpr_spill_count: 0
    .symbol:         _ZL23rocblas_trmm_lTx_kernelILi32ELb0EffKPKfKPfEv13rocblas_fill_17rocblas_diagonal_iiT2_lPT3_llS9_llPT4_lli.kd
    .uniform_work_group_size: 1
    .uses_dynamic_stack: false
    .vgpr_count:     34
    .vgpr_spill_count: 0
    .wavefront_size: 32
    .workgroup_processor_mode: 1
  - .args:
      - .offset:         0
        .size:           4
        .value_kind:     by_value
      - .offset:         4
        .size:           4
        .value_kind:     by_value
      - .offset:         8
        .size:           4
        .value_kind:     by_value
      - .offset:         12
        .size:           4
        .value_kind:     by_value
      - .address_space:  global
        .offset:         16
        .size:           8
        .value_kind:     global_buffer
      - .offset:         24
        .size:           8
        .value_kind:     by_value
      - .address_space:  global
        .offset:         32
        .size:           8
        .value_kind:     global_buffer
      - .offset:         40
        .size:           8
        .value_kind:     by_value
      - .offset:         48
        .size:           8
        .value_kind:     by_value
      - .address_space:  global
        .offset:         56
        .size:           8
        .value_kind:     global_buffer
      - .offset:         64
        .size:           8
        .value_kind:     by_value
      - .offset:         72
        .size:           8
        .value_kind:     by_value
      - .address_space:  global
        .offset:         80
        .size:           8
        .value_kind:     global_buffer
      - .offset:         88
        .size:           8
        .value_kind:     by_value
      - .offset:         96
        .size:           8
        .value_kind:     by_value
      - .offset:         104
        .size:           4
        .value_kind:     by_value
    .group_segment_fixed_size: 8192
    .kernarg_segment_align: 8
    .kernarg_segment_size: 108
    .language:       OpenCL C
    .language_version:
      - 2
      - 0
    .max_flat_workgroup_size: 1024
    .name:           _ZL23rocblas_trmm_lTx_kernelILi32ELb1EfPKfKS1_KPfEv13rocblas_fill_17rocblas_diagonal_iiT2_lPT3_llS9_llPT4_lli
    .private_segment_fixed_size: 0
    .sgpr_count:     40
    .sgpr_spill_count: 0
    .symbol:         _ZL23rocblas_trmm_lTx_kernelILi32ELb1EfPKfKS1_KPfEv13rocblas_fill_17rocblas_diagonal_iiT2_lPT3_llS9_llPT4_lli.kd
    .uniform_work_group_size: 1
    .uses_dynamic_stack: false
    .vgpr_count:     35
    .vgpr_spill_count: 0
    .wavefront_size: 32
    .workgroup_processor_mode: 1
  - .args:
      - .offset:         0
        .size:           4
        .value_kind:     by_value
      - .offset:         4
        .size:           4
        .value_kind:     by_value
      - .offset:         8
        .size:           4
        .value_kind:     by_value
      - .offset:         12
        .size:           4
        .value_kind:     by_value
      - .offset:         16
        .size:           4
        .value_kind:     by_value
      - .offset:         24
        .size:           8
        .value_kind:     by_value
      - .address_space:  global
        .offset:         32
        .size:           8
        .value_kind:     global_buffer
      - .offset:         40
        .size:           8
        .value_kind:     by_value
      - .offset:         48
        .size:           8
        .value_kind:     by_value
      - .address_space:  global
        .offset:         56
        .size:           8
        .value_kind:     global_buffer
      - .offset:         64
        .size:           8
        .value_kind:     by_value
      - .offset:         72
        .size:           8
        .value_kind:     by_value
      - .address_space:  global
        .offset:         80
        .size:           8
        .value_kind:     global_buffer
      - .offset:         88
        .size:           8
        .value_kind:     by_value
      - .offset:         96
        .size:           8
        .value_kind:     by_value
      - .offset:         104
        .size:           4
        .value_kind:     by_value
    .group_segment_fixed_size: 8192
    .kernarg_segment_align: 8
    .kernarg_segment_size: 108
    .language:       OpenCL C
    .language_version:
      - 2
      - 0
    .max_flat_workgroup_size: 1024
    .name:           _ZL23rocblas_trmm_lTx_kernelILi32ELb1EffKPKfKPfEv13rocblas_fill_17rocblas_diagonal_iiT2_lPT3_llS9_llPT4_lli
    .private_segment_fixed_size: 0
    .sgpr_count:     38
    .sgpr_spill_count: 0
    .symbol:         _ZL23rocblas_trmm_lTx_kernelILi32ELb1EffKPKfKPfEv13rocblas_fill_17rocblas_diagonal_iiT2_lPT3_llS9_llPT4_lli.kd
    .uniform_work_group_size: 1
    .uses_dynamic_stack: false
    .vgpr_count:     34
    .vgpr_spill_count: 0
    .wavefront_size: 32
    .workgroup_processor_mode: 1
  - .args:
      - .offset:         0
        .size:           4
        .value_kind:     by_value
      - .offset:         4
        .size:           4
        .value_kind:     by_value
      - .offset:         8
        .size:           4
        .value_kind:     by_value
      - .offset:         12
        .size:           4
        .value_kind:     by_value
      - .address_space:  global
        .offset:         16
        .size:           8
        .value_kind:     global_buffer
      - .offset:         24
        .size:           8
        .value_kind:     by_value
      - .address_space:  global
        .offset:         32
        .size:           8
        .value_kind:     global_buffer
      - .offset:         40
        .size:           8
        .value_kind:     by_value
      - .offset:         48
        .size:           8
        .value_kind:     by_value
      - .address_space:  global
        .offset:         56
        .size:           8
        .value_kind:     global_buffer
      - .offset:         64
        .size:           8
        .value_kind:     by_value
      - .offset:         72
        .size:           8
        .value_kind:     by_value
      - .address_space:  global
        .offset:         80
        .size:           8
        .value_kind:     global_buffer
      - .offset:         88
        .size:           8
        .value_kind:     by_value
      - .offset:         96
        .size:           8
        .value_kind:     by_value
      - .offset:         104
        .size:           4
        .value_kind:     by_value
    .group_segment_fixed_size: 8192
    .kernarg_segment_align: 8
    .kernarg_segment_size: 108
    .language:       OpenCL C
    .language_version:
      - 2
      - 0
    .max_flat_workgroup_size: 1024
    .name:           _ZL23rocblas_trmm_rNx_kernelILi32EfPKfKS1_KPfEv13rocblas_fill_17rocblas_diagonal_iiT1_lPT2_llS9_llPT3_lli
    .private_segment_fixed_size: 0
    .sgpr_count:     38
    .sgpr_spill_count: 0
    .symbol:         _ZL23rocblas_trmm_rNx_kernelILi32EfPKfKS1_KPfEv13rocblas_fill_17rocblas_diagonal_iiT1_lPT2_llS9_llPT3_lli.kd
    .uniform_work_group_size: 1
    .uses_dynamic_stack: false
    .vgpr_count:     34
    .vgpr_spill_count: 0
    .wavefront_size: 32
    .workgroup_processor_mode: 1
  - .args:
      - .offset:         0
        .size:           4
        .value_kind:     by_value
      - .offset:         4
        .size:           4
        .value_kind:     by_value
      - .offset:         8
        .size:           4
        .value_kind:     by_value
      - .offset:         12
        .size:           4
        .value_kind:     by_value
      - .offset:         16
        .size:           4
        .value_kind:     by_value
      - .offset:         24
        .size:           8
        .value_kind:     by_value
      - .address_space:  global
        .offset:         32
        .size:           8
        .value_kind:     global_buffer
      - .offset:         40
        .size:           8
        .value_kind:     by_value
      - .offset:         48
        .size:           8
        .value_kind:     by_value
      - .address_space:  global
        .offset:         56
        .size:           8
        .value_kind:     global_buffer
      - .offset:         64
        .size:           8
        .value_kind:     by_value
      - .offset:         72
        .size:           8
        .value_kind:     by_value
      - .address_space:  global
        .offset:         80
        .size:           8
        .value_kind:     global_buffer
      - .offset:         88
        .size:           8
        .value_kind:     by_value
      - .offset:         96
        .size:           8
        .value_kind:     by_value
      - .offset:         104
        .size:           4
        .value_kind:     by_value
    .group_segment_fixed_size: 8192
    .kernarg_segment_align: 8
    .kernarg_segment_size: 108
    .language:       OpenCL C
    .language_version:
      - 2
      - 0
    .max_flat_workgroup_size: 1024
    .name:           _ZL23rocblas_trmm_rNx_kernelILi32EffKPKfKPfEv13rocblas_fill_17rocblas_diagonal_iiT1_lPT2_llS9_llPT3_lli
    .private_segment_fixed_size: 0
    .sgpr_count:     38
    .sgpr_spill_count: 0
    .symbol:         _ZL23rocblas_trmm_rNx_kernelILi32EffKPKfKPfEv13rocblas_fill_17rocblas_diagonal_iiT1_lPT2_llS9_llPT3_lli.kd
    .uniform_work_group_size: 1
    .uses_dynamic_stack: false
    .vgpr_count:     33
    .vgpr_spill_count: 0
    .wavefront_size: 32
    .workgroup_processor_mode: 1
  - .args:
      - .offset:         0
        .size:           4
        .value_kind:     by_value
      - .offset:         4
        .size:           4
        .value_kind:     by_value
      - .offset:         8
        .size:           4
        .value_kind:     by_value
      - .offset:         12
        .size:           4
        .value_kind:     by_value
      - .address_space:  global
        .offset:         16
        .size:           8
        .value_kind:     global_buffer
      - .offset:         24
        .size:           8
        .value_kind:     by_value
      - .address_space:  global
        .offset:         32
        .size:           8
        .value_kind:     global_buffer
      - .offset:         40
        .size:           8
        .value_kind:     by_value
      - .offset:         48
        .size:           8
        .value_kind:     by_value
      - .address_space:  global
        .offset:         56
        .size:           8
        .value_kind:     global_buffer
      - .offset:         64
        .size:           8
        .value_kind:     by_value
      - .offset:         72
        .size:           8
        .value_kind:     by_value
      - .address_space:  global
        .offset:         80
        .size:           8
        .value_kind:     global_buffer
      - .offset:         88
        .size:           8
        .value_kind:     by_value
      - .offset:         96
        .size:           8
        .value_kind:     by_value
      - .offset:         104
        .size:           4
        .value_kind:     by_value
    .group_segment_fixed_size: 8192
    .kernarg_segment_align: 8
    .kernarg_segment_size: 108
    .language:       OpenCL C
    .language_version:
      - 2
      - 0
    .max_flat_workgroup_size: 1024
    .name:           _ZL23rocblas_trmm_rTx_kernelILi32ELb0EfPKfKS1_KPfEv13rocblas_fill_17rocblas_diagonal_iiT2_lPT3_llS9_llPT4_lli
    .private_segment_fixed_size: 0
    .sgpr_count:     38
    .sgpr_spill_count: 0
    .symbol:         _ZL23rocblas_trmm_rTx_kernelILi32ELb0EfPKfKS1_KPfEv13rocblas_fill_17rocblas_diagonal_iiT2_lPT3_llS9_llPT4_lli.kd
    .uniform_work_group_size: 1
    .uses_dynamic_stack: false
    .vgpr_count:     35
    .vgpr_spill_count: 0
    .wavefront_size: 32
    .workgroup_processor_mode: 1
  - .args:
      - .offset:         0
        .size:           4
        .value_kind:     by_value
      - .offset:         4
        .size:           4
        .value_kind:     by_value
      - .offset:         8
        .size:           4
        .value_kind:     by_value
      - .offset:         12
        .size:           4
        .value_kind:     by_value
      - .offset:         16
        .size:           4
        .value_kind:     by_value
      - .offset:         24
        .size:           8
        .value_kind:     by_value
      - .address_space:  global
        .offset:         32
        .size:           8
        .value_kind:     global_buffer
      - .offset:         40
        .size:           8
        .value_kind:     by_value
      - .offset:         48
        .size:           8
        .value_kind:     by_value
      - .address_space:  global
        .offset:         56
        .size:           8
        .value_kind:     global_buffer
      - .offset:         64
        .size:           8
        .value_kind:     by_value
      - .offset:         72
        .size:           8
        .value_kind:     by_value
      - .address_space:  global
        .offset:         80
        .size:           8
        .value_kind:     global_buffer
      - .offset:         88
        .size:           8
        .value_kind:     by_value
      - .offset:         96
        .size:           8
        .value_kind:     by_value
      - .offset:         104
        .size:           4
        .value_kind:     by_value
    .group_segment_fixed_size: 8192
    .kernarg_segment_align: 8
    .kernarg_segment_size: 108
    .language:       OpenCL C
    .language_version:
      - 2
      - 0
    .max_flat_workgroup_size: 1024
    .name:           _ZL23rocblas_trmm_rTx_kernelILi32ELb0EffKPKfKPfEv13rocblas_fill_17rocblas_diagonal_iiT2_lPT3_llS9_llPT4_lli
    .private_segment_fixed_size: 0
    .sgpr_count:     38
    .sgpr_spill_count: 0
    .symbol:         _ZL23rocblas_trmm_rTx_kernelILi32ELb0EffKPKfKPfEv13rocblas_fill_17rocblas_diagonal_iiT2_lPT3_llS9_llPT4_lli.kd
    .uniform_work_group_size: 1
    .uses_dynamic_stack: false
    .vgpr_count:     34
    .vgpr_spill_count: 0
    .wavefront_size: 32
    .workgroup_processor_mode: 1
  - .args:
      - .offset:         0
        .size:           4
        .value_kind:     by_value
      - .offset:         4
        .size:           4
        .value_kind:     by_value
      - .offset:         8
        .size:           4
        .value_kind:     by_value
      - .offset:         12
        .size:           4
        .value_kind:     by_value
      - .address_space:  global
        .offset:         16
        .size:           8
        .value_kind:     global_buffer
      - .offset:         24
        .size:           8
        .value_kind:     by_value
      - .address_space:  global
        .offset:         32
        .size:           8
        .value_kind:     global_buffer
      - .offset:         40
        .size:           8
        .value_kind:     by_value
      - .offset:         48
        .size:           8
        .value_kind:     by_value
      - .address_space:  global
        .offset:         56
        .size:           8
        .value_kind:     global_buffer
      - .offset:         64
        .size:           8
        .value_kind:     by_value
      - .offset:         72
        .size:           8
        .value_kind:     by_value
      - .address_space:  global
        .offset:         80
        .size:           8
        .value_kind:     global_buffer
      - .offset:         88
        .size:           8
        .value_kind:     by_value
      - .offset:         96
        .size:           8
        .value_kind:     by_value
      - .offset:         104
        .size:           4
        .value_kind:     by_value
    .group_segment_fixed_size: 8192
    .kernarg_segment_align: 8
    .kernarg_segment_size: 108
    .language:       OpenCL C
    .language_version:
      - 2
      - 0
    .max_flat_workgroup_size: 1024
    .name:           _ZL23rocblas_trmm_rTx_kernelILi32ELb1EfPKfKS1_KPfEv13rocblas_fill_17rocblas_diagonal_iiT2_lPT3_llS9_llPT4_lli
    .private_segment_fixed_size: 0
    .sgpr_count:     38
    .sgpr_spill_count: 0
    .symbol:         _ZL23rocblas_trmm_rTx_kernelILi32ELb1EfPKfKS1_KPfEv13rocblas_fill_17rocblas_diagonal_iiT2_lPT3_llS9_llPT4_lli.kd
    .uniform_work_group_size: 1
    .uses_dynamic_stack: false
    .vgpr_count:     35
    .vgpr_spill_count: 0
    .wavefront_size: 32
    .workgroup_processor_mode: 1
  - .args:
      - .offset:         0
        .size:           4
        .value_kind:     by_value
      - .offset:         4
        .size:           4
        .value_kind:     by_value
      - .offset:         8
        .size:           4
        .value_kind:     by_value
      - .offset:         12
        .size:           4
        .value_kind:     by_value
      - .offset:         16
        .size:           4
        .value_kind:     by_value
      - .offset:         24
        .size:           8
        .value_kind:     by_value
      - .address_space:  global
        .offset:         32
        .size:           8
        .value_kind:     global_buffer
      - .offset:         40
        .size:           8
        .value_kind:     by_value
      - .offset:         48
        .size:           8
        .value_kind:     by_value
      - .address_space:  global
        .offset:         56
        .size:           8
        .value_kind:     global_buffer
      - .offset:         64
        .size:           8
        .value_kind:     by_value
      - .offset:         72
        .size:           8
        .value_kind:     by_value
      - .address_space:  global
        .offset:         80
        .size:           8
        .value_kind:     global_buffer
      - .offset:         88
        .size:           8
        .value_kind:     by_value
      - .offset:         96
        .size:           8
        .value_kind:     by_value
      - .offset:         104
        .size:           4
        .value_kind:     by_value
    .group_segment_fixed_size: 8192
    .kernarg_segment_align: 8
    .kernarg_segment_size: 108
    .language:       OpenCL C
    .language_version:
      - 2
      - 0
    .max_flat_workgroup_size: 1024
    .name:           _ZL23rocblas_trmm_rTx_kernelILi32ELb1EffKPKfKPfEv13rocblas_fill_17rocblas_diagonal_iiT2_lPT3_llS9_llPT4_lli
    .private_segment_fixed_size: 0
    .sgpr_count:     38
    .sgpr_spill_count: 0
    .symbol:         _ZL23rocblas_trmm_rTx_kernelILi32ELb1EffKPKfKPfEv13rocblas_fill_17rocblas_diagonal_iiT2_lPT3_llS9_llPT4_lli.kd
    .uniform_work_group_size: 1
    .uses_dynamic_stack: false
    .vgpr_count:     34
    .vgpr_spill_count: 0
    .wavefront_size: 32
    .workgroup_processor_mode: 1
  - .args:
      - .offset:         0
        .size:           4
        .value_kind:     by_value
      - .offset:         4
        .size:           4
        .value_kind:     by_value
      - .offset:         8
        .size:           4
        .value_kind:     by_value
      - .offset:         12
        .size:           4
        .value_kind:     by_value
      - .address_space:  global
        .offset:         16
        .size:           8
        .value_kind:     global_buffer
      - .offset:         24
        .size:           8
        .value_kind:     by_value
      - .address_space:  global
        .offset:         32
        .size:           8
        .value_kind:     global_buffer
      - .offset:         40
        .size:           8
        .value_kind:     by_value
      - .offset:         48
        .size:           8
        .value_kind:     by_value
      - .address_space:  global
        .offset:         56
        .size:           8
        .value_kind:     global_buffer
      - .offset:         64
        .size:           8
        .value_kind:     by_value
      - .offset:         72
        .size:           8
        .value_kind:     by_value
      - .address_space:  global
        .offset:         80
        .size:           8
        .value_kind:     global_buffer
      - .offset:         88
        .size:           8
        .value_kind:     by_value
      - .offset:         96
        .size:           8
        .value_kind:     by_value
      - .offset:         104
        .size:           4
        .value_kind:     by_value
    .group_segment_fixed_size: 16384
    .kernarg_segment_align: 8
    .kernarg_segment_size: 108
    .language:       OpenCL C
    .language_version:
      - 2
      - 0
    .max_flat_workgroup_size: 1024
    .name:           _ZL23rocblas_trmm_lNx_kernelILi32EdPKdKS1_KPdEv13rocblas_fill_17rocblas_diagonal_iiT1_lPT2_llS9_llPT3_lli
    .private_segment_fixed_size: 0
    .sgpr_count:     40
    .sgpr_spill_count: 0
    .symbol:         _ZL23rocblas_trmm_lNx_kernelILi32EdPKdKS1_KPdEv13rocblas_fill_17rocblas_diagonal_iiT1_lPT2_llS9_llPT3_lli.kd
    .uniform_work_group_size: 1
    .uses_dynamic_stack: false
    .vgpr_count:     34
    .vgpr_spill_count: 0
    .wavefront_size: 32
    .workgroup_processor_mode: 1
  - .args:
      - .offset:         0
        .size:           4
        .value_kind:     by_value
      - .offset:         4
        .size:           4
        .value_kind:     by_value
      - .offset:         8
        .size:           4
        .value_kind:     by_value
      - .offset:         12
        .size:           4
        .value_kind:     by_value
      - .offset:         16
        .size:           8
        .value_kind:     by_value
      - .offset:         24
        .size:           8
        .value_kind:     by_value
      - .address_space:  global
        .offset:         32
        .size:           8
        .value_kind:     global_buffer
      - .offset:         40
        .size:           8
        .value_kind:     by_value
      - .offset:         48
        .size:           8
        .value_kind:     by_value
      - .address_space:  global
        .offset:         56
        .size:           8
        .value_kind:     global_buffer
      - .offset:         64
        .size:           8
        .value_kind:     by_value
      - .offset:         72
        .size:           8
        .value_kind:     by_value
      - .address_space:  global
        .offset:         80
        .size:           8
        .value_kind:     global_buffer
      - .offset:         88
        .size:           8
        .value_kind:     by_value
      - .offset:         96
        .size:           8
        .value_kind:     by_value
      - .offset:         104
        .size:           4
        .value_kind:     by_value
    .group_segment_fixed_size: 16384
    .kernarg_segment_align: 8
    .kernarg_segment_size: 108
    .language:       OpenCL C
    .language_version:
      - 2
      - 0
    .max_flat_workgroup_size: 1024
    .name:           _ZL23rocblas_trmm_lNx_kernelILi32EddKPKdKPdEv13rocblas_fill_17rocblas_diagonal_iiT1_lPT2_llS9_llPT3_lli
    .private_segment_fixed_size: 0
    .sgpr_count:     38
    .sgpr_spill_count: 0
    .symbol:         _ZL23rocblas_trmm_lNx_kernelILi32EddKPKdKPdEv13rocblas_fill_17rocblas_diagonal_iiT1_lPT2_llS9_llPT3_lli.kd
    .uniform_work_group_size: 1
    .uses_dynamic_stack: false
    .vgpr_count:     32
    .vgpr_spill_count: 0
    .wavefront_size: 32
    .workgroup_processor_mode: 1
  - .args:
      - .offset:         0
        .size:           4
        .value_kind:     by_value
      - .offset:         4
        .size:           4
        .value_kind:     by_value
      - .offset:         8
        .size:           4
        .value_kind:     by_value
      - .offset:         12
        .size:           4
        .value_kind:     by_value
      - .address_space:  global
        .offset:         16
        .size:           8
        .value_kind:     global_buffer
      - .offset:         24
        .size:           8
        .value_kind:     by_value
      - .address_space:  global
        .offset:         32
        .size:           8
        .value_kind:     global_buffer
      - .offset:         40
        .size:           8
        .value_kind:     by_value
      - .offset:         48
        .size:           8
        .value_kind:     by_value
      - .address_space:  global
        .offset:         56
        .size:           8
        .value_kind:     global_buffer
      - .offset:         64
        .size:           8
        .value_kind:     by_value
      - .offset:         72
        .size:           8
        .value_kind:     by_value
      - .address_space:  global
        .offset:         80
        .size:           8
        .value_kind:     global_buffer
      - .offset:         88
        .size:           8
        .value_kind:     by_value
      - .offset:         96
        .size:           8
        .value_kind:     by_value
      - .offset:         104
        .size:           4
        .value_kind:     by_value
    .group_segment_fixed_size: 16384
    .kernarg_segment_align: 8
    .kernarg_segment_size: 108
    .language:       OpenCL C
    .language_version:
      - 2
      - 0
    .max_flat_workgroup_size: 1024
    .name:           _ZL23rocblas_trmm_lTx_kernelILi32ELb0EdPKdKS1_KPdEv13rocblas_fill_17rocblas_diagonal_iiT2_lPT3_llS9_llPT4_lli
    .private_segment_fixed_size: 0
    .sgpr_count:     40
    .sgpr_spill_count: 0
    .symbol:         _ZL23rocblas_trmm_lTx_kernelILi32ELb0EdPKdKS1_KPdEv13rocblas_fill_17rocblas_diagonal_iiT2_lPT3_llS9_llPT4_lli.kd
    .uniform_work_group_size: 1
    .uses_dynamic_stack: false
    .vgpr_count:     35
    .vgpr_spill_count: 0
    .wavefront_size: 32
    .workgroup_processor_mode: 1
  - .args:
      - .offset:         0
        .size:           4
        .value_kind:     by_value
      - .offset:         4
        .size:           4
        .value_kind:     by_value
      - .offset:         8
        .size:           4
        .value_kind:     by_value
      - .offset:         12
        .size:           4
        .value_kind:     by_value
      - .offset:         16
        .size:           8
        .value_kind:     by_value
      - .offset:         24
        .size:           8
        .value_kind:     by_value
      - .address_space:  global
        .offset:         32
        .size:           8
        .value_kind:     global_buffer
      - .offset:         40
        .size:           8
        .value_kind:     by_value
      - .offset:         48
        .size:           8
        .value_kind:     by_value
      - .address_space:  global
        .offset:         56
        .size:           8
        .value_kind:     global_buffer
      - .offset:         64
        .size:           8
        .value_kind:     by_value
      - .offset:         72
        .size:           8
        .value_kind:     by_value
      - .address_space:  global
        .offset:         80
        .size:           8
        .value_kind:     global_buffer
      - .offset:         88
        .size:           8
        .value_kind:     by_value
      - .offset:         96
        .size:           8
        .value_kind:     by_value
      - .offset:         104
        .size:           4
        .value_kind:     by_value
    .group_segment_fixed_size: 16384
    .kernarg_segment_align: 8
    .kernarg_segment_size: 108
    .language:       OpenCL C
    .language_version:
      - 2
      - 0
    .max_flat_workgroup_size: 1024
    .name:           _ZL23rocblas_trmm_lTx_kernelILi32ELb0EddKPKdKPdEv13rocblas_fill_17rocblas_diagonal_iiT2_lPT3_llS9_llPT4_lli
    .private_segment_fixed_size: 0
    .sgpr_count:     38
    .sgpr_spill_count: 0
    .symbol:         _ZL23rocblas_trmm_lTx_kernelILi32ELb0EddKPKdKPdEv13rocblas_fill_17rocblas_diagonal_iiT2_lPT3_llS9_llPT4_lli.kd
    .uniform_work_group_size: 1
    .uses_dynamic_stack: false
    .vgpr_count:     33
    .vgpr_spill_count: 0
    .wavefront_size: 32
    .workgroup_processor_mode: 1
  - .args:
      - .offset:         0
        .size:           4
        .value_kind:     by_value
      - .offset:         4
        .size:           4
        .value_kind:     by_value
      - .offset:         8
        .size:           4
        .value_kind:     by_value
      - .offset:         12
        .size:           4
        .value_kind:     by_value
      - .address_space:  global
        .offset:         16
        .size:           8
        .value_kind:     global_buffer
      - .offset:         24
        .size:           8
        .value_kind:     by_value
      - .address_space:  global
        .offset:         32
        .size:           8
        .value_kind:     global_buffer
      - .offset:         40
        .size:           8
        .value_kind:     by_value
      - .offset:         48
        .size:           8
        .value_kind:     by_value
      - .address_space:  global
        .offset:         56
        .size:           8
        .value_kind:     global_buffer
      - .offset:         64
        .size:           8
        .value_kind:     by_value
      - .offset:         72
        .size:           8
        .value_kind:     by_value
      - .address_space:  global
        .offset:         80
        .size:           8
        .value_kind:     global_buffer
      - .offset:         88
        .size:           8
        .value_kind:     by_value
      - .offset:         96
        .size:           8
        .value_kind:     by_value
      - .offset:         104
        .size:           4
        .value_kind:     by_value
    .group_segment_fixed_size: 16384
    .kernarg_segment_align: 8
    .kernarg_segment_size: 108
    .language:       OpenCL C
    .language_version:
      - 2
      - 0
    .max_flat_workgroup_size: 1024
    .name:           _ZL23rocblas_trmm_lTx_kernelILi32ELb1EdPKdKS1_KPdEv13rocblas_fill_17rocblas_diagonal_iiT2_lPT3_llS9_llPT4_lli
    .private_segment_fixed_size: 0
    .sgpr_count:     40
    .sgpr_spill_count: 0
    .symbol:         _ZL23rocblas_trmm_lTx_kernelILi32ELb1EdPKdKS1_KPdEv13rocblas_fill_17rocblas_diagonal_iiT2_lPT3_llS9_llPT4_lli.kd
    .uniform_work_group_size: 1
    .uses_dynamic_stack: false
    .vgpr_count:     35
    .vgpr_spill_count: 0
    .wavefront_size: 32
    .workgroup_processor_mode: 1
  - .args:
      - .offset:         0
        .size:           4
        .value_kind:     by_value
      - .offset:         4
        .size:           4
        .value_kind:     by_value
      - .offset:         8
        .size:           4
        .value_kind:     by_value
      - .offset:         12
        .size:           4
        .value_kind:     by_value
      - .offset:         16
        .size:           8
        .value_kind:     by_value
      - .offset:         24
        .size:           8
        .value_kind:     by_value
      - .address_space:  global
        .offset:         32
        .size:           8
        .value_kind:     global_buffer
      - .offset:         40
        .size:           8
        .value_kind:     by_value
      - .offset:         48
        .size:           8
        .value_kind:     by_value
      - .address_space:  global
        .offset:         56
        .size:           8
        .value_kind:     global_buffer
      - .offset:         64
        .size:           8
        .value_kind:     by_value
      - .offset:         72
        .size:           8
        .value_kind:     by_value
      - .address_space:  global
        .offset:         80
        .size:           8
        .value_kind:     global_buffer
      - .offset:         88
        .size:           8
        .value_kind:     by_value
      - .offset:         96
        .size:           8
        .value_kind:     by_value
      - .offset:         104
        .size:           4
        .value_kind:     by_value
    .group_segment_fixed_size: 16384
    .kernarg_segment_align: 8
    .kernarg_segment_size: 108
    .language:       OpenCL C
    .language_version:
      - 2
      - 0
    .max_flat_workgroup_size: 1024
    .name:           _ZL23rocblas_trmm_lTx_kernelILi32ELb1EddKPKdKPdEv13rocblas_fill_17rocblas_diagonal_iiT2_lPT3_llS9_llPT4_lli
    .private_segment_fixed_size: 0
    .sgpr_count:     38
    .sgpr_spill_count: 0
    .symbol:         _ZL23rocblas_trmm_lTx_kernelILi32ELb1EddKPKdKPdEv13rocblas_fill_17rocblas_diagonal_iiT2_lPT3_llS9_llPT4_lli.kd
    .uniform_work_group_size: 1
    .uses_dynamic_stack: false
    .vgpr_count:     33
    .vgpr_spill_count: 0
    .wavefront_size: 32
    .workgroup_processor_mode: 1
  - .args:
      - .offset:         0
        .size:           4
        .value_kind:     by_value
      - .offset:         4
        .size:           4
        .value_kind:     by_value
      - .offset:         8
        .size:           4
        .value_kind:     by_value
      - .offset:         12
        .size:           4
        .value_kind:     by_value
      - .address_space:  global
        .offset:         16
        .size:           8
        .value_kind:     global_buffer
      - .offset:         24
        .size:           8
        .value_kind:     by_value
      - .address_space:  global
        .offset:         32
        .size:           8
        .value_kind:     global_buffer
      - .offset:         40
        .size:           8
        .value_kind:     by_value
      - .offset:         48
        .size:           8
        .value_kind:     by_value
      - .address_space:  global
        .offset:         56
        .size:           8
        .value_kind:     global_buffer
      - .offset:         64
        .size:           8
        .value_kind:     by_value
      - .offset:         72
        .size:           8
        .value_kind:     by_value
      - .address_space:  global
        .offset:         80
        .size:           8
        .value_kind:     global_buffer
      - .offset:         88
        .size:           8
        .value_kind:     by_value
      - .offset:         96
        .size:           8
        .value_kind:     by_value
      - .offset:         104
        .size:           4
        .value_kind:     by_value
    .group_segment_fixed_size: 16384
    .kernarg_segment_align: 8
    .kernarg_segment_size: 108
    .language:       OpenCL C
    .language_version:
      - 2
      - 0
    .max_flat_workgroup_size: 1024
    .name:           _ZL23rocblas_trmm_rNx_kernelILi32EdPKdKS1_KPdEv13rocblas_fill_17rocblas_diagonal_iiT1_lPT2_llS9_llPT3_lli
    .private_segment_fixed_size: 0
    .sgpr_count:     38
    .sgpr_spill_count: 0
    .symbol:         _ZL23rocblas_trmm_rNx_kernelILi32EdPKdKS1_KPdEv13rocblas_fill_17rocblas_diagonal_iiT1_lPT2_llS9_llPT3_lli.kd
    .uniform_work_group_size: 1
    .uses_dynamic_stack: false
    .vgpr_count:     34
    .vgpr_spill_count: 0
    .wavefront_size: 32
    .workgroup_processor_mode: 1
  - .args:
      - .offset:         0
        .size:           4
        .value_kind:     by_value
      - .offset:         4
        .size:           4
        .value_kind:     by_value
      - .offset:         8
        .size:           4
        .value_kind:     by_value
      - .offset:         12
        .size:           4
        .value_kind:     by_value
      - .offset:         16
        .size:           8
        .value_kind:     by_value
      - .offset:         24
        .size:           8
        .value_kind:     by_value
      - .address_space:  global
        .offset:         32
        .size:           8
        .value_kind:     global_buffer
      - .offset:         40
        .size:           8
        .value_kind:     by_value
      - .offset:         48
        .size:           8
        .value_kind:     by_value
      - .address_space:  global
        .offset:         56
        .size:           8
        .value_kind:     global_buffer
      - .offset:         64
        .size:           8
        .value_kind:     by_value
      - .offset:         72
        .size:           8
        .value_kind:     by_value
      - .address_space:  global
        .offset:         80
        .size:           8
        .value_kind:     global_buffer
      - .offset:         88
        .size:           8
        .value_kind:     by_value
      - .offset:         96
        .size:           8
        .value_kind:     by_value
      - .offset:         104
        .size:           4
        .value_kind:     by_value
    .group_segment_fixed_size: 16384
    .kernarg_segment_align: 8
    .kernarg_segment_size: 108
    .language:       OpenCL C
    .language_version:
      - 2
      - 0
    .max_flat_workgroup_size: 1024
    .name:           _ZL23rocblas_trmm_rNx_kernelILi32EddKPKdKPdEv13rocblas_fill_17rocblas_diagonal_iiT1_lPT2_llS9_llPT3_lli
    .private_segment_fixed_size: 0
    .sgpr_count:     34
    .sgpr_spill_count: 0
    .symbol:         _ZL23rocblas_trmm_rNx_kernelILi32EddKPKdKPdEv13rocblas_fill_17rocblas_diagonal_iiT1_lPT2_llS9_llPT3_lli.kd
    .uniform_work_group_size: 1
    .uses_dynamic_stack: false
    .vgpr_count:     32
    .vgpr_spill_count: 0
    .wavefront_size: 32
    .workgroup_processor_mode: 1
  - .args:
      - .offset:         0
        .size:           4
        .value_kind:     by_value
      - .offset:         4
        .size:           4
        .value_kind:     by_value
      - .offset:         8
        .size:           4
        .value_kind:     by_value
      - .offset:         12
        .size:           4
        .value_kind:     by_value
      - .address_space:  global
        .offset:         16
        .size:           8
        .value_kind:     global_buffer
      - .offset:         24
        .size:           8
        .value_kind:     by_value
      - .address_space:  global
        .offset:         32
        .size:           8
        .value_kind:     global_buffer
      - .offset:         40
        .size:           8
        .value_kind:     by_value
      - .offset:         48
        .size:           8
        .value_kind:     by_value
      - .address_space:  global
        .offset:         56
        .size:           8
        .value_kind:     global_buffer
      - .offset:         64
        .size:           8
        .value_kind:     by_value
      - .offset:         72
        .size:           8
        .value_kind:     by_value
      - .address_space:  global
        .offset:         80
        .size:           8
        .value_kind:     global_buffer
      - .offset:         88
        .size:           8
        .value_kind:     by_value
      - .offset:         96
        .size:           8
        .value_kind:     by_value
      - .offset:         104
        .size:           4
        .value_kind:     by_value
    .group_segment_fixed_size: 16384
    .kernarg_segment_align: 8
    .kernarg_segment_size: 108
    .language:       OpenCL C
    .language_version:
      - 2
      - 0
    .max_flat_workgroup_size: 1024
    .name:           _ZL23rocblas_trmm_rTx_kernelILi32ELb0EdPKdKS1_KPdEv13rocblas_fill_17rocblas_diagonal_iiT2_lPT3_llS9_llPT4_lli
    .private_segment_fixed_size: 0
    .sgpr_count:     38
    .sgpr_spill_count: 0
    .symbol:         _ZL23rocblas_trmm_rTx_kernelILi32ELb0EdPKdKS1_KPdEv13rocblas_fill_17rocblas_diagonal_iiT2_lPT3_llS9_llPT4_lli.kd
    .uniform_work_group_size: 1
    .uses_dynamic_stack: false
    .vgpr_count:     33
    .vgpr_spill_count: 0
    .wavefront_size: 32
    .workgroup_processor_mode: 1
  - .args:
      - .offset:         0
        .size:           4
        .value_kind:     by_value
      - .offset:         4
        .size:           4
        .value_kind:     by_value
      - .offset:         8
        .size:           4
        .value_kind:     by_value
      - .offset:         12
        .size:           4
        .value_kind:     by_value
      - .offset:         16
        .size:           8
        .value_kind:     by_value
      - .offset:         24
        .size:           8
        .value_kind:     by_value
      - .address_space:  global
        .offset:         32
        .size:           8
        .value_kind:     global_buffer
      - .offset:         40
        .size:           8
        .value_kind:     by_value
      - .offset:         48
        .size:           8
        .value_kind:     by_value
      - .address_space:  global
        .offset:         56
        .size:           8
        .value_kind:     global_buffer
      - .offset:         64
        .size:           8
        .value_kind:     by_value
      - .offset:         72
        .size:           8
        .value_kind:     by_value
      - .address_space:  global
        .offset:         80
        .size:           8
        .value_kind:     global_buffer
      - .offset:         88
        .size:           8
        .value_kind:     by_value
      - .offset:         96
        .size:           8
        .value_kind:     by_value
      - .offset:         104
        .size:           4
        .value_kind:     by_value
    .group_segment_fixed_size: 16384
    .kernarg_segment_align: 8
    .kernarg_segment_size: 108
    .language:       OpenCL C
    .language_version:
      - 2
      - 0
    .max_flat_workgroup_size: 1024
    .name:           _ZL23rocblas_trmm_rTx_kernelILi32ELb0EddKPKdKPdEv13rocblas_fill_17rocblas_diagonal_iiT2_lPT3_llS9_llPT4_lli
    .private_segment_fixed_size: 0
    .sgpr_count:     34
    .sgpr_spill_count: 0
    .symbol:         _ZL23rocblas_trmm_rTx_kernelILi32ELb0EddKPKdKPdEv13rocblas_fill_17rocblas_diagonal_iiT2_lPT3_llS9_llPT4_lli.kd
    .uniform_work_group_size: 1
    .uses_dynamic_stack: false
    .vgpr_count:     31
    .vgpr_spill_count: 0
    .wavefront_size: 32
    .workgroup_processor_mode: 1
  - .args:
      - .offset:         0
        .size:           4
        .value_kind:     by_value
      - .offset:         4
        .size:           4
        .value_kind:     by_value
      - .offset:         8
        .size:           4
        .value_kind:     by_value
      - .offset:         12
        .size:           4
        .value_kind:     by_value
      - .address_space:  global
        .offset:         16
        .size:           8
        .value_kind:     global_buffer
      - .offset:         24
        .size:           8
        .value_kind:     by_value
      - .address_space:  global
        .offset:         32
        .size:           8
        .value_kind:     global_buffer
      - .offset:         40
        .size:           8
        .value_kind:     by_value
      - .offset:         48
        .size:           8
        .value_kind:     by_value
      - .address_space:  global
        .offset:         56
        .size:           8
        .value_kind:     global_buffer
      - .offset:         64
        .size:           8
        .value_kind:     by_value
      - .offset:         72
        .size:           8
        .value_kind:     by_value
      - .address_space:  global
        .offset:         80
        .size:           8
        .value_kind:     global_buffer
      - .offset:         88
        .size:           8
        .value_kind:     by_value
      - .offset:         96
        .size:           8
        .value_kind:     by_value
      - .offset:         104
        .size:           4
        .value_kind:     by_value
    .group_segment_fixed_size: 16384
    .kernarg_segment_align: 8
    .kernarg_segment_size: 108
    .language:       OpenCL C
    .language_version:
      - 2
      - 0
    .max_flat_workgroup_size: 1024
    .name:           _ZL23rocblas_trmm_rTx_kernelILi32ELb1EdPKdKS1_KPdEv13rocblas_fill_17rocblas_diagonal_iiT2_lPT3_llS9_llPT4_lli
    .private_segment_fixed_size: 0
    .sgpr_count:     38
    .sgpr_spill_count: 0
    .symbol:         _ZL23rocblas_trmm_rTx_kernelILi32ELb1EdPKdKS1_KPdEv13rocblas_fill_17rocblas_diagonal_iiT2_lPT3_llS9_llPT4_lli.kd
    .uniform_work_group_size: 1
    .uses_dynamic_stack: false
    .vgpr_count:     33
    .vgpr_spill_count: 0
    .wavefront_size: 32
    .workgroup_processor_mode: 1
  - .args:
      - .offset:         0
        .size:           4
        .value_kind:     by_value
      - .offset:         4
        .size:           4
        .value_kind:     by_value
      - .offset:         8
        .size:           4
        .value_kind:     by_value
      - .offset:         12
        .size:           4
        .value_kind:     by_value
      - .offset:         16
        .size:           8
        .value_kind:     by_value
      - .offset:         24
        .size:           8
        .value_kind:     by_value
      - .address_space:  global
        .offset:         32
        .size:           8
        .value_kind:     global_buffer
      - .offset:         40
        .size:           8
        .value_kind:     by_value
      - .offset:         48
        .size:           8
        .value_kind:     by_value
      - .address_space:  global
        .offset:         56
        .size:           8
        .value_kind:     global_buffer
      - .offset:         64
        .size:           8
        .value_kind:     by_value
      - .offset:         72
        .size:           8
        .value_kind:     by_value
      - .address_space:  global
        .offset:         80
        .size:           8
        .value_kind:     global_buffer
      - .offset:         88
        .size:           8
        .value_kind:     by_value
      - .offset:         96
        .size:           8
        .value_kind:     by_value
      - .offset:         104
        .size:           4
        .value_kind:     by_value
    .group_segment_fixed_size: 16384
    .kernarg_segment_align: 8
    .kernarg_segment_size: 108
    .language:       OpenCL C
    .language_version:
      - 2
      - 0
    .max_flat_workgroup_size: 1024
    .name:           _ZL23rocblas_trmm_rTx_kernelILi32ELb1EddKPKdKPdEv13rocblas_fill_17rocblas_diagonal_iiT2_lPT3_llS9_llPT4_lli
    .private_segment_fixed_size: 0
    .sgpr_count:     34
    .sgpr_spill_count: 0
    .symbol:         _ZL23rocblas_trmm_rTx_kernelILi32ELb1EddKPKdKPdEv13rocblas_fill_17rocblas_diagonal_iiT2_lPT3_llS9_llPT4_lli.kd
    .uniform_work_group_size: 1
    .uses_dynamic_stack: false
    .vgpr_count:     31
    .vgpr_spill_count: 0
    .wavefront_size: 32
    .workgroup_processor_mode: 1
  - .args:
      - .offset:         0
        .size:           4
        .value_kind:     by_value
      - .offset:         4
        .size:           4
        .value_kind:     by_value
      - .offset:         8
        .size:           4
        .value_kind:     by_value
      - .offset:         12
        .size:           4
        .value_kind:     by_value
      - .address_space:  global
        .offset:         16
        .size:           8
        .value_kind:     global_buffer
      - .offset:         24
        .size:           8
        .value_kind:     by_value
      - .address_space:  global
        .offset:         32
        .size:           8
        .value_kind:     global_buffer
      - .offset:         40
        .size:           8
        .value_kind:     by_value
      - .offset:         48
        .size:           8
        .value_kind:     by_value
      - .address_space:  global
        .offset:         56
        .size:           8
        .value_kind:     global_buffer
      - .offset:         64
        .size:           8
        .value_kind:     by_value
      - .offset:         72
        .size:           8
        .value_kind:     by_value
      - .address_space:  global
        .offset:         80
        .size:           8
        .value_kind:     global_buffer
      - .offset:         88
        .size:           8
        .value_kind:     by_value
      - .offset:         96
        .size:           8
        .value_kind:     by_value
      - .offset:         104
        .size:           4
        .value_kind:     by_value
    .group_segment_fixed_size: 4096
    .kernarg_segment_align: 8
    .kernarg_segment_size: 108
    .language:       OpenCL C
    .language_version:
      - 2
      - 0
    .max_flat_workgroup_size: 256
    .name:           _ZL23rocblas_trmm_lNx_kernelILi16E19rocblas_complex_numIfEPKS1_KS3_KPS1_Ev13rocblas_fill_17rocblas_diagonal_iiT1_lPT2_llSB_llPT3_lli
    .private_segment_fixed_size: 0
    .sgpr_count:     40
    .sgpr_spill_count: 0
    .symbol:         _ZL23rocblas_trmm_lNx_kernelILi16E19rocblas_complex_numIfEPKS1_KS3_KPS1_Ev13rocblas_fill_17rocblas_diagonal_iiT1_lPT2_llSB_llPT3_lli.kd
    .uniform_work_group_size: 1
    .uses_dynamic_stack: false
    .vgpr_count:     92
    .vgpr_spill_count: 0
    .wavefront_size: 32
    .workgroup_processor_mode: 1
  - .args:
      - .offset:         0
        .size:           4
        .value_kind:     by_value
      - .offset:         4
        .size:           4
        .value_kind:     by_value
      - .offset:         8
        .size:           4
        .value_kind:     by_value
      - .offset:         12
        .size:           4
        .value_kind:     by_value
      - .offset:         16
        .size:           8
        .value_kind:     by_value
      - .offset:         24
        .size:           8
        .value_kind:     by_value
      - .address_space:  global
        .offset:         32
        .size:           8
        .value_kind:     global_buffer
      - .offset:         40
        .size:           8
        .value_kind:     by_value
      - .offset:         48
        .size:           8
        .value_kind:     by_value
      - .address_space:  global
        .offset:         56
        .size:           8
        .value_kind:     global_buffer
      - .offset:         64
        .size:           8
        .value_kind:     by_value
      - .offset:         72
        .size:           8
        .value_kind:     by_value
      - .address_space:  global
        .offset:         80
        .size:           8
        .value_kind:     global_buffer
      - .offset:         88
        .size:           8
        .value_kind:     by_value
      - .offset:         96
        .size:           8
        .value_kind:     by_value
      - .offset:         104
        .size:           4
        .value_kind:     by_value
    .group_segment_fixed_size: 4096
    .kernarg_segment_align: 8
    .kernarg_segment_size: 108
    .language:       OpenCL C
    .language_version:
      - 2
      - 0
    .max_flat_workgroup_size: 256
    .name:           _ZL23rocblas_trmm_lNx_kernelILi16E19rocblas_complex_numIfES1_KPKS1_KPS1_Ev13rocblas_fill_17rocblas_diagonal_iiT1_lPT2_llSB_llPT3_lli
    .private_segment_fixed_size: 0
    .sgpr_count:     38
    .sgpr_spill_count: 0
    .symbol:         _ZL23rocblas_trmm_lNx_kernelILi16E19rocblas_complex_numIfES1_KPKS1_KPS1_Ev13rocblas_fill_17rocblas_diagonal_iiT1_lPT2_llSB_llPT3_lli.kd
    .uniform_work_group_size: 1
    .uses_dynamic_stack: false
    .vgpr_count:     90
    .vgpr_spill_count: 0
    .wavefront_size: 32
    .workgroup_processor_mode: 1
  - .args:
      - .offset:         0
        .size:           4
        .value_kind:     by_value
      - .offset:         4
        .size:           4
        .value_kind:     by_value
      - .offset:         8
        .size:           4
        .value_kind:     by_value
      - .offset:         12
        .size:           4
        .value_kind:     by_value
      - .address_space:  global
        .offset:         16
        .size:           8
        .value_kind:     global_buffer
      - .offset:         24
        .size:           8
        .value_kind:     by_value
      - .address_space:  global
        .offset:         32
        .size:           8
        .value_kind:     global_buffer
      - .offset:         40
        .size:           8
        .value_kind:     by_value
      - .offset:         48
        .size:           8
        .value_kind:     by_value
      - .address_space:  global
        .offset:         56
        .size:           8
        .value_kind:     global_buffer
      - .offset:         64
        .size:           8
        .value_kind:     by_value
      - .offset:         72
        .size:           8
        .value_kind:     by_value
      - .address_space:  global
        .offset:         80
        .size:           8
        .value_kind:     global_buffer
      - .offset:         88
        .size:           8
        .value_kind:     by_value
      - .offset:         96
        .size:           8
        .value_kind:     by_value
      - .offset:         104
        .size:           4
        .value_kind:     by_value
    .group_segment_fixed_size: 4096
    .kernarg_segment_align: 8
    .kernarg_segment_size: 108
    .language:       OpenCL C
    .language_version:
      - 2
      - 0
    .max_flat_workgroup_size: 256
    .name:           _ZL23rocblas_trmm_lTx_kernelILi16ELb0E19rocblas_complex_numIfEPKS1_KS3_KPS1_Ev13rocblas_fill_17rocblas_diagonal_iiT2_lPT3_llSB_llPT4_lli
    .private_segment_fixed_size: 0
    .sgpr_count:     40
    .sgpr_spill_count: 0
    .symbol:         _ZL23rocblas_trmm_lTx_kernelILi16ELb0E19rocblas_complex_numIfEPKS1_KS3_KPS1_Ev13rocblas_fill_17rocblas_diagonal_iiT2_lPT3_llSB_llPT4_lli.kd
    .uniform_work_group_size: 1
    .uses_dynamic_stack: false
    .vgpr_count:     93
    .vgpr_spill_count: 0
    .wavefront_size: 32
    .workgroup_processor_mode: 1
  - .args:
      - .offset:         0
        .size:           4
        .value_kind:     by_value
      - .offset:         4
        .size:           4
        .value_kind:     by_value
      - .offset:         8
        .size:           4
        .value_kind:     by_value
      - .offset:         12
        .size:           4
        .value_kind:     by_value
      - .offset:         16
        .size:           8
        .value_kind:     by_value
      - .offset:         24
        .size:           8
        .value_kind:     by_value
      - .address_space:  global
        .offset:         32
        .size:           8
        .value_kind:     global_buffer
      - .offset:         40
        .size:           8
        .value_kind:     by_value
      - .offset:         48
        .size:           8
        .value_kind:     by_value
      - .address_space:  global
        .offset:         56
        .size:           8
        .value_kind:     global_buffer
      - .offset:         64
        .size:           8
        .value_kind:     by_value
      - .offset:         72
        .size:           8
        .value_kind:     by_value
      - .address_space:  global
        .offset:         80
        .size:           8
        .value_kind:     global_buffer
      - .offset:         88
        .size:           8
        .value_kind:     by_value
      - .offset:         96
        .size:           8
        .value_kind:     by_value
      - .offset:         104
        .size:           4
        .value_kind:     by_value
    .group_segment_fixed_size: 4096
    .kernarg_segment_align: 8
    .kernarg_segment_size: 108
    .language:       OpenCL C
    .language_version:
      - 2
      - 0
    .max_flat_workgroup_size: 256
    .name:           _ZL23rocblas_trmm_lTx_kernelILi16ELb0E19rocblas_complex_numIfES1_KPKS1_KPS1_Ev13rocblas_fill_17rocblas_diagonal_iiT2_lPT3_llSB_llPT4_lli
    .private_segment_fixed_size: 0
    .sgpr_count:     38
    .sgpr_spill_count: 0
    .symbol:         _ZL23rocblas_trmm_lTx_kernelILi16ELb0E19rocblas_complex_numIfES1_KPKS1_KPS1_Ev13rocblas_fill_17rocblas_diagonal_iiT2_lPT3_llSB_llPT4_lli.kd
    .uniform_work_group_size: 1
    .uses_dynamic_stack: false
    .vgpr_count:     91
    .vgpr_spill_count: 0
    .wavefront_size: 32
    .workgroup_processor_mode: 1
  - .args:
      - .offset:         0
        .size:           4
        .value_kind:     by_value
      - .offset:         4
        .size:           4
        .value_kind:     by_value
      - .offset:         8
        .size:           4
        .value_kind:     by_value
      - .offset:         12
        .size:           4
        .value_kind:     by_value
      - .address_space:  global
        .offset:         16
        .size:           8
        .value_kind:     global_buffer
      - .offset:         24
        .size:           8
        .value_kind:     by_value
      - .address_space:  global
        .offset:         32
        .size:           8
        .value_kind:     global_buffer
      - .offset:         40
        .size:           8
        .value_kind:     by_value
      - .offset:         48
        .size:           8
        .value_kind:     by_value
      - .address_space:  global
        .offset:         56
        .size:           8
        .value_kind:     global_buffer
      - .offset:         64
        .size:           8
        .value_kind:     by_value
      - .offset:         72
        .size:           8
        .value_kind:     by_value
      - .address_space:  global
        .offset:         80
        .size:           8
        .value_kind:     global_buffer
      - .offset:         88
        .size:           8
        .value_kind:     by_value
      - .offset:         96
        .size:           8
        .value_kind:     by_value
      - .offset:         104
        .size:           4
        .value_kind:     by_value
    .group_segment_fixed_size: 4096
    .kernarg_segment_align: 8
    .kernarg_segment_size: 108
    .language:       OpenCL C
    .language_version:
      - 2
      - 0
    .max_flat_workgroup_size: 256
    .name:           _ZL23rocblas_trmm_lTx_kernelILi16ELb1E19rocblas_complex_numIfEPKS1_KS3_KPS1_Ev13rocblas_fill_17rocblas_diagonal_iiT2_lPT3_llSB_llPT4_lli
    .private_segment_fixed_size: 0
    .sgpr_count:     40
    .sgpr_spill_count: 0
    .symbol:         _ZL23rocblas_trmm_lTx_kernelILi16ELb1E19rocblas_complex_numIfEPKS1_KS3_KPS1_Ev13rocblas_fill_17rocblas_diagonal_iiT2_lPT3_llSB_llPT4_lli.kd
    .uniform_work_group_size: 1
    .uses_dynamic_stack: false
    .vgpr_count:     93
    .vgpr_spill_count: 0
    .wavefront_size: 32
    .workgroup_processor_mode: 1
  - .args:
      - .offset:         0
        .size:           4
        .value_kind:     by_value
      - .offset:         4
        .size:           4
        .value_kind:     by_value
      - .offset:         8
        .size:           4
        .value_kind:     by_value
      - .offset:         12
        .size:           4
        .value_kind:     by_value
      - .offset:         16
        .size:           8
        .value_kind:     by_value
      - .offset:         24
        .size:           8
        .value_kind:     by_value
      - .address_space:  global
        .offset:         32
        .size:           8
        .value_kind:     global_buffer
      - .offset:         40
        .size:           8
        .value_kind:     by_value
      - .offset:         48
        .size:           8
        .value_kind:     by_value
      - .address_space:  global
        .offset:         56
        .size:           8
        .value_kind:     global_buffer
      - .offset:         64
        .size:           8
        .value_kind:     by_value
      - .offset:         72
        .size:           8
        .value_kind:     by_value
      - .address_space:  global
        .offset:         80
        .size:           8
        .value_kind:     global_buffer
      - .offset:         88
        .size:           8
        .value_kind:     by_value
      - .offset:         96
        .size:           8
        .value_kind:     by_value
      - .offset:         104
        .size:           4
        .value_kind:     by_value
    .group_segment_fixed_size: 4096
    .kernarg_segment_align: 8
    .kernarg_segment_size: 108
    .language:       OpenCL C
    .language_version:
      - 2
      - 0
    .max_flat_workgroup_size: 256
    .name:           _ZL23rocblas_trmm_lTx_kernelILi16ELb1E19rocblas_complex_numIfES1_KPKS1_KPS1_Ev13rocblas_fill_17rocblas_diagonal_iiT2_lPT3_llSB_llPT4_lli
    .private_segment_fixed_size: 0
    .sgpr_count:     38
    .sgpr_spill_count: 0
    .symbol:         _ZL23rocblas_trmm_lTx_kernelILi16ELb1E19rocblas_complex_numIfES1_KPKS1_KPS1_Ev13rocblas_fill_17rocblas_diagonal_iiT2_lPT3_llSB_llPT4_lli.kd
    .uniform_work_group_size: 1
    .uses_dynamic_stack: false
    .vgpr_count:     91
    .vgpr_spill_count: 0
    .wavefront_size: 32
    .workgroup_processor_mode: 1
  - .args:
      - .offset:         0
        .size:           4
        .value_kind:     by_value
      - .offset:         4
        .size:           4
        .value_kind:     by_value
      - .offset:         8
        .size:           4
        .value_kind:     by_value
      - .offset:         12
        .size:           4
        .value_kind:     by_value
      - .address_space:  global
        .offset:         16
        .size:           8
        .value_kind:     global_buffer
      - .offset:         24
        .size:           8
        .value_kind:     by_value
      - .address_space:  global
        .offset:         32
        .size:           8
        .value_kind:     global_buffer
      - .offset:         40
        .size:           8
        .value_kind:     by_value
      - .offset:         48
        .size:           8
        .value_kind:     by_value
      - .address_space:  global
        .offset:         56
        .size:           8
        .value_kind:     global_buffer
      - .offset:         64
        .size:           8
        .value_kind:     by_value
      - .offset:         72
        .size:           8
        .value_kind:     by_value
      - .address_space:  global
        .offset:         80
        .size:           8
        .value_kind:     global_buffer
      - .offset:         88
        .size:           8
        .value_kind:     by_value
      - .offset:         96
        .size:           8
        .value_kind:     by_value
      - .offset:         104
        .size:           4
        .value_kind:     by_value
    .group_segment_fixed_size: 4096
    .kernarg_segment_align: 8
    .kernarg_segment_size: 108
    .language:       OpenCL C
    .language_version:
      - 2
      - 0
    .max_flat_workgroup_size: 256
    .name:           _ZL23rocblas_trmm_rNx_kernelILi16E19rocblas_complex_numIfEPKS1_KS3_KPS1_Ev13rocblas_fill_17rocblas_diagonal_iiT1_lPT2_llSB_llPT3_lli
    .private_segment_fixed_size: 0
    .sgpr_count:     40
    .sgpr_spill_count: 0
    .symbol:         _ZL23rocblas_trmm_rNx_kernelILi16E19rocblas_complex_numIfEPKS1_KS3_KPS1_Ev13rocblas_fill_17rocblas_diagonal_iiT1_lPT2_llSB_llPT3_lli.kd
    .uniform_work_group_size: 1
    .uses_dynamic_stack: false
    .vgpr_count:     92
    .vgpr_spill_count: 0
    .wavefront_size: 32
    .workgroup_processor_mode: 1
  - .args:
      - .offset:         0
        .size:           4
        .value_kind:     by_value
      - .offset:         4
        .size:           4
        .value_kind:     by_value
      - .offset:         8
        .size:           4
        .value_kind:     by_value
      - .offset:         12
        .size:           4
        .value_kind:     by_value
      - .offset:         16
        .size:           8
        .value_kind:     by_value
      - .offset:         24
        .size:           8
        .value_kind:     by_value
      - .address_space:  global
        .offset:         32
        .size:           8
        .value_kind:     global_buffer
      - .offset:         40
        .size:           8
        .value_kind:     by_value
      - .offset:         48
        .size:           8
        .value_kind:     by_value
      - .address_space:  global
        .offset:         56
        .size:           8
        .value_kind:     global_buffer
      - .offset:         64
        .size:           8
        .value_kind:     by_value
      - .offset:         72
        .size:           8
        .value_kind:     by_value
      - .address_space:  global
        .offset:         80
        .size:           8
        .value_kind:     global_buffer
      - .offset:         88
        .size:           8
        .value_kind:     by_value
      - .offset:         96
        .size:           8
        .value_kind:     by_value
      - .offset:         104
        .size:           4
        .value_kind:     by_value
    .group_segment_fixed_size: 4096
    .kernarg_segment_align: 8
    .kernarg_segment_size: 108
    .language:       OpenCL C
    .language_version:
      - 2
      - 0
    .max_flat_workgroup_size: 256
    .name:           _ZL23rocblas_trmm_rNx_kernelILi16E19rocblas_complex_numIfES1_KPKS1_KPS1_Ev13rocblas_fill_17rocblas_diagonal_iiT1_lPT2_llSB_llPT3_lli
    .private_segment_fixed_size: 0
    .sgpr_count:     38
    .sgpr_spill_count: 0
    .symbol:         _ZL23rocblas_trmm_rNx_kernelILi16E19rocblas_complex_numIfES1_KPKS1_KPS1_Ev13rocblas_fill_17rocblas_diagonal_iiT1_lPT2_llSB_llPT3_lli.kd
    .uniform_work_group_size: 1
    .uses_dynamic_stack: false
    .vgpr_count:     90
    .vgpr_spill_count: 0
    .wavefront_size: 32
    .workgroup_processor_mode: 1
  - .args:
      - .offset:         0
        .size:           4
        .value_kind:     by_value
      - .offset:         4
        .size:           4
        .value_kind:     by_value
      - .offset:         8
        .size:           4
        .value_kind:     by_value
      - .offset:         12
        .size:           4
        .value_kind:     by_value
      - .address_space:  global
        .offset:         16
        .size:           8
        .value_kind:     global_buffer
      - .offset:         24
        .size:           8
        .value_kind:     by_value
      - .address_space:  global
        .offset:         32
        .size:           8
        .value_kind:     global_buffer
      - .offset:         40
        .size:           8
        .value_kind:     by_value
      - .offset:         48
        .size:           8
        .value_kind:     by_value
      - .address_space:  global
        .offset:         56
        .size:           8
        .value_kind:     global_buffer
      - .offset:         64
        .size:           8
        .value_kind:     by_value
      - .offset:         72
        .size:           8
        .value_kind:     by_value
      - .address_space:  global
        .offset:         80
        .size:           8
        .value_kind:     global_buffer
      - .offset:         88
        .size:           8
        .value_kind:     by_value
      - .offset:         96
        .size:           8
        .value_kind:     by_value
      - .offset:         104
        .size:           4
        .value_kind:     by_value
    .group_segment_fixed_size: 4096
    .kernarg_segment_align: 8
    .kernarg_segment_size: 108
    .language:       OpenCL C
    .language_version:
      - 2
      - 0
    .max_flat_workgroup_size: 256
    .name:           _ZL23rocblas_trmm_rTx_kernelILi16ELb0E19rocblas_complex_numIfEPKS1_KS3_KPS1_Ev13rocblas_fill_17rocblas_diagonal_iiT2_lPT3_llSB_llPT4_lli
    .private_segment_fixed_size: 0
    .sgpr_count:     40
    .sgpr_spill_count: 0
    .symbol:         _ZL23rocblas_trmm_rTx_kernelILi16ELb0E19rocblas_complex_numIfEPKS1_KS3_KPS1_Ev13rocblas_fill_17rocblas_diagonal_iiT2_lPT3_llSB_llPT4_lli.kd
    .uniform_work_group_size: 1
    .uses_dynamic_stack: false
    .vgpr_count:     92
    .vgpr_spill_count: 0
    .wavefront_size: 32
    .workgroup_processor_mode: 1
  - .args:
      - .offset:         0
        .size:           4
        .value_kind:     by_value
      - .offset:         4
        .size:           4
        .value_kind:     by_value
      - .offset:         8
        .size:           4
        .value_kind:     by_value
      - .offset:         12
        .size:           4
        .value_kind:     by_value
      - .offset:         16
        .size:           8
        .value_kind:     by_value
      - .offset:         24
        .size:           8
        .value_kind:     by_value
      - .address_space:  global
        .offset:         32
        .size:           8
        .value_kind:     global_buffer
      - .offset:         40
        .size:           8
        .value_kind:     by_value
      - .offset:         48
        .size:           8
        .value_kind:     by_value
      - .address_space:  global
        .offset:         56
        .size:           8
        .value_kind:     global_buffer
      - .offset:         64
        .size:           8
        .value_kind:     by_value
      - .offset:         72
        .size:           8
        .value_kind:     by_value
      - .address_space:  global
        .offset:         80
        .size:           8
        .value_kind:     global_buffer
      - .offset:         88
        .size:           8
        .value_kind:     by_value
      - .offset:         96
        .size:           8
        .value_kind:     by_value
      - .offset:         104
        .size:           4
        .value_kind:     by_value
    .group_segment_fixed_size: 4096
    .kernarg_segment_align: 8
    .kernarg_segment_size: 108
    .language:       OpenCL C
    .language_version:
      - 2
      - 0
    .max_flat_workgroup_size: 256
    .name:           _ZL23rocblas_trmm_rTx_kernelILi16ELb0E19rocblas_complex_numIfES1_KPKS1_KPS1_Ev13rocblas_fill_17rocblas_diagonal_iiT2_lPT3_llSB_llPT4_lli
    .private_segment_fixed_size: 0
    .sgpr_count:     38
    .sgpr_spill_count: 0
    .symbol:         _ZL23rocblas_trmm_rTx_kernelILi16ELb0E19rocblas_complex_numIfES1_KPKS1_KPS1_Ev13rocblas_fill_17rocblas_diagonal_iiT2_lPT3_llSB_llPT4_lli.kd
    .uniform_work_group_size: 1
    .uses_dynamic_stack: false
    .vgpr_count:     90
    .vgpr_spill_count: 0
    .wavefront_size: 32
    .workgroup_processor_mode: 1
  - .args:
      - .offset:         0
        .size:           4
        .value_kind:     by_value
      - .offset:         4
        .size:           4
        .value_kind:     by_value
      - .offset:         8
        .size:           4
        .value_kind:     by_value
      - .offset:         12
        .size:           4
        .value_kind:     by_value
      - .address_space:  global
        .offset:         16
        .size:           8
        .value_kind:     global_buffer
      - .offset:         24
        .size:           8
        .value_kind:     by_value
      - .address_space:  global
        .offset:         32
        .size:           8
        .value_kind:     global_buffer
      - .offset:         40
        .size:           8
        .value_kind:     by_value
      - .offset:         48
        .size:           8
        .value_kind:     by_value
      - .address_space:  global
        .offset:         56
        .size:           8
        .value_kind:     global_buffer
      - .offset:         64
        .size:           8
        .value_kind:     by_value
      - .offset:         72
        .size:           8
        .value_kind:     by_value
      - .address_space:  global
        .offset:         80
        .size:           8
        .value_kind:     global_buffer
      - .offset:         88
        .size:           8
        .value_kind:     by_value
      - .offset:         96
        .size:           8
        .value_kind:     by_value
      - .offset:         104
        .size:           4
        .value_kind:     by_value
    .group_segment_fixed_size: 4096
    .kernarg_segment_align: 8
    .kernarg_segment_size: 108
    .language:       OpenCL C
    .language_version:
      - 2
      - 0
    .max_flat_workgroup_size: 256
    .name:           _ZL23rocblas_trmm_rTx_kernelILi16ELb1E19rocblas_complex_numIfEPKS1_KS3_KPS1_Ev13rocblas_fill_17rocblas_diagonal_iiT2_lPT3_llSB_llPT4_lli
    .private_segment_fixed_size: 0
    .sgpr_count:     40
    .sgpr_spill_count: 0
    .symbol:         _ZL23rocblas_trmm_rTx_kernelILi16ELb1E19rocblas_complex_numIfEPKS1_KS3_KPS1_Ev13rocblas_fill_17rocblas_diagonal_iiT2_lPT3_llSB_llPT4_lli.kd
    .uniform_work_group_size: 1
    .uses_dynamic_stack: false
    .vgpr_count:     92
    .vgpr_spill_count: 0
    .wavefront_size: 32
    .workgroup_processor_mode: 1
  - .args:
      - .offset:         0
        .size:           4
        .value_kind:     by_value
      - .offset:         4
        .size:           4
        .value_kind:     by_value
      - .offset:         8
        .size:           4
        .value_kind:     by_value
      - .offset:         12
        .size:           4
        .value_kind:     by_value
      - .offset:         16
        .size:           8
        .value_kind:     by_value
      - .offset:         24
        .size:           8
        .value_kind:     by_value
      - .address_space:  global
        .offset:         32
        .size:           8
        .value_kind:     global_buffer
      - .offset:         40
        .size:           8
        .value_kind:     by_value
      - .offset:         48
        .size:           8
        .value_kind:     by_value
      - .address_space:  global
        .offset:         56
        .size:           8
        .value_kind:     global_buffer
      - .offset:         64
        .size:           8
        .value_kind:     by_value
      - .offset:         72
        .size:           8
        .value_kind:     by_value
      - .address_space:  global
        .offset:         80
        .size:           8
        .value_kind:     global_buffer
      - .offset:         88
        .size:           8
        .value_kind:     by_value
      - .offset:         96
        .size:           8
        .value_kind:     by_value
      - .offset:         104
        .size:           4
        .value_kind:     by_value
    .group_segment_fixed_size: 4096
    .kernarg_segment_align: 8
    .kernarg_segment_size: 108
    .language:       OpenCL C
    .language_version:
      - 2
      - 0
    .max_flat_workgroup_size: 256
    .name:           _ZL23rocblas_trmm_rTx_kernelILi16ELb1E19rocblas_complex_numIfES1_KPKS1_KPS1_Ev13rocblas_fill_17rocblas_diagonal_iiT2_lPT3_llSB_llPT4_lli
    .private_segment_fixed_size: 0
    .sgpr_count:     38
    .sgpr_spill_count: 0
    .symbol:         _ZL23rocblas_trmm_rTx_kernelILi16ELb1E19rocblas_complex_numIfES1_KPKS1_KPS1_Ev13rocblas_fill_17rocblas_diagonal_iiT2_lPT3_llSB_llPT4_lli.kd
    .uniform_work_group_size: 1
    .uses_dynamic_stack: false
    .vgpr_count:     90
    .vgpr_spill_count: 0
    .wavefront_size: 32
    .workgroup_processor_mode: 1
  - .args:
      - .offset:         0
        .size:           4
        .value_kind:     by_value
      - .offset:         4
        .size:           4
        .value_kind:     by_value
      - .offset:         8
        .size:           4
        .value_kind:     by_value
      - .offset:         12
        .size:           4
        .value_kind:     by_value
      - .address_space:  global
        .offset:         16
        .size:           8
        .value_kind:     global_buffer
      - .offset:         24
        .size:           8
        .value_kind:     by_value
      - .address_space:  global
        .offset:         32
        .size:           8
        .value_kind:     global_buffer
      - .offset:         40
        .size:           8
        .value_kind:     by_value
      - .offset:         48
        .size:           8
        .value_kind:     by_value
      - .address_space:  global
        .offset:         56
        .size:           8
        .value_kind:     global_buffer
      - .offset:         64
        .size:           8
        .value_kind:     by_value
      - .offset:         72
        .size:           8
        .value_kind:     by_value
      - .address_space:  global
        .offset:         80
        .size:           8
        .value_kind:     global_buffer
      - .offset:         88
        .size:           8
        .value_kind:     by_value
      - .offset:         96
        .size:           8
        .value_kind:     by_value
      - .offset:         104
        .size:           4
        .value_kind:     by_value
    .group_segment_fixed_size: 8192
    .kernarg_segment_align: 8
    .kernarg_segment_size: 108
    .language:       OpenCL C
    .language_version:
      - 2
      - 0
    .max_flat_workgroup_size: 256
    .name:           _ZL23rocblas_trmm_lNx_kernelILi16E19rocblas_complex_numIdEPKS1_KS3_KPS1_Ev13rocblas_fill_17rocblas_diagonal_iiT1_lPT2_llSB_llPT3_lli
    .private_segment_fixed_size: 0
    .sgpr_count:     42
    .sgpr_spill_count: 0
    .symbol:         _ZL23rocblas_trmm_lNx_kernelILi16E19rocblas_complex_numIdEPKS1_KS3_KPS1_Ev13rocblas_fill_17rocblas_diagonal_iiT1_lPT2_llSB_llPT3_lli.kd
    .uniform_work_group_size: 1
    .uses_dynamic_stack: false
    .vgpr_count:     61
    .vgpr_spill_count: 0
    .wavefront_size: 32
    .workgroup_processor_mode: 1
  - .args:
      - .offset:         0
        .size:           4
        .value_kind:     by_value
      - .offset:         4
        .size:           4
        .value_kind:     by_value
      - .offset:         8
        .size:           4
        .value_kind:     by_value
      - .offset:         12
        .size:           4
        .value_kind:     by_value
      - .offset:         16
        .size:           16
        .value_kind:     by_value
      - .offset:         32
        .size:           8
        .value_kind:     by_value
      - .address_space:  global
        .offset:         40
        .size:           8
        .value_kind:     global_buffer
      - .offset:         48
        .size:           8
        .value_kind:     by_value
      - .offset:         56
        .size:           8
        .value_kind:     by_value
      - .address_space:  global
        .offset:         64
        .size:           8
        .value_kind:     global_buffer
      - .offset:         72
        .size:           8
        .value_kind:     by_value
      - .offset:         80
        .size:           8
        .value_kind:     by_value
      - .address_space:  global
        .offset:         88
        .size:           8
        .value_kind:     global_buffer
      - .offset:         96
        .size:           8
        .value_kind:     by_value
      - .offset:         104
        .size:           8
        .value_kind:     by_value
      - .offset:         112
        .size:           4
        .value_kind:     by_value
    .group_segment_fixed_size: 8192
    .kernarg_segment_align: 8
    .kernarg_segment_size: 116
    .language:       OpenCL C
    .language_version:
      - 2
      - 0
    .max_flat_workgroup_size: 256
    .name:           _ZL23rocblas_trmm_lNx_kernelILi16E19rocblas_complex_numIdES1_KPKS1_KPS1_Ev13rocblas_fill_17rocblas_diagonal_iiT1_lPT2_llSB_llPT3_lli
    .private_segment_fixed_size: 0
    .sgpr_count:     46
    .sgpr_spill_count: 0
    .symbol:         _ZL23rocblas_trmm_lNx_kernelILi16E19rocblas_complex_numIdES1_KPKS1_KPS1_Ev13rocblas_fill_17rocblas_diagonal_iiT1_lPT2_llSB_llPT3_lli.kd
    .uniform_work_group_size: 1
    .uses_dynamic_stack: false
    .vgpr_count:     57
    .vgpr_spill_count: 0
    .wavefront_size: 32
    .workgroup_processor_mode: 1
  - .args:
      - .offset:         0
        .size:           4
        .value_kind:     by_value
      - .offset:         4
        .size:           4
        .value_kind:     by_value
      - .offset:         8
        .size:           4
        .value_kind:     by_value
      - .offset:         12
        .size:           4
        .value_kind:     by_value
      - .address_space:  global
        .offset:         16
        .size:           8
        .value_kind:     global_buffer
      - .offset:         24
        .size:           8
        .value_kind:     by_value
      - .address_space:  global
        .offset:         32
        .size:           8
        .value_kind:     global_buffer
      - .offset:         40
        .size:           8
        .value_kind:     by_value
      - .offset:         48
        .size:           8
        .value_kind:     by_value
      - .address_space:  global
        .offset:         56
        .size:           8
        .value_kind:     global_buffer
      - .offset:         64
        .size:           8
        .value_kind:     by_value
      - .offset:         72
        .size:           8
        .value_kind:     by_value
      - .address_space:  global
        .offset:         80
        .size:           8
        .value_kind:     global_buffer
      - .offset:         88
        .size:           8
        .value_kind:     by_value
      - .offset:         96
        .size:           8
        .value_kind:     by_value
      - .offset:         104
        .size:           4
        .value_kind:     by_value
    .group_segment_fixed_size: 8192
    .kernarg_segment_align: 8
    .kernarg_segment_size: 108
    .language:       OpenCL C
    .language_version:
      - 2
      - 0
    .max_flat_workgroup_size: 256
    .name:           _ZL23rocblas_trmm_lTx_kernelILi16ELb0E19rocblas_complex_numIdEPKS1_KS3_KPS1_Ev13rocblas_fill_17rocblas_diagonal_iiT2_lPT3_llSB_llPT4_lli
    .private_segment_fixed_size: 0
    .sgpr_count:     42
    .sgpr_spill_count: 0
    .symbol:         _ZL23rocblas_trmm_lTx_kernelILi16ELb0E19rocblas_complex_numIdEPKS1_KS3_KPS1_Ev13rocblas_fill_17rocblas_diagonal_iiT2_lPT3_llSB_llPT4_lli.kd
    .uniform_work_group_size: 1
    .uses_dynamic_stack: false
    .vgpr_count:     62
    .vgpr_spill_count: 0
    .wavefront_size: 32
    .workgroup_processor_mode: 1
  - .args:
      - .offset:         0
        .size:           4
        .value_kind:     by_value
      - .offset:         4
        .size:           4
        .value_kind:     by_value
      - .offset:         8
        .size:           4
        .value_kind:     by_value
      - .offset:         12
        .size:           4
        .value_kind:     by_value
      - .offset:         16
        .size:           16
        .value_kind:     by_value
      - .offset:         32
        .size:           8
        .value_kind:     by_value
      - .address_space:  global
        .offset:         40
        .size:           8
        .value_kind:     global_buffer
      - .offset:         48
        .size:           8
        .value_kind:     by_value
      - .offset:         56
        .size:           8
        .value_kind:     by_value
      - .address_space:  global
        .offset:         64
        .size:           8
        .value_kind:     global_buffer
      - .offset:         72
        .size:           8
        .value_kind:     by_value
      - .offset:         80
        .size:           8
        .value_kind:     by_value
      - .address_space:  global
        .offset:         88
        .size:           8
        .value_kind:     global_buffer
      - .offset:         96
        .size:           8
        .value_kind:     by_value
      - .offset:         104
        .size:           8
        .value_kind:     by_value
      - .offset:         112
        .size:           4
        .value_kind:     by_value
    .group_segment_fixed_size: 8192
    .kernarg_segment_align: 8
    .kernarg_segment_size: 116
    .language:       OpenCL C
    .language_version:
      - 2
      - 0
    .max_flat_workgroup_size: 256
    .name:           _ZL23rocblas_trmm_lTx_kernelILi16ELb0E19rocblas_complex_numIdES1_KPKS1_KPS1_Ev13rocblas_fill_17rocblas_diagonal_iiT2_lPT3_llSB_llPT4_lli
    .private_segment_fixed_size: 0
    .sgpr_count:     46
    .sgpr_spill_count: 0
    .symbol:         _ZL23rocblas_trmm_lTx_kernelILi16ELb0E19rocblas_complex_numIdES1_KPKS1_KPS1_Ev13rocblas_fill_17rocblas_diagonal_iiT2_lPT3_llSB_llPT4_lli.kd
    .uniform_work_group_size: 1
    .uses_dynamic_stack: false
    .vgpr_count:     58
    .vgpr_spill_count: 0
    .wavefront_size: 32
    .workgroup_processor_mode: 1
  - .args:
      - .offset:         0
        .size:           4
        .value_kind:     by_value
      - .offset:         4
        .size:           4
        .value_kind:     by_value
      - .offset:         8
        .size:           4
        .value_kind:     by_value
      - .offset:         12
        .size:           4
        .value_kind:     by_value
      - .address_space:  global
        .offset:         16
        .size:           8
        .value_kind:     global_buffer
      - .offset:         24
        .size:           8
        .value_kind:     by_value
      - .address_space:  global
        .offset:         32
        .size:           8
        .value_kind:     global_buffer
      - .offset:         40
        .size:           8
        .value_kind:     by_value
      - .offset:         48
        .size:           8
        .value_kind:     by_value
      - .address_space:  global
        .offset:         56
        .size:           8
        .value_kind:     global_buffer
      - .offset:         64
        .size:           8
        .value_kind:     by_value
      - .offset:         72
        .size:           8
        .value_kind:     by_value
      - .address_space:  global
        .offset:         80
        .size:           8
        .value_kind:     global_buffer
      - .offset:         88
        .size:           8
        .value_kind:     by_value
      - .offset:         96
        .size:           8
        .value_kind:     by_value
      - .offset:         104
        .size:           4
        .value_kind:     by_value
    .group_segment_fixed_size: 8192
    .kernarg_segment_align: 8
    .kernarg_segment_size: 108
    .language:       OpenCL C
    .language_version:
      - 2
      - 0
    .max_flat_workgroup_size: 256
    .name:           _ZL23rocblas_trmm_lTx_kernelILi16ELb1E19rocblas_complex_numIdEPKS1_KS3_KPS1_Ev13rocblas_fill_17rocblas_diagonal_iiT2_lPT3_llSB_llPT4_lli
    .private_segment_fixed_size: 0
    .sgpr_count:     42
    .sgpr_spill_count: 0
    .symbol:         _ZL23rocblas_trmm_lTx_kernelILi16ELb1E19rocblas_complex_numIdEPKS1_KS3_KPS1_Ev13rocblas_fill_17rocblas_diagonal_iiT2_lPT3_llSB_llPT4_lli.kd
    .uniform_work_group_size: 1
    .uses_dynamic_stack: false
    .vgpr_count:     62
    .vgpr_spill_count: 0
    .wavefront_size: 32
    .workgroup_processor_mode: 1
  - .args:
      - .offset:         0
        .size:           4
        .value_kind:     by_value
      - .offset:         4
        .size:           4
        .value_kind:     by_value
      - .offset:         8
        .size:           4
        .value_kind:     by_value
      - .offset:         12
        .size:           4
        .value_kind:     by_value
      - .offset:         16
        .size:           16
        .value_kind:     by_value
      - .offset:         32
        .size:           8
        .value_kind:     by_value
      - .address_space:  global
        .offset:         40
        .size:           8
        .value_kind:     global_buffer
      - .offset:         48
        .size:           8
        .value_kind:     by_value
      - .offset:         56
        .size:           8
        .value_kind:     by_value
      - .address_space:  global
        .offset:         64
        .size:           8
        .value_kind:     global_buffer
      - .offset:         72
        .size:           8
        .value_kind:     by_value
      - .offset:         80
        .size:           8
        .value_kind:     by_value
      - .address_space:  global
        .offset:         88
        .size:           8
        .value_kind:     global_buffer
      - .offset:         96
        .size:           8
        .value_kind:     by_value
      - .offset:         104
        .size:           8
        .value_kind:     by_value
      - .offset:         112
        .size:           4
        .value_kind:     by_value
    .group_segment_fixed_size: 8192
    .kernarg_segment_align: 8
    .kernarg_segment_size: 116
    .language:       OpenCL C
    .language_version:
      - 2
      - 0
    .max_flat_workgroup_size: 256
    .name:           _ZL23rocblas_trmm_lTx_kernelILi16ELb1E19rocblas_complex_numIdES1_KPKS1_KPS1_Ev13rocblas_fill_17rocblas_diagonal_iiT2_lPT3_llSB_llPT4_lli
    .private_segment_fixed_size: 0
    .sgpr_count:     46
    .sgpr_spill_count: 0
    .symbol:         _ZL23rocblas_trmm_lTx_kernelILi16ELb1E19rocblas_complex_numIdES1_KPKS1_KPS1_Ev13rocblas_fill_17rocblas_diagonal_iiT2_lPT3_llSB_llPT4_lli.kd
    .uniform_work_group_size: 1
    .uses_dynamic_stack: false
    .vgpr_count:     58
    .vgpr_spill_count: 0
    .wavefront_size: 32
    .workgroup_processor_mode: 1
  - .args:
      - .offset:         0
        .size:           4
        .value_kind:     by_value
      - .offset:         4
        .size:           4
        .value_kind:     by_value
      - .offset:         8
        .size:           4
        .value_kind:     by_value
      - .offset:         12
        .size:           4
        .value_kind:     by_value
      - .address_space:  global
        .offset:         16
        .size:           8
        .value_kind:     global_buffer
      - .offset:         24
        .size:           8
        .value_kind:     by_value
      - .address_space:  global
        .offset:         32
        .size:           8
        .value_kind:     global_buffer
      - .offset:         40
        .size:           8
        .value_kind:     by_value
      - .offset:         48
        .size:           8
        .value_kind:     by_value
      - .address_space:  global
        .offset:         56
        .size:           8
        .value_kind:     global_buffer
      - .offset:         64
        .size:           8
        .value_kind:     by_value
      - .offset:         72
        .size:           8
        .value_kind:     by_value
      - .address_space:  global
        .offset:         80
        .size:           8
        .value_kind:     global_buffer
      - .offset:         88
        .size:           8
        .value_kind:     by_value
      - .offset:         96
        .size:           8
        .value_kind:     by_value
      - .offset:         104
        .size:           4
        .value_kind:     by_value
    .group_segment_fixed_size: 8192
    .kernarg_segment_align: 8
    .kernarg_segment_size: 108
    .language:       OpenCL C
    .language_version:
      - 2
      - 0
    .max_flat_workgroup_size: 256
    .name:           _ZL23rocblas_trmm_rNx_kernelILi16E19rocblas_complex_numIdEPKS1_KS3_KPS1_Ev13rocblas_fill_17rocblas_diagonal_iiT1_lPT2_llSB_llPT3_lli
    .private_segment_fixed_size: 0
    .sgpr_count:     42
    .sgpr_spill_count: 0
    .symbol:         _ZL23rocblas_trmm_rNx_kernelILi16E19rocblas_complex_numIdEPKS1_KS3_KPS1_Ev13rocblas_fill_17rocblas_diagonal_iiT1_lPT2_llSB_llPT3_lli.kd
    .uniform_work_group_size: 1
    .uses_dynamic_stack: false
    .vgpr_count:     61
    .vgpr_spill_count: 0
    .wavefront_size: 32
    .workgroup_processor_mode: 1
  - .args:
      - .offset:         0
        .size:           4
        .value_kind:     by_value
      - .offset:         4
        .size:           4
        .value_kind:     by_value
      - .offset:         8
        .size:           4
        .value_kind:     by_value
      - .offset:         12
        .size:           4
        .value_kind:     by_value
      - .offset:         16
        .size:           16
        .value_kind:     by_value
      - .offset:         32
        .size:           8
        .value_kind:     by_value
      - .address_space:  global
        .offset:         40
        .size:           8
        .value_kind:     global_buffer
      - .offset:         48
        .size:           8
        .value_kind:     by_value
      - .offset:         56
        .size:           8
        .value_kind:     by_value
      - .address_space:  global
        .offset:         64
        .size:           8
        .value_kind:     global_buffer
      - .offset:         72
        .size:           8
        .value_kind:     by_value
      - .offset:         80
        .size:           8
        .value_kind:     by_value
      - .address_space:  global
        .offset:         88
        .size:           8
        .value_kind:     global_buffer
      - .offset:         96
        .size:           8
        .value_kind:     by_value
      - .offset:         104
        .size:           8
        .value_kind:     by_value
      - .offset:         112
        .size:           4
        .value_kind:     by_value
    .group_segment_fixed_size: 8192
    .kernarg_segment_align: 8
    .kernarg_segment_size: 116
    .language:       OpenCL C
    .language_version:
      - 2
      - 0
    .max_flat_workgroup_size: 256
    .name:           _ZL23rocblas_trmm_rNx_kernelILi16E19rocblas_complex_numIdES1_KPKS1_KPS1_Ev13rocblas_fill_17rocblas_diagonal_iiT1_lPT2_llSB_llPT3_lli
    .private_segment_fixed_size: 0
    .sgpr_count:     42
    .sgpr_spill_count: 0
    .symbol:         _ZL23rocblas_trmm_rNx_kernelILi16E19rocblas_complex_numIdES1_KPKS1_KPS1_Ev13rocblas_fill_17rocblas_diagonal_iiT1_lPT2_llSB_llPT3_lli.kd
    .uniform_work_group_size: 1
    .uses_dynamic_stack: false
    .vgpr_count:     57
    .vgpr_spill_count: 0
    .wavefront_size: 32
    .workgroup_processor_mode: 1
  - .args:
      - .offset:         0
        .size:           4
        .value_kind:     by_value
      - .offset:         4
        .size:           4
        .value_kind:     by_value
      - .offset:         8
        .size:           4
        .value_kind:     by_value
      - .offset:         12
        .size:           4
        .value_kind:     by_value
      - .address_space:  global
        .offset:         16
        .size:           8
        .value_kind:     global_buffer
      - .offset:         24
        .size:           8
        .value_kind:     by_value
      - .address_space:  global
        .offset:         32
        .size:           8
        .value_kind:     global_buffer
      - .offset:         40
        .size:           8
        .value_kind:     by_value
      - .offset:         48
        .size:           8
        .value_kind:     by_value
      - .address_space:  global
        .offset:         56
        .size:           8
        .value_kind:     global_buffer
      - .offset:         64
        .size:           8
        .value_kind:     by_value
      - .offset:         72
        .size:           8
        .value_kind:     by_value
      - .address_space:  global
        .offset:         80
        .size:           8
        .value_kind:     global_buffer
      - .offset:         88
        .size:           8
        .value_kind:     by_value
      - .offset:         96
        .size:           8
        .value_kind:     by_value
      - .offset:         104
        .size:           4
        .value_kind:     by_value
    .group_segment_fixed_size: 8192
    .kernarg_segment_align: 8
    .kernarg_segment_size: 108
    .language:       OpenCL C
    .language_version:
      - 2
      - 0
    .max_flat_workgroup_size: 256
    .name:           _ZL23rocblas_trmm_rTx_kernelILi16ELb0E19rocblas_complex_numIdEPKS1_KS3_KPS1_Ev13rocblas_fill_17rocblas_diagonal_iiT2_lPT3_llSB_llPT4_lli
    .private_segment_fixed_size: 0
    .sgpr_count:     42
    .sgpr_spill_count: 0
    .symbol:         _ZL23rocblas_trmm_rTx_kernelILi16ELb0E19rocblas_complex_numIdEPKS1_KS3_KPS1_Ev13rocblas_fill_17rocblas_diagonal_iiT2_lPT3_llSB_llPT4_lli.kd
    .uniform_work_group_size: 1
    .uses_dynamic_stack: false
    .vgpr_count:     61
    .vgpr_spill_count: 0
    .wavefront_size: 32
    .workgroup_processor_mode: 1
  - .args:
      - .offset:         0
        .size:           4
        .value_kind:     by_value
      - .offset:         4
        .size:           4
        .value_kind:     by_value
      - .offset:         8
        .size:           4
        .value_kind:     by_value
      - .offset:         12
        .size:           4
        .value_kind:     by_value
      - .offset:         16
        .size:           16
        .value_kind:     by_value
      - .offset:         32
        .size:           8
        .value_kind:     by_value
      - .address_space:  global
        .offset:         40
        .size:           8
        .value_kind:     global_buffer
      - .offset:         48
        .size:           8
        .value_kind:     by_value
      - .offset:         56
        .size:           8
        .value_kind:     by_value
      - .address_space:  global
        .offset:         64
        .size:           8
        .value_kind:     global_buffer
      - .offset:         72
        .size:           8
        .value_kind:     by_value
      - .offset:         80
        .size:           8
        .value_kind:     by_value
      - .address_space:  global
        .offset:         88
        .size:           8
        .value_kind:     global_buffer
      - .offset:         96
        .size:           8
        .value_kind:     by_value
      - .offset:         104
        .size:           8
        .value_kind:     by_value
      - .offset:         112
        .size:           4
        .value_kind:     by_value
    .group_segment_fixed_size: 8192
    .kernarg_segment_align: 8
    .kernarg_segment_size: 116
    .language:       OpenCL C
    .language_version:
      - 2
      - 0
    .max_flat_workgroup_size: 256
    .name:           _ZL23rocblas_trmm_rTx_kernelILi16ELb0E19rocblas_complex_numIdES1_KPKS1_KPS1_Ev13rocblas_fill_17rocblas_diagonal_iiT2_lPT3_llSB_llPT4_lli
    .private_segment_fixed_size: 0
    .sgpr_count:     42
    .sgpr_spill_count: 0
    .symbol:         _ZL23rocblas_trmm_rTx_kernelILi16ELb0E19rocblas_complex_numIdES1_KPKS1_KPS1_Ev13rocblas_fill_17rocblas_diagonal_iiT2_lPT3_llSB_llPT4_lli.kd
    .uniform_work_group_size: 1
    .uses_dynamic_stack: false
    .vgpr_count:     57
    .vgpr_spill_count: 0
    .wavefront_size: 32
    .workgroup_processor_mode: 1
  - .args:
      - .offset:         0
        .size:           4
        .value_kind:     by_value
      - .offset:         4
        .size:           4
        .value_kind:     by_value
      - .offset:         8
        .size:           4
        .value_kind:     by_value
      - .offset:         12
        .size:           4
        .value_kind:     by_value
      - .address_space:  global
        .offset:         16
        .size:           8
        .value_kind:     global_buffer
      - .offset:         24
        .size:           8
        .value_kind:     by_value
      - .address_space:  global
        .offset:         32
        .size:           8
        .value_kind:     global_buffer
      - .offset:         40
        .size:           8
        .value_kind:     by_value
      - .offset:         48
        .size:           8
        .value_kind:     by_value
      - .address_space:  global
        .offset:         56
        .size:           8
        .value_kind:     global_buffer
      - .offset:         64
        .size:           8
        .value_kind:     by_value
      - .offset:         72
        .size:           8
        .value_kind:     by_value
      - .address_space:  global
        .offset:         80
        .size:           8
        .value_kind:     global_buffer
      - .offset:         88
        .size:           8
        .value_kind:     by_value
      - .offset:         96
        .size:           8
        .value_kind:     by_value
      - .offset:         104
        .size:           4
        .value_kind:     by_value
    .group_segment_fixed_size: 8192
    .kernarg_segment_align: 8
    .kernarg_segment_size: 108
    .language:       OpenCL C
    .language_version:
      - 2
      - 0
    .max_flat_workgroup_size: 256
    .name:           _ZL23rocblas_trmm_rTx_kernelILi16ELb1E19rocblas_complex_numIdEPKS1_KS3_KPS1_Ev13rocblas_fill_17rocblas_diagonal_iiT2_lPT3_llSB_llPT4_lli
    .private_segment_fixed_size: 0
    .sgpr_count:     42
    .sgpr_spill_count: 0
    .symbol:         _ZL23rocblas_trmm_rTx_kernelILi16ELb1E19rocblas_complex_numIdEPKS1_KS3_KPS1_Ev13rocblas_fill_17rocblas_diagonal_iiT2_lPT3_llSB_llPT4_lli.kd
    .uniform_work_group_size: 1
    .uses_dynamic_stack: false
    .vgpr_count:     61
    .vgpr_spill_count: 0
    .wavefront_size: 32
    .workgroup_processor_mode: 1
  - .args:
      - .offset:         0
        .size:           4
        .value_kind:     by_value
      - .offset:         4
        .size:           4
        .value_kind:     by_value
      - .offset:         8
        .size:           4
        .value_kind:     by_value
      - .offset:         12
        .size:           4
        .value_kind:     by_value
      - .offset:         16
        .size:           16
        .value_kind:     by_value
      - .offset:         32
        .size:           8
        .value_kind:     by_value
      - .address_space:  global
        .offset:         40
        .size:           8
        .value_kind:     global_buffer
      - .offset:         48
        .size:           8
        .value_kind:     by_value
      - .offset:         56
        .size:           8
        .value_kind:     by_value
      - .address_space:  global
        .offset:         64
        .size:           8
        .value_kind:     global_buffer
      - .offset:         72
        .size:           8
        .value_kind:     by_value
      - .offset:         80
        .size:           8
        .value_kind:     by_value
      - .address_space:  global
        .offset:         88
        .size:           8
        .value_kind:     global_buffer
      - .offset:         96
        .size:           8
        .value_kind:     by_value
      - .offset:         104
        .size:           8
        .value_kind:     by_value
      - .offset:         112
        .size:           4
        .value_kind:     by_value
    .group_segment_fixed_size: 8192
    .kernarg_segment_align: 8
    .kernarg_segment_size: 116
    .language:       OpenCL C
    .language_version:
      - 2
      - 0
    .max_flat_workgroup_size: 256
    .name:           _ZL23rocblas_trmm_rTx_kernelILi16ELb1E19rocblas_complex_numIdES1_KPKS1_KPS1_Ev13rocblas_fill_17rocblas_diagonal_iiT2_lPT3_llSB_llPT4_lli
    .private_segment_fixed_size: 0
    .sgpr_count:     42
    .sgpr_spill_count: 0
    .symbol:         _ZL23rocblas_trmm_rTx_kernelILi16ELb1E19rocblas_complex_numIdES1_KPKS1_KPS1_Ev13rocblas_fill_17rocblas_diagonal_iiT2_lPT3_llSB_llPT4_lli.kd
    .uniform_work_group_size: 1
    .uses_dynamic_stack: false
    .vgpr_count:     57
    .vgpr_spill_count: 0
    .wavefront_size: 32
    .workgroup_processor_mode: 1
  - .args:
      - .offset:         0
        .size:           4
        .value_kind:     by_value
      - .offset:         4
        .size:           4
        .value_kind:     by_value
      - .address_space:  global
        .offset:         8
        .size:           8
        .value_kind:     global_buffer
      - .offset:         16
        .size:           8
        .value_kind:     by_value
      - .address_space:  global
        .offset:         24
        .size:           8
        .value_kind:     global_buffer
      - .offset:         32
        .size:           8
        .value_kind:     by_value
      - .offset:         40
        .size:           8
        .value_kind:     by_value
      - .offset:         48
        .size:           4
        .value_kind:     by_value
      - .offset:         56
        .size:           4
        .value_kind:     hidden_block_count_x
      - .offset:         60
        .size:           4
        .value_kind:     hidden_block_count_y
      - .offset:         64
        .size:           4
        .value_kind:     hidden_block_count_z
      - .offset:         68
        .size:           2
        .value_kind:     hidden_group_size_x
      - .offset:         70
        .size:           2
        .value_kind:     hidden_group_size_y
      - .offset:         72
        .size:           2
        .value_kind:     hidden_group_size_z
      - .offset:         74
        .size:           2
        .value_kind:     hidden_remainder_x
      - .offset:         76
        .size:           2
        .value_kind:     hidden_remainder_y
      - .offset:         78
        .size:           2
        .value_kind:     hidden_remainder_z
      - .offset:         96
        .size:           8
        .value_kind:     hidden_global_offset_x
      - .offset:         104
        .size:           8
        .value_kind:     hidden_global_offset_y
      - .offset:         112
        .size:           8
        .value_kind:     hidden_global_offset_z
      - .offset:         120
        .size:           2
        .value_kind:     hidden_grid_dims
    .group_segment_fixed_size: 0
    .kernarg_segment_align: 8
    .kernarg_segment_size: 312
    .language:       OpenCL C
    .language_version:
      - 2
      - 0
    .max_flat_workgroup_size: 256
    .name:           _ZL44rocblas_set_matrix_zero_if_alpha_zero_kernelILi16ELi16EPKfPKPfEviiT1_lT2_lli
    .private_segment_fixed_size: 0
    .sgpr_count:     24
    .sgpr_spill_count: 0
    .symbol:         _ZL44rocblas_set_matrix_zero_if_alpha_zero_kernelILi16ELi16EPKfPKPfEviiT1_lT2_lli.kd
    .uniform_work_group_size: 1
    .uses_dynamic_stack: false
    .vgpr_count:     9
    .vgpr_spill_count: 0
    .wavefront_size: 32
    .workgroup_processor_mode: 1
  - .args:
      - .offset:         0
        .size:           4
        .value_kind:     by_value
      - .offset:         4
        .size:           4
        .value_kind:     by_value
      - .offset:         8
        .size:           4
        .value_kind:     by_value
      - .offset:         16
        .size:           8
        .value_kind:     by_value
      - .address_space:  global
        .offset:         24
        .size:           8
        .value_kind:     global_buffer
      - .offset:         32
        .size:           8
        .value_kind:     by_value
      - .offset:         40
        .size:           8
        .value_kind:     by_value
      - .offset:         48
        .size:           4
        .value_kind:     by_value
      - .offset:         56
        .size:           4
        .value_kind:     hidden_block_count_x
      - .offset:         60
        .size:           4
        .value_kind:     hidden_block_count_y
      - .offset:         64
        .size:           4
        .value_kind:     hidden_block_count_z
      - .offset:         68
        .size:           2
        .value_kind:     hidden_group_size_x
      - .offset:         70
        .size:           2
        .value_kind:     hidden_group_size_y
      - .offset:         72
        .size:           2
        .value_kind:     hidden_group_size_z
      - .offset:         74
        .size:           2
        .value_kind:     hidden_remainder_x
      - .offset:         76
        .size:           2
        .value_kind:     hidden_remainder_y
      - .offset:         78
        .size:           2
        .value_kind:     hidden_remainder_z
      - .offset:         96
        .size:           8
        .value_kind:     hidden_global_offset_x
      - .offset:         104
        .size:           8
        .value_kind:     hidden_global_offset_y
      - .offset:         112
        .size:           8
        .value_kind:     hidden_global_offset_z
      - .offset:         120
        .size:           2
        .value_kind:     hidden_grid_dims
    .group_segment_fixed_size: 0
    .kernarg_segment_align: 8
    .kernarg_segment_size: 312
    .language:       OpenCL C
    .language_version:
      - 2
      - 0
    .max_flat_workgroup_size: 256
    .name:           _ZL44rocblas_set_matrix_zero_if_alpha_zero_kernelILi16ELi16EfPKPfEviiT1_lT2_lli
    .private_segment_fixed_size: 0
    .sgpr_count:     22
    .sgpr_spill_count: 0
    .symbol:         _ZL44rocblas_set_matrix_zero_if_alpha_zero_kernelILi16ELi16EfPKPfEviiT1_lT2_lli.kd
    .uniform_work_group_size: 1
    .uses_dynamic_stack: false
    .vgpr_count:     9
    .vgpr_spill_count: 0
    .wavefront_size: 32
    .workgroup_processor_mode: 1
  - .args:
      - .offset:         0
        .size:           4
        .value_kind:     by_value
      - .offset:         4
        .size:           4
        .value_kind:     by_value
      - .address_space:  global
        .offset:         8
        .size:           8
        .value_kind:     global_buffer
      - .offset:         16
        .size:           8
        .value_kind:     by_value
      - .address_space:  global
        .offset:         24
        .size:           8
        .value_kind:     global_buffer
      - .offset:         32
        .size:           8
        .value_kind:     by_value
      - .offset:         40
        .size:           8
        .value_kind:     by_value
      - .offset:         48
        .size:           4
        .value_kind:     by_value
      - .offset:         56
        .size:           4
        .value_kind:     hidden_block_count_x
      - .offset:         60
        .size:           4
        .value_kind:     hidden_block_count_y
      - .offset:         64
        .size:           4
        .value_kind:     hidden_block_count_z
      - .offset:         68
        .size:           2
        .value_kind:     hidden_group_size_x
      - .offset:         70
        .size:           2
        .value_kind:     hidden_group_size_y
      - .offset:         72
        .size:           2
        .value_kind:     hidden_group_size_z
      - .offset:         74
        .size:           2
        .value_kind:     hidden_remainder_x
      - .offset:         76
        .size:           2
        .value_kind:     hidden_remainder_y
      - .offset:         78
        .size:           2
        .value_kind:     hidden_remainder_z
      - .offset:         96
        .size:           8
        .value_kind:     hidden_global_offset_x
      - .offset:         104
        .size:           8
        .value_kind:     hidden_global_offset_y
      - .offset:         112
        .size:           8
        .value_kind:     hidden_global_offset_z
      - .offset:         120
        .size:           2
        .value_kind:     hidden_grid_dims
    .group_segment_fixed_size: 0
    .kernarg_segment_align: 8
    .kernarg_segment_size: 312
    .language:       OpenCL C
    .language_version:
      - 2
      - 0
    .max_flat_workgroup_size: 256
    .name:           _ZL44rocblas_set_matrix_zero_if_alpha_zero_kernelILi16ELi16EPKfPfEviiT1_lT2_lli
    .private_segment_fixed_size: 0
    .sgpr_count:     24
    .sgpr_spill_count: 0
    .symbol:         _ZL44rocblas_set_matrix_zero_if_alpha_zero_kernelILi16ELi16EPKfPfEviiT1_lT2_lli.kd
    .uniform_work_group_size: 1
    .uses_dynamic_stack: false
    .vgpr_count:     11
    .vgpr_spill_count: 0
    .wavefront_size: 32
    .workgroup_processor_mode: 1
  - .args:
      - .offset:         0
        .size:           4
        .value_kind:     by_value
      - .offset:         4
        .size:           4
        .value_kind:     by_value
      - .offset:         8
        .size:           4
        .value_kind:     by_value
      - .offset:         16
        .size:           8
        .value_kind:     by_value
      - .address_space:  global
        .offset:         24
        .size:           8
        .value_kind:     global_buffer
      - .offset:         32
        .size:           8
        .value_kind:     by_value
      - .offset:         40
        .size:           8
        .value_kind:     by_value
      - .offset:         48
        .size:           4
        .value_kind:     by_value
      - .offset:         56
        .size:           4
        .value_kind:     hidden_block_count_x
      - .offset:         60
        .size:           4
        .value_kind:     hidden_block_count_y
      - .offset:         64
        .size:           4
        .value_kind:     hidden_block_count_z
      - .offset:         68
        .size:           2
        .value_kind:     hidden_group_size_x
      - .offset:         70
        .size:           2
        .value_kind:     hidden_group_size_y
      - .offset:         72
        .size:           2
        .value_kind:     hidden_group_size_z
      - .offset:         74
        .size:           2
        .value_kind:     hidden_remainder_x
      - .offset:         76
        .size:           2
        .value_kind:     hidden_remainder_y
      - .offset:         78
        .size:           2
        .value_kind:     hidden_remainder_z
      - .offset:         96
        .size:           8
        .value_kind:     hidden_global_offset_x
      - .offset:         104
        .size:           8
        .value_kind:     hidden_global_offset_y
      - .offset:         112
        .size:           8
        .value_kind:     hidden_global_offset_z
      - .offset:         120
        .size:           2
        .value_kind:     hidden_grid_dims
    .group_segment_fixed_size: 0
    .kernarg_segment_align: 8
    .kernarg_segment_size: 312
    .language:       OpenCL C
    .language_version:
      - 2
      - 0
    .max_flat_workgroup_size: 256
    .name:           _ZL44rocblas_set_matrix_zero_if_alpha_zero_kernelILi16ELi16EfPfEviiT1_lT2_lli
    .private_segment_fixed_size: 0
    .sgpr_count:     21
    .sgpr_spill_count: 0
    .symbol:         _ZL44rocblas_set_matrix_zero_if_alpha_zero_kernelILi16ELi16EfPfEviiT1_lT2_lli.kd
    .uniform_work_group_size: 1
    .uses_dynamic_stack: false
    .vgpr_count:     11
    .vgpr_spill_count: 0
    .wavefront_size: 32
    .workgroup_processor_mode: 1
  - .args:
      - .offset:         0
        .size:           4
        .value_kind:     by_value
      - .offset:         4
        .size:           4
        .value_kind:     by_value
      - .address_space:  global
        .offset:         8
        .size:           8
        .value_kind:     global_buffer
      - .offset:         16
        .size:           8
        .value_kind:     by_value
      - .address_space:  global
        .offset:         24
        .size:           8
        .value_kind:     global_buffer
      - .offset:         32
        .size:           8
        .value_kind:     by_value
      - .offset:         40
        .size:           8
        .value_kind:     by_value
      - .offset:         48
        .size:           4
        .value_kind:     by_value
      - .offset:         56
        .size:           4
        .value_kind:     hidden_block_count_x
      - .offset:         60
        .size:           4
        .value_kind:     hidden_block_count_y
      - .offset:         64
        .size:           4
        .value_kind:     hidden_block_count_z
      - .offset:         68
        .size:           2
        .value_kind:     hidden_group_size_x
      - .offset:         70
        .size:           2
        .value_kind:     hidden_group_size_y
      - .offset:         72
        .size:           2
        .value_kind:     hidden_group_size_z
      - .offset:         74
        .size:           2
        .value_kind:     hidden_remainder_x
      - .offset:         76
        .size:           2
        .value_kind:     hidden_remainder_y
      - .offset:         78
        .size:           2
        .value_kind:     hidden_remainder_z
      - .offset:         96
        .size:           8
        .value_kind:     hidden_global_offset_x
      - .offset:         104
        .size:           8
        .value_kind:     hidden_global_offset_y
      - .offset:         112
        .size:           8
        .value_kind:     hidden_global_offset_z
      - .offset:         120
        .size:           2
        .value_kind:     hidden_grid_dims
    .group_segment_fixed_size: 0
    .kernarg_segment_align: 8
    .kernarg_segment_size: 312
    .language:       OpenCL C
    .language_version:
      - 2
      - 0
    .max_flat_workgroup_size: 256
    .name:           _ZL44rocblas_set_matrix_zero_if_alpha_zero_kernelILi16ELi16EPKdPdEviiT1_lT2_lli
    .private_segment_fixed_size: 0
    .sgpr_count:     24
    .sgpr_spill_count: 0
    .symbol:         _ZL44rocblas_set_matrix_zero_if_alpha_zero_kernelILi16ELi16EPKdPdEviiT1_lT2_lli.kd
    .uniform_work_group_size: 1
    .uses_dynamic_stack: false
    .vgpr_count:     11
    .vgpr_spill_count: 0
    .wavefront_size: 32
    .workgroup_processor_mode: 1
  - .args:
      - .offset:         0
        .size:           4
        .value_kind:     by_value
      - .offset:         4
        .size:           4
        .value_kind:     by_value
      - .offset:         8
        .size:           8
        .value_kind:     by_value
      - .offset:         16
        .size:           8
        .value_kind:     by_value
      - .address_space:  global
        .offset:         24
        .size:           8
        .value_kind:     global_buffer
      - .offset:         32
        .size:           8
        .value_kind:     by_value
      - .offset:         40
        .size:           8
        .value_kind:     by_value
      - .offset:         48
        .size:           4
        .value_kind:     by_value
      - .offset:         56
        .size:           4
        .value_kind:     hidden_block_count_x
      - .offset:         60
        .size:           4
        .value_kind:     hidden_block_count_y
      - .offset:         64
        .size:           4
        .value_kind:     hidden_block_count_z
      - .offset:         68
        .size:           2
        .value_kind:     hidden_group_size_x
      - .offset:         70
        .size:           2
        .value_kind:     hidden_group_size_y
      - .offset:         72
        .size:           2
        .value_kind:     hidden_group_size_z
      - .offset:         74
        .size:           2
        .value_kind:     hidden_remainder_x
      - .offset:         76
        .size:           2
        .value_kind:     hidden_remainder_y
      - .offset:         78
        .size:           2
        .value_kind:     hidden_remainder_z
      - .offset:         96
        .size:           8
        .value_kind:     hidden_global_offset_x
      - .offset:         104
        .size:           8
        .value_kind:     hidden_global_offset_y
      - .offset:         112
        .size:           8
        .value_kind:     hidden_global_offset_z
      - .offset:         120
        .size:           2
        .value_kind:     hidden_grid_dims
    .group_segment_fixed_size: 0
    .kernarg_segment_align: 8
    .kernarg_segment_size: 312
    .language:       OpenCL C
    .language_version:
      - 2
      - 0
    .max_flat_workgroup_size: 256
    .name:           _ZL44rocblas_set_matrix_zero_if_alpha_zero_kernelILi16ELi16EdPdEviiT1_lT2_lli
    .private_segment_fixed_size: 0
    .sgpr_count:     22
    .sgpr_spill_count: 0
    .symbol:         _ZL44rocblas_set_matrix_zero_if_alpha_zero_kernelILi16ELi16EdPdEviiT1_lT2_lli.kd
    .uniform_work_group_size: 1
    .uses_dynamic_stack: false
    .vgpr_count:     11
    .vgpr_spill_count: 0
    .wavefront_size: 32
    .workgroup_processor_mode: 1
  - .args:
      - .offset:         0
        .size:           4
        .value_kind:     by_value
      - .offset:         4
        .size:           4
        .value_kind:     by_value
      - .address_space:  global
        .offset:         8
        .size:           8
        .value_kind:     global_buffer
      - .offset:         16
        .size:           8
        .value_kind:     by_value
      - .address_space:  global
        .offset:         24
        .size:           8
        .value_kind:     global_buffer
      - .offset:         32
        .size:           8
        .value_kind:     by_value
      - .offset:         40
        .size:           8
        .value_kind:     by_value
      - .offset:         48
        .size:           4
        .value_kind:     by_value
      - .offset:         56
        .size:           4
        .value_kind:     hidden_block_count_x
      - .offset:         60
        .size:           4
        .value_kind:     hidden_block_count_y
      - .offset:         64
        .size:           4
        .value_kind:     hidden_block_count_z
      - .offset:         68
        .size:           2
        .value_kind:     hidden_group_size_x
      - .offset:         70
        .size:           2
        .value_kind:     hidden_group_size_y
      - .offset:         72
        .size:           2
        .value_kind:     hidden_group_size_z
      - .offset:         74
        .size:           2
        .value_kind:     hidden_remainder_x
      - .offset:         76
        .size:           2
        .value_kind:     hidden_remainder_y
      - .offset:         78
        .size:           2
        .value_kind:     hidden_remainder_z
      - .offset:         96
        .size:           8
        .value_kind:     hidden_global_offset_x
      - .offset:         104
        .size:           8
        .value_kind:     hidden_global_offset_y
      - .offset:         112
        .size:           8
        .value_kind:     hidden_global_offset_z
      - .offset:         120
        .size:           2
        .value_kind:     hidden_grid_dims
    .group_segment_fixed_size: 0
    .kernarg_segment_align: 8
    .kernarg_segment_size: 312
    .language:       OpenCL C
    .language_version:
      - 2
      - 0
    .max_flat_workgroup_size: 256
    .name:           _ZL44rocblas_set_matrix_zero_if_alpha_zero_kernelILi16ELi16EPKdPKPdEviiT1_lT2_lli
    .private_segment_fixed_size: 0
    .sgpr_count:     24
    .sgpr_spill_count: 0
    .symbol:         _ZL44rocblas_set_matrix_zero_if_alpha_zero_kernelILi16ELi16EPKdPKPdEviiT1_lT2_lli.kd
    .uniform_work_group_size: 1
    .uses_dynamic_stack: false
    .vgpr_count:     10
    .vgpr_spill_count: 0
    .wavefront_size: 32
    .workgroup_processor_mode: 1
  - .args:
      - .offset:         0
        .size:           4
        .value_kind:     by_value
      - .offset:         4
        .size:           4
        .value_kind:     by_value
      - .offset:         8
        .size:           8
        .value_kind:     by_value
      - .offset:         16
        .size:           8
        .value_kind:     by_value
      - .address_space:  global
        .offset:         24
        .size:           8
        .value_kind:     global_buffer
      - .offset:         32
        .size:           8
        .value_kind:     by_value
      - .offset:         40
        .size:           8
        .value_kind:     by_value
      - .offset:         48
        .size:           4
        .value_kind:     by_value
      - .offset:         56
        .size:           4
        .value_kind:     hidden_block_count_x
      - .offset:         60
        .size:           4
        .value_kind:     hidden_block_count_y
      - .offset:         64
        .size:           4
        .value_kind:     hidden_block_count_z
      - .offset:         68
        .size:           2
        .value_kind:     hidden_group_size_x
      - .offset:         70
        .size:           2
        .value_kind:     hidden_group_size_y
      - .offset:         72
        .size:           2
        .value_kind:     hidden_group_size_z
      - .offset:         74
        .size:           2
        .value_kind:     hidden_remainder_x
      - .offset:         76
        .size:           2
        .value_kind:     hidden_remainder_y
      - .offset:         78
        .size:           2
        .value_kind:     hidden_remainder_z
      - .offset:         96
        .size:           8
        .value_kind:     hidden_global_offset_x
      - .offset:         104
        .size:           8
        .value_kind:     hidden_global_offset_y
      - .offset:         112
        .size:           8
        .value_kind:     hidden_global_offset_z
      - .offset:         120
        .size:           2
        .value_kind:     hidden_grid_dims
    .group_segment_fixed_size: 0
    .kernarg_segment_align: 8
    .kernarg_segment_size: 312
    .language:       OpenCL C
    .language_version:
      - 2
      - 0
    .max_flat_workgroup_size: 256
    .name:           _ZL44rocblas_set_matrix_zero_if_alpha_zero_kernelILi16ELi16EdPKPdEviiT1_lT2_lli
    .private_segment_fixed_size: 0
    .sgpr_count:     20
    .sgpr_spill_count: 0
    .symbol:         _ZL44rocblas_set_matrix_zero_if_alpha_zero_kernelILi16ELi16EdPKPdEviiT1_lT2_lli.kd
    .uniform_work_group_size: 1
    .uses_dynamic_stack: false
    .vgpr_count:     10
    .vgpr_spill_count: 0
    .wavefront_size: 32
    .workgroup_processor_mode: 1
  - .args:
      - .offset:         0
        .size:           4
        .value_kind:     by_value
      - .offset:         4
        .size:           4
        .value_kind:     by_value
      - .address_space:  global
        .offset:         8
        .size:           8
        .value_kind:     global_buffer
      - .offset:         16
        .size:           8
        .value_kind:     by_value
      - .address_space:  global
        .offset:         24
        .size:           8
        .value_kind:     global_buffer
      - .offset:         32
        .size:           8
        .value_kind:     by_value
      - .offset:         40
        .size:           8
        .value_kind:     by_value
      - .offset:         48
        .size:           4
        .value_kind:     by_value
      - .offset:         56
        .size:           4
        .value_kind:     hidden_block_count_x
      - .offset:         60
        .size:           4
        .value_kind:     hidden_block_count_y
      - .offset:         64
        .size:           4
        .value_kind:     hidden_block_count_z
      - .offset:         68
        .size:           2
        .value_kind:     hidden_group_size_x
      - .offset:         70
        .size:           2
        .value_kind:     hidden_group_size_y
      - .offset:         72
        .size:           2
        .value_kind:     hidden_group_size_z
      - .offset:         74
        .size:           2
        .value_kind:     hidden_remainder_x
      - .offset:         76
        .size:           2
        .value_kind:     hidden_remainder_y
      - .offset:         78
        .size:           2
        .value_kind:     hidden_remainder_z
      - .offset:         96
        .size:           8
        .value_kind:     hidden_global_offset_x
      - .offset:         104
        .size:           8
        .value_kind:     hidden_global_offset_y
      - .offset:         112
        .size:           8
        .value_kind:     hidden_global_offset_z
      - .offset:         120
        .size:           2
        .value_kind:     hidden_grid_dims
    .group_segment_fixed_size: 0
    .kernarg_segment_align: 8
    .kernarg_segment_size: 312
    .language:       OpenCL C
    .language_version:
      - 2
      - 0
    .max_flat_workgroup_size: 256
    .name:           _ZL44rocblas_set_matrix_zero_if_alpha_zero_kernelILi16ELi16EPK19rocblas_complex_numIfEPKPS1_EviiT1_lT2_lli
    .private_segment_fixed_size: 0
    .sgpr_count:     26
    .sgpr_spill_count: 0
    .symbol:         _ZL44rocblas_set_matrix_zero_if_alpha_zero_kernelILi16ELi16EPK19rocblas_complex_numIfEPKPS1_EviiT1_lT2_lli.kd
    .uniform_work_group_size: 1
    .uses_dynamic_stack: false
    .vgpr_count:     13
    .vgpr_spill_count: 0
    .wavefront_size: 32
    .workgroup_processor_mode: 1
  - .args:
      - .offset:         0
        .size:           4
        .value_kind:     by_value
      - .offset:         4
        .size:           4
        .value_kind:     by_value
      - .offset:         8
        .size:           8
        .value_kind:     by_value
      - .offset:         16
        .size:           8
        .value_kind:     by_value
      - .address_space:  global
        .offset:         24
        .size:           8
        .value_kind:     global_buffer
      - .offset:         32
        .size:           8
        .value_kind:     by_value
      - .offset:         40
        .size:           8
        .value_kind:     by_value
      - .offset:         48
        .size:           4
        .value_kind:     by_value
      - .offset:         56
        .size:           4
        .value_kind:     hidden_block_count_x
      - .offset:         60
        .size:           4
        .value_kind:     hidden_block_count_y
      - .offset:         64
        .size:           4
        .value_kind:     hidden_block_count_z
      - .offset:         68
        .size:           2
        .value_kind:     hidden_group_size_x
      - .offset:         70
        .size:           2
        .value_kind:     hidden_group_size_y
      - .offset:         72
        .size:           2
        .value_kind:     hidden_group_size_z
      - .offset:         74
        .size:           2
        .value_kind:     hidden_remainder_x
      - .offset:         76
        .size:           2
        .value_kind:     hidden_remainder_y
      - .offset:         78
        .size:           2
        .value_kind:     hidden_remainder_z
      - .offset:         96
        .size:           8
        .value_kind:     hidden_global_offset_x
      - .offset:         104
        .size:           8
        .value_kind:     hidden_global_offset_y
      - .offset:         112
        .size:           8
        .value_kind:     hidden_global_offset_z
      - .offset:         120
        .size:           2
        .value_kind:     hidden_grid_dims
    .group_segment_fixed_size: 0
    .kernarg_segment_align: 8
    .kernarg_segment_size: 312
    .language:       OpenCL C
    .language_version:
      - 2
      - 0
    .max_flat_workgroup_size: 256
    .name:           _ZL44rocblas_set_matrix_zero_if_alpha_zero_kernelILi16ELi16E19rocblas_complex_numIfEPKPS1_EviiT1_lT2_lli
    .private_segment_fixed_size: 0
    .sgpr_count:     22
    .sgpr_spill_count: 0
    .symbol:         _ZL44rocblas_set_matrix_zero_if_alpha_zero_kernelILi16ELi16E19rocblas_complex_numIfEPKPS1_EviiT1_lT2_lli.kd
    .uniform_work_group_size: 1
    .uses_dynamic_stack: false
    .vgpr_count:     13
    .vgpr_spill_count: 0
    .wavefront_size: 32
    .workgroup_processor_mode: 1
  - .args:
      - .offset:         0
        .size:           4
        .value_kind:     by_value
      - .offset:         4
        .size:           4
        .value_kind:     by_value
      - .address_space:  global
        .offset:         8
        .size:           8
        .value_kind:     global_buffer
      - .offset:         16
        .size:           8
        .value_kind:     by_value
      - .address_space:  global
        .offset:         24
        .size:           8
        .value_kind:     global_buffer
      - .offset:         32
        .size:           8
        .value_kind:     by_value
      - .offset:         40
        .size:           8
        .value_kind:     by_value
      - .offset:         48
        .size:           4
        .value_kind:     by_value
      - .offset:         56
        .size:           4
        .value_kind:     hidden_block_count_x
      - .offset:         60
        .size:           4
        .value_kind:     hidden_block_count_y
      - .offset:         64
        .size:           4
        .value_kind:     hidden_block_count_z
      - .offset:         68
        .size:           2
        .value_kind:     hidden_group_size_x
      - .offset:         70
        .size:           2
        .value_kind:     hidden_group_size_y
      - .offset:         72
        .size:           2
        .value_kind:     hidden_group_size_z
      - .offset:         74
        .size:           2
        .value_kind:     hidden_remainder_x
      - .offset:         76
        .size:           2
        .value_kind:     hidden_remainder_y
      - .offset:         78
        .size:           2
        .value_kind:     hidden_remainder_z
      - .offset:         96
        .size:           8
        .value_kind:     hidden_global_offset_x
      - .offset:         104
        .size:           8
        .value_kind:     hidden_global_offset_y
      - .offset:         112
        .size:           8
        .value_kind:     hidden_global_offset_z
      - .offset:         120
        .size:           2
        .value_kind:     hidden_grid_dims
    .group_segment_fixed_size: 0
    .kernarg_segment_align: 8
    .kernarg_segment_size: 312
    .language:       OpenCL C
    .language_version:
      - 2
      - 0
    .max_flat_workgroup_size: 256
    .name:           _ZL44rocblas_set_matrix_zero_if_alpha_zero_kernelILi16ELi16EPK19rocblas_complex_numIfEPS1_EviiT1_lT2_lli
    .private_segment_fixed_size: 0
    .sgpr_count:     24
    .sgpr_spill_count: 0
    .symbol:         _ZL44rocblas_set_matrix_zero_if_alpha_zero_kernelILi16ELi16EPK19rocblas_complex_numIfEPS1_EviiT1_lT2_lli.kd
    .uniform_work_group_size: 1
    .uses_dynamic_stack: false
    .vgpr_count:     11
    .vgpr_spill_count: 0
    .wavefront_size: 32
    .workgroup_processor_mode: 1
  - .args:
      - .offset:         0
        .size:           4
        .value_kind:     by_value
      - .offset:         4
        .size:           4
        .value_kind:     by_value
      - .offset:         8
        .size:           8
        .value_kind:     by_value
      - .offset:         16
        .size:           8
        .value_kind:     by_value
      - .address_space:  global
        .offset:         24
        .size:           8
        .value_kind:     global_buffer
      - .offset:         32
        .size:           8
        .value_kind:     by_value
      - .offset:         40
        .size:           8
        .value_kind:     by_value
      - .offset:         48
        .size:           4
        .value_kind:     by_value
      - .offset:         56
        .size:           4
        .value_kind:     hidden_block_count_x
      - .offset:         60
        .size:           4
        .value_kind:     hidden_block_count_y
      - .offset:         64
        .size:           4
        .value_kind:     hidden_block_count_z
      - .offset:         68
        .size:           2
        .value_kind:     hidden_group_size_x
      - .offset:         70
        .size:           2
        .value_kind:     hidden_group_size_y
      - .offset:         72
        .size:           2
        .value_kind:     hidden_group_size_z
      - .offset:         74
        .size:           2
        .value_kind:     hidden_remainder_x
      - .offset:         76
        .size:           2
        .value_kind:     hidden_remainder_y
      - .offset:         78
        .size:           2
        .value_kind:     hidden_remainder_z
      - .offset:         96
        .size:           8
        .value_kind:     hidden_global_offset_x
      - .offset:         104
        .size:           8
        .value_kind:     hidden_global_offset_y
      - .offset:         112
        .size:           8
        .value_kind:     hidden_global_offset_z
      - .offset:         120
        .size:           2
        .value_kind:     hidden_grid_dims
    .group_segment_fixed_size: 0
    .kernarg_segment_align: 8
    .kernarg_segment_size: 312
    .language:       OpenCL C
    .language_version:
      - 2
      - 0
    .max_flat_workgroup_size: 256
    .name:           _ZL44rocblas_set_matrix_zero_if_alpha_zero_kernelILi16ELi16E19rocblas_complex_numIfEPS1_EviiT1_lT2_lli
    .private_segment_fixed_size: 0
    .sgpr_count:     23
    .sgpr_spill_count: 0
    .symbol:         _ZL44rocblas_set_matrix_zero_if_alpha_zero_kernelILi16ELi16E19rocblas_complex_numIfEPS1_EviiT1_lT2_lli.kd
    .uniform_work_group_size: 1
    .uses_dynamic_stack: false
    .vgpr_count:     11
    .vgpr_spill_count: 0
    .wavefront_size: 32
    .workgroup_processor_mode: 1
  - .args:
      - .offset:         0
        .size:           4
        .value_kind:     by_value
      - .offset:         4
        .size:           4
        .value_kind:     by_value
      - .address_space:  global
        .offset:         8
        .size:           8
        .value_kind:     global_buffer
      - .offset:         16
        .size:           8
        .value_kind:     by_value
      - .address_space:  global
        .offset:         24
        .size:           8
        .value_kind:     global_buffer
      - .offset:         32
        .size:           8
        .value_kind:     by_value
      - .offset:         40
        .size:           8
        .value_kind:     by_value
      - .offset:         48
        .size:           4
        .value_kind:     by_value
      - .offset:         56
        .size:           4
        .value_kind:     hidden_block_count_x
      - .offset:         60
        .size:           4
        .value_kind:     hidden_block_count_y
      - .offset:         64
        .size:           4
        .value_kind:     hidden_block_count_z
      - .offset:         68
        .size:           2
        .value_kind:     hidden_group_size_x
      - .offset:         70
        .size:           2
        .value_kind:     hidden_group_size_y
      - .offset:         72
        .size:           2
        .value_kind:     hidden_group_size_z
      - .offset:         74
        .size:           2
        .value_kind:     hidden_remainder_x
      - .offset:         76
        .size:           2
        .value_kind:     hidden_remainder_y
      - .offset:         78
        .size:           2
        .value_kind:     hidden_remainder_z
      - .offset:         96
        .size:           8
        .value_kind:     hidden_global_offset_x
      - .offset:         104
        .size:           8
        .value_kind:     hidden_global_offset_y
      - .offset:         112
        .size:           8
        .value_kind:     hidden_global_offset_z
      - .offset:         120
        .size:           2
        .value_kind:     hidden_grid_dims
    .group_segment_fixed_size: 0
    .kernarg_segment_align: 8
    .kernarg_segment_size: 312
    .language:       OpenCL C
    .language_version:
      - 2
      - 0
    .max_flat_workgroup_size: 256
    .name:           _ZL44rocblas_set_matrix_zero_if_alpha_zero_kernelILi16ELi16EPK19rocblas_complex_numIdEPKPS1_EviiT1_lT2_lli
    .private_segment_fixed_size: 0
    .sgpr_count:     24
    .sgpr_spill_count: 0
    .symbol:         _ZL44rocblas_set_matrix_zero_if_alpha_zero_kernelILi16ELi16EPK19rocblas_complex_numIdEPKPS1_EviiT1_lT2_lli.kd
    .uniform_work_group_size: 1
    .uses_dynamic_stack: false
    .vgpr_count:     12
    .vgpr_spill_count: 0
    .wavefront_size: 32
    .workgroup_processor_mode: 1
  - .args:
      - .offset:         0
        .size:           4
        .value_kind:     by_value
      - .offset:         4
        .size:           4
        .value_kind:     by_value
      - .offset:         8
        .size:           16
        .value_kind:     by_value
      - .offset:         24
        .size:           8
        .value_kind:     by_value
      - .address_space:  global
        .offset:         32
        .size:           8
        .value_kind:     global_buffer
      - .offset:         40
        .size:           8
        .value_kind:     by_value
      - .offset:         48
        .size:           8
        .value_kind:     by_value
      - .offset:         56
        .size:           4
        .value_kind:     by_value
      - .offset:         64
        .size:           4
        .value_kind:     hidden_block_count_x
      - .offset:         68
        .size:           4
        .value_kind:     hidden_block_count_y
      - .offset:         72
        .size:           4
        .value_kind:     hidden_block_count_z
      - .offset:         76
        .size:           2
        .value_kind:     hidden_group_size_x
      - .offset:         78
        .size:           2
        .value_kind:     hidden_group_size_y
      - .offset:         80
        .size:           2
        .value_kind:     hidden_group_size_z
      - .offset:         82
        .size:           2
        .value_kind:     hidden_remainder_x
      - .offset:         84
        .size:           2
        .value_kind:     hidden_remainder_y
      - .offset:         86
        .size:           2
        .value_kind:     hidden_remainder_z
      - .offset:         104
        .size:           8
        .value_kind:     hidden_global_offset_x
      - .offset:         112
        .size:           8
        .value_kind:     hidden_global_offset_y
      - .offset:         120
        .size:           8
        .value_kind:     hidden_global_offset_z
      - .offset:         128
        .size:           2
        .value_kind:     hidden_grid_dims
    .group_segment_fixed_size: 0
    .kernarg_segment_align: 8
    .kernarg_segment_size: 320
    .language:       OpenCL C
    .language_version:
      - 2
      - 0
    .max_flat_workgroup_size: 256
    .name:           _ZL44rocblas_set_matrix_zero_if_alpha_zero_kernelILi16ELi16E19rocblas_complex_numIdEPKPS1_EviiT1_lT2_lli
    .private_segment_fixed_size: 0
    .sgpr_count:     20
    .sgpr_spill_count: 0
    .symbol:         _ZL44rocblas_set_matrix_zero_if_alpha_zero_kernelILi16ELi16E19rocblas_complex_numIdEPKPS1_EviiT1_lT2_lli.kd
    .uniform_work_group_size: 1
    .uses_dynamic_stack: false
    .vgpr_count:     12
    .vgpr_spill_count: 0
    .wavefront_size: 32
    .workgroup_processor_mode: 1
  - .args:
      - .offset:         0
        .size:           4
        .value_kind:     by_value
      - .offset:         4
        .size:           4
        .value_kind:     by_value
      - .address_space:  global
        .offset:         8
        .size:           8
        .value_kind:     global_buffer
      - .offset:         16
        .size:           8
        .value_kind:     by_value
      - .address_space:  global
        .offset:         24
        .size:           8
        .value_kind:     global_buffer
      - .offset:         32
        .size:           8
        .value_kind:     by_value
      - .offset:         40
        .size:           8
        .value_kind:     by_value
      - .offset:         48
        .size:           4
        .value_kind:     by_value
      - .offset:         56
        .size:           4
        .value_kind:     hidden_block_count_x
      - .offset:         60
        .size:           4
        .value_kind:     hidden_block_count_y
      - .offset:         64
        .size:           4
        .value_kind:     hidden_block_count_z
      - .offset:         68
        .size:           2
        .value_kind:     hidden_group_size_x
      - .offset:         70
        .size:           2
        .value_kind:     hidden_group_size_y
      - .offset:         72
        .size:           2
        .value_kind:     hidden_group_size_z
      - .offset:         74
        .size:           2
        .value_kind:     hidden_remainder_x
      - .offset:         76
        .size:           2
        .value_kind:     hidden_remainder_y
      - .offset:         78
        .size:           2
        .value_kind:     hidden_remainder_z
      - .offset:         96
        .size:           8
        .value_kind:     hidden_global_offset_x
      - .offset:         104
        .size:           8
        .value_kind:     hidden_global_offset_y
      - .offset:         112
        .size:           8
        .value_kind:     hidden_global_offset_z
      - .offset:         120
        .size:           2
        .value_kind:     hidden_grid_dims
    .group_segment_fixed_size: 0
    .kernarg_segment_align: 8
    .kernarg_segment_size: 312
    .language:       OpenCL C
    .language_version:
      - 2
      - 0
    .max_flat_workgroup_size: 256
    .name:           _ZL44rocblas_set_matrix_zero_if_alpha_zero_kernelILi16ELi16EPK19rocblas_complex_numIdEPS1_EviiT1_lT2_lli
    .private_segment_fixed_size: 0
    .sgpr_count:     24
    .sgpr_spill_count: 0
    .symbol:         _ZL44rocblas_set_matrix_zero_if_alpha_zero_kernelILi16ELi16EPK19rocblas_complex_numIdEPS1_EviiT1_lT2_lli.kd
    .uniform_work_group_size: 1
    .uses_dynamic_stack: false
    .vgpr_count:     12
    .vgpr_spill_count: 0
    .wavefront_size: 32
    .workgroup_processor_mode: 1
  - .args:
      - .offset:         0
        .size:           4
        .value_kind:     by_value
      - .offset:         4
        .size:           4
        .value_kind:     by_value
      - .offset:         8
        .size:           16
        .value_kind:     by_value
      - .offset:         24
        .size:           8
        .value_kind:     by_value
      - .address_space:  global
        .offset:         32
        .size:           8
        .value_kind:     global_buffer
      - .offset:         40
        .size:           8
        .value_kind:     by_value
      - .offset:         48
        .size:           8
        .value_kind:     by_value
      - .offset:         56
        .size:           4
        .value_kind:     by_value
      - .offset:         64
        .size:           4
        .value_kind:     hidden_block_count_x
      - .offset:         68
        .size:           4
        .value_kind:     hidden_block_count_y
      - .offset:         72
        .size:           4
        .value_kind:     hidden_block_count_z
      - .offset:         76
        .size:           2
        .value_kind:     hidden_group_size_x
      - .offset:         78
        .size:           2
        .value_kind:     hidden_group_size_y
      - .offset:         80
        .size:           2
        .value_kind:     hidden_group_size_z
      - .offset:         82
        .size:           2
        .value_kind:     hidden_remainder_x
      - .offset:         84
        .size:           2
        .value_kind:     hidden_remainder_y
      - .offset:         86
        .size:           2
        .value_kind:     hidden_remainder_z
      - .offset:         104
        .size:           8
        .value_kind:     hidden_global_offset_x
      - .offset:         112
        .size:           8
        .value_kind:     hidden_global_offset_y
      - .offset:         120
        .size:           8
        .value_kind:     hidden_global_offset_z
      - .offset:         128
        .size:           2
        .value_kind:     hidden_grid_dims
    .group_segment_fixed_size: 0
    .kernarg_segment_align: 8
    .kernarg_segment_size: 320
    .language:       OpenCL C
    .language_version:
      - 2
      - 0
    .max_flat_workgroup_size: 256
    .name:           _ZL44rocblas_set_matrix_zero_if_alpha_zero_kernelILi16ELi16E19rocblas_complex_numIdEPS1_EviiT1_lT2_lli
    .private_segment_fixed_size: 0
    .sgpr_count:     20
    .sgpr_spill_count: 0
    .symbol:         _ZL44rocblas_set_matrix_zero_if_alpha_zero_kernelILi16ELi16E19rocblas_complex_numIdEPS1_EviiT1_lT2_lli.kd
    .uniform_work_group_size: 1
    .uses_dynamic_stack: false
    .vgpr_count:     12
    .vgpr_spill_count: 0
    .wavefront_size: 32
    .workgroup_processor_mode: 1
amdhsa.target:   amdgcn-amd-amdhsa--gfx1201
amdhsa.version:
  - 1
  - 2
...

	.end_amdgpu_metadata
